;; amdgpu-corpus repo=pytorch/pytorch kind=compiled arch=gfx1250 opt=O3
	.amdgcn_target "amdgcn-amd-amdhsa--gfx1250"
	.amdhsa_code_object_version 6
	.text
	.p2align	2                               ; -- Begin function _ZN2at6native25elementwise_kernel_helperILb0EZZZNS0_12_GLOBAL__N_137scaled_modified_bessel_k0_kernel_cudaERNS_18TensorIteratorBaseEENKUlvE_clEvENKUlvE_clEvEUldE_NS0_6memory8policies11unroll_baseILi256ESt5arrayIPcLm2EE23TrivialOffsetCalculatorILi1EjESF_NS8_15LoadWithoutCastENS8_16StoreWithoutCastELi4ELi1EEEEEvT0_T1_
	.type	_ZN2at6native25elementwise_kernel_helperILb0EZZZNS0_12_GLOBAL__N_137scaled_modified_bessel_k0_kernel_cudaERNS_18TensorIteratorBaseEENKUlvE_clEvENKUlvE_clEvEUldE_NS0_6memory8policies11unroll_baseILi256ESt5arrayIPcLm2EE23TrivialOffsetCalculatorILi1EjESF_NS8_15LoadWithoutCastENS8_16StoreWithoutCastELi4ELi1EEEEEvT0_T1_,@function
_ZN2at6native25elementwise_kernel_helperILb0EZZZNS0_12_GLOBAL__N_137scaled_modified_bessel_k0_kernel_cudaERNS_18TensorIteratorBaseEENKUlvE_clEvENKUlvE_clEvEUldE_NS0_6memory8policies11unroll_baseILi256ESt5arrayIPcLm2EE23TrivialOffsetCalculatorILi1EjESF_NS8_15LoadWithoutCastENS8_16StoreWithoutCastELi4ELi1EEEEEvT0_T1_: ; @_ZN2at6native25elementwise_kernel_helperILb0EZZZNS0_12_GLOBAL__N_137scaled_modified_bessel_k0_kernel_cudaERNS_18TensorIteratorBaseEENKUlvE_clEvENKUlvE_clEvEUldE_NS0_6memory8policies11unroll_baseILi256ESt5arrayIPcLm2EE23TrivialOffsetCalculatorILi1EjESF_NS8_15LoadWithoutCastENS8_16StoreWithoutCastELi4ELi1EEEEEvT0_T1_
; %bb.0:
	s_wait_loadcnt_dscnt 0x0
	s_wait_kmcnt 0x0
	s_bfe_u32 s0, ttmp6, 0x4000c
	s_and_b32 s1, ttmp6, 15
	s_add_co_i32 s0, s0, 1
	s_getreg_b32 s2, hwreg(HW_REG_IB_STS2, 6, 4)
	s_mul_i32 s0, ttmp9, s0
	v_and_b32_e32 v5, 0x3ff, v31
	s_add_co_i32 s1, s1, s0
	s_cmp_eq_u32 s2, 0
	v_mov_b64_e32 v[18:19], 0
	s_cselect_b32 s0, ttmp9, s1
	v_mov_b64_e32 v[20:21], 0
	s_lshl_b32 s2, s0, 10
	v_cmp_lt_i32_e64 s0, v5, v4
	v_dual_mov_b32 v7, v5 :: v_dual_bitop2_b32 v6, s2, v5 bitop3:0x54
	v_add_nc_u32_e32 v22, 0x100, v5
	s_and_saveexec_b32 s1, s0
	s_cbranch_execz .LBB0_2
; %bb.1:
	v_mov_b32_e32 v7, 0
	s_delay_alu instid0(VALU_DEP_1)
	v_lshl_add_u64 v[8:9], v[6:7], 3, v[2:3]
	v_add_nc_u32_e32 v7, 0x100, v5
	flat_load_b64 v[20:21], v[8:9]
.LBB0_2:
	s_wait_xcnt 0x0
	s_or_b32 exec_lo, exec_lo, s1
	s_delay_alu instid0(SALU_CYCLE_1)
	s_mov_b32 s1, exec_lo
	v_cmpx_lt_i32_e64 v7, v4
	s_cbranch_execz .LBB0_4
; %bb.3:
	v_dual_mov_b32 v9, 0 :: v_dual_add_nc_u32 v8, s2, v7
	v_add_nc_u32_e32 v7, 0x100, v7
	s_delay_alu instid0(VALU_DEP_2)
	v_lshl_add_u64 v[8:9], v[8:9], 3, v[2:3]
	flat_load_b64 v[18:19], v[8:9]
.LBB0_4:
	s_wait_xcnt 0x0
	s_or_b32 exec_lo, exec_lo, s1
	v_mov_b64_e32 v[8:9], 0
	v_mov_b64_e32 v[10:11], 0
	s_mov_b32 s1, exec_lo
	v_cmpx_lt_i32_e64 v7, v4
	s_cbranch_execz .LBB0_6
; %bb.5:
	v_dual_mov_b32 v11, 0 :: v_dual_add_nc_u32 v10, s2, v7
	v_add_nc_u32_e32 v7, 0x100, v7
	s_delay_alu instid0(VALU_DEP_2)
	v_lshl_add_u64 v[10:11], v[10:11], 3, v[2:3]
	flat_load_b64 v[10:11], v[10:11]
.LBB0_6:
	s_wait_xcnt 0x0
	s_or_b32 exec_lo, exec_lo, s1
	s_delay_alu instid0(SALU_CYCLE_1)
	s_mov_b32 s1, exec_lo
	v_cmpx_lt_i32_e64 v7, v4
	s_cbranch_execz .LBB0_8
; %bb.7:
	v_dual_mov_b32 v9, 0 :: v_dual_add_nc_u32 v8, s2, v7
	s_delay_alu instid0(VALU_DEP_1)
	v_lshl_add_u64 v[2:3], v[8:9], 3, v[2:3]
	flat_load_b64 v[8:9], v[2:3]
.LBB0_8:
	s_wait_xcnt 0x0
	s_or_b32 exec_lo, exec_lo, s1
	v_mov_b32_e32 v2, 0
	s_delay_alu instid0(VALU_DEP_1)
	v_dual_mov_b32 v3, v2 :: v_dual_mov_b32 v16, v2
	v_dual_mov_b32 v17, v2 :: v_dual_mov_b32 v14, v2
	v_dual_mov_b32 v15, v2 :: v_dual_mov_b32 v12, v2
	v_mov_b32_e32 v13, v2
	s_and_saveexec_b32 s3, s0
	s_cbranch_execz .LBB0_18
; %bb.9:
	v_mov_b64_e32 v[2:3], 0x7ff0000000000000
	s_mov_b32 s4, exec_lo
	s_wait_loadcnt_dscnt 0x0
	v_cmpx_neq_f64_e32 0, v[20:21]
	s_cbranch_execz .LBB0_17
; %bb.10:
	v_mov_b64_e32 v[2:3], 0x7ff8000000000000
	s_mov_b32 s5, exec_lo
	v_cmpx_ngt_f64_e32 0, v[20:21]
	s_cbranch_execz .LBB0_16
; %bb.11:
                                        ; implicit-def: $vgpr2_vgpr3
	s_mov_b32 s1, exec_lo
	v_cmpx_ge_f64_e32 2.0, v[20:21]
	s_xor_b32 s6, exec_lo, s1
	s_cbranch_execz .LBB0_13
; %bb.12:
	v_fma_f64 v[2:3], v[20:21], 0.5, -2.0
	s_mov_b64 s[8:9], 0xbc545cb72134d0ef
	v_mul_f64_e32 v[16:17], 0.5, v[20:21]
	s_delay_alu instid0(VALU_DEP_2) | instskip(SKIP_1) | instid1(VALU_DEP_2)
	v_fmaak_f64 v[12:13], s[8:9], v[2:3], 0x3c833362977da589
	s_mov_b64 s[8:9], 0x3fe5555555555555
	v_frexp_mant_f64_e32 v[24:25], v[16:17]
	v_cmp_neq_f64_e64 s1, 0, v[16:17]
	s_delay_alu instid0(VALU_DEP_3) | instskip(NEXT) | instid1(VALU_DEP_1)
	v_fmaak_f64 v[14:15], v[2:3], v[12:13], 0x3c545cb72134d0ef
	v_add_f64_e32 v[14:15], 0xbcb184eb721ebbb4, v[14:15]
	s_delay_alu instid0(VALU_DEP_4) | instskip(SKIP_1) | instid1(VALU_DEP_2)
	v_cmp_gt_f64_e32 vcc_lo, s[8:9], v[24:25]
	s_mov_b64 s[8:9], 0x3fc3ab76bf559e2b
	v_fma_f64 v[12:13], v[2:3], v[14:15], -v[12:13]
	v_cndmask_b32_e64 v7, 0, 1, vcc_lo
	s_delay_alu instid0(VALU_DEP_1) | instskip(SKIP_1) | instid1(VALU_DEP_4)
	v_ldexp_f64 v[24:25], v[24:25], v7
	v_frexp_exp_i32_f64_e32 v7, v[16:17]
	v_add_f64_e32 v[12:13], 0x3cdee6d893f65eba, v[12:13]
	s_delay_alu instid0(VALU_DEP_3) | instskip(SKIP_1) | instid1(VALU_DEP_4)
	v_add_f64_e32 v[26:27], 1.0, v[24:25]
	v_add_f64_e32 v[32:33], -1.0, v[24:25]
	v_subrev_co_ci_u32_e64 v7, null, 0, v7, vcc_lo
	v_cmp_neq_f64_e32 vcc_lo, 0x7ff00000, v[16:17]
	v_fma_f64 v[14:15], v[2:3], v[12:13], -v[14:15]
	v_rcp_f64_e32 v[28:29], v[26:27]
	v_add_f64_e32 v[34:35], -1.0, v[26:27]
	s_delay_alu instid0(VALU_DEP_2) | instskip(NEXT) | instid1(VALU_DEP_2)
	v_add_f64_e32 v[14:15], 0xbd0a5022c297fbeb, v[14:15]
	v_add_f64_e64 v[24:25], v[24:25], -v[34:35]
	s_delay_alu instid0(TRANS32_DEP_1) | instskip(NEXT) | instid1(VALU_DEP_3)
	v_fma_f64 v[30:31], -v[26:27], v[28:29], 1.0
	v_fma_f64 v[12:13], v[2:3], v[14:15], -v[12:13]
	s_delay_alu instid0(VALU_DEP_2) | instskip(NEXT) | instid1(VALU_DEP_2)
	v_fmac_f64_e32 v[28:29], v[30:31], v[28:29]
	v_add_f64_e32 v[12:13], 0x3d359b464b262627, v[12:13]
	s_delay_alu instid0(VALU_DEP_2) | instskip(NEXT) | instid1(VALU_DEP_2)
	v_fma_f64 v[30:31], -v[26:27], v[28:29], 1.0
	v_fma_f64 v[14:15], v[2:3], v[12:13], -v[14:15]
	s_delay_alu instid0(VALU_DEP_2) | instskip(NEXT) | instid1(VALU_DEP_2)
	v_fmac_f64_e32 v[28:29], v[30:31], v[28:29]
	v_add_f64_e32 v[14:15], 0xbd61164c62ee1af0, v[14:15]
	s_delay_alu instid0(VALU_DEP_2) | instskip(NEXT) | instid1(VALU_DEP_2)
	v_mul_f64_e32 v[30:31], v[32:33], v[28:29]
	v_fma_f64 v[12:13], v[2:3], v[14:15], -v[12:13]
	s_delay_alu instid0(VALU_DEP_2) | instskip(NEXT) | instid1(VALU_DEP_2)
	v_mul_f64_e32 v[36:37], v[26:27], v[30:31]
	v_add_f64_e32 v[12:13], 0x3d89fe2fe19bd324, v[12:13]
	s_delay_alu instid0(VALU_DEP_2) | instskip(NEXT) | instid1(VALU_DEP_2)
	v_fma_f64 v[26:27], v[30:31], v[26:27], -v[36:37]
	v_fma_f64 v[14:15], v[2:3], v[12:13], -v[14:15]
	s_delay_alu instid0(VALU_DEP_2) | instskip(NEXT) | instid1(VALU_DEP_2)
	v_fmac_f64_e32 v[26:27], v[30:31], v[24:25]
	v_add_f64_e32 v[14:15], 0xbdb2fc957a946abc, v[14:15]
	s_delay_alu instid0(VALU_DEP_2) | instskip(NEXT) | instid1(VALU_DEP_2)
	v_add_f64_e32 v[24:25], v[36:37], v[26:27]
	v_fma_f64 v[12:13], v[2:3], v[14:15], -v[12:13]
	s_delay_alu instid0(VALU_DEP_2) | instskip(NEXT) | instid1(VALU_DEP_2)
	v_add_f64_e64 v[34:35], v[32:33], -v[24:25]
	v_add_f64_e32 v[12:13], 0x3dda98becc743c10, v[12:13]
	v_add_f64_e64 v[36:37], v[24:25], -v[36:37]
	s_delay_alu instid0(VALU_DEP_3) | instskip(NEXT) | instid1(VALU_DEP_3)
	v_add_f64_e64 v[32:33], v[32:33], -v[34:35]
	v_fma_f64 v[14:15], v[2:3], v[12:13], -v[14:15]
	s_delay_alu instid0(VALU_DEP_3) | instskip(SKIP_1) | instid1(VALU_DEP_4)
	v_add_f64_e64 v[26:27], v[36:37], -v[26:27]
	v_cvt_f64_i32_e32 v[36:37], v7
	v_add_f64_e64 v[24:25], v[32:33], -v[24:25]
	s_delay_alu instid0(VALU_DEP_4) | instskip(NEXT) | instid1(VALU_DEP_3)
	v_add_f64_e32 v[14:15], 0xbe01d4fe13ae9556, v[14:15]
	v_mul_f64_e32 v[38:39], 0x3fe62e42fefa39ef, v[36:37]
	s_delay_alu instid0(VALU_DEP_3) | instskip(NEXT) | instid1(VALU_DEP_3)
	v_add_f64_e32 v[24:25], v[26:27], v[24:25]
	v_fma_f64 v[12:13], v[2:3], v[14:15], -v[12:13]
	s_delay_alu instid0(VALU_DEP_2) | instskip(NEXT) | instid1(VALU_DEP_2)
	v_add_f64_e32 v[24:25], v[34:35], v[24:25]
	v_add_f64_e32 v[12:13], 0x3e26d903a454cb34, v[12:13]
	s_delay_alu instid0(VALU_DEP_2) | instskip(NEXT) | instid1(VALU_DEP_2)
	v_mul_f64_e32 v[24:25], v[28:29], v[24:25]
	v_fma_f64 v[14:15], v[2:3], v[12:13], -v[14:15]
	s_delay_alu instid0(VALU_DEP_2) | instskip(NEXT) | instid1(VALU_DEP_2)
	v_add_f64_e32 v[26:27], v[30:31], v[24:25]
	v_add_f64_e32 v[14:15], 0xbe4beaf68c0b30ab, v[14:15]
	s_delay_alu instid0(VALU_DEP_2) | instskip(NEXT) | instid1(VALU_DEP_2)
	v_mul_f64_e32 v[28:29], v[26:27], v[26:27]
	v_fma_f64 v[12:13], v[2:3], v[14:15], -v[12:13]
	s_delay_alu instid0(VALU_DEP_2) | instskip(NEXT) | instid1(VALU_DEP_2)
	v_fmaak_f64 v[32:33], s[8:9], v[28:29], 0x3fc385386b47b09a
	v_add_f64_e32 v[12:13], 0x3e703b769d4d6435, v[12:13]
	v_mul_f64_e32 v[34:35], v[26:27], v[28:29]
	s_mov_b64 s[8:9], 0x3ca3cee1e6a7fd77
	s_delay_alu instid0(VALU_DEP_3) | instskip(NEXT) | instid1(VALU_DEP_1)
	v_fmaak_f64 v[32:33], v[28:29], v[32:33], 0x3fc7474dd7f4df2e
	v_fmaak_f64 v[32:33], v[28:29], v[32:33], 0x3fcc71c016291751
	s_delay_alu instid0(VALU_DEP_1) | instskip(NEXT) | instid1(VALU_DEP_1)
	v_fmaak_f64 v[32:33], v[28:29], v[32:33], 0x3fd249249b27acf1
	v_fmaak_f64 v[32:33], v[28:29], v[32:33], 0x3fd99999998ef7b6
	v_fma_f64 v[14:15], v[2:3], v[12:13], -v[14:15]
	s_delay_alu instid0(VALU_DEP_2) | instskip(SKIP_2) | instid1(VALU_DEP_3)
	v_fmaak_f64 v[28:29], v[28:29], v[32:33], 0x3fe5555555555780
	v_ldexp_f64 v[32:33], v[26:27], 1
	v_add_f64_e64 v[26:27], v[26:27], -v[30:31]
	v_mul_f64_e32 v[28:29], v[34:35], v[28:29]
	v_fma_f64 v[34:35], v[20:21], v[20:21], -2.0
	v_add_f64_e32 v[14:15], 0xbe91ec638f227f8d, v[14:15]
	s_delay_alu instid0(VALU_DEP_4) | instskip(NEXT) | instid1(VALU_DEP_4)
	v_add_f64_e64 v[24:25], v[24:25], -v[26:27]
	v_add_f64_e32 v[30:31], v[32:33], v[28:29]
	s_delay_alu instid0(VALU_DEP_3) | instskip(NEXT) | instid1(VALU_DEP_3)
	v_fma_f64 v[12:13], v[2:3], v[14:15], -v[12:13]
	v_ldexp_f64 v[24:25], v[24:25], 1
	s_delay_alu instid0(VALU_DEP_3) | instskip(SKIP_2) | instid1(VALU_DEP_1)
	v_add_f64_e64 v[26:27], v[30:31], -v[32:33]
	v_fmaak_f64 v[32:33], s[8:9], v[34:35], 0x3d27fb0ac384c2aa
	s_mov_b64 s[8:9], 0x3fe62e42fefa39ef
	v_fmaak_f64 v[48:49], v[34:35], v[32:33], 0xbca3cee1e6a7fd77
	v_add_f64_e32 v[12:13], 0x3eb2bf24978cf4ac, v[12:13]
	s_delay_alu instid0(VALU_DEP_4) | instskip(NEXT) | instid1(VALU_DEP_3)
	v_add_f64_e64 v[26:27], v[28:29], -v[26:27]
	v_add_f64_e32 v[28:29], 0x3da6c25c47512144, v[48:49]
	v_fma_f64 v[48:49], v[36:37], s[8:9], -v[38:39]
	s_mov_b64 s[8:9], 0x3e5ade156a5dcb37
	s_delay_alu instid0(VALU_DEP_4) | instskip(NEXT) | instid1(VALU_DEP_4)
	v_fma_f64 v[14:15], v[2:3], v[12:13], -v[14:15]
	v_add_f64_e32 v[24:25], v[24:25], v[26:27]
	s_delay_alu instid0(VALU_DEP_4) | instskip(NEXT) | instid1(VALU_DEP_4)
	v_fma_f64 v[26:27], v[34:35], v[28:29], -v[32:33]
	v_fmamk_f64 v[32:33], v[36:37], 0x3c7abc9e3b39803f, v[48:49]
	s_delay_alu instid0(VALU_DEP_1) | instskip(SKIP_3) | instid1(VALU_DEP_4)
	v_add_f64_e32 v[48:49], v[38:39], v[32:33]
	v_add_f64_e32 v[14:15], 0xbed2866fcba56427, v[14:15]
	;; [unrolled: 1-line block ×4, first 2 shown]
	v_add_f64_e64 v[38:39], v[48:49], -v[38:39]
	s_delay_alu instid0(VALU_DEP_4) | instskip(NEXT) | instid1(VALU_DEP_4)
	v_fma_f64 v[12:13], v[2:3], v[14:15], -v[12:13]
	v_add_f64_e32 v[50:51], v[48:49], v[36:37]
	s_delay_alu instid0(VALU_DEP_4) | instskip(SKIP_1) | instid1(VALU_DEP_4)
	v_fma_f64 v[28:29], v[34:35], v[26:27], -v[28:29]
	v_add_f64_e64 v[30:31], v[36:37], -v[30:31]
	v_add_f64_e32 v[12:13], 0x3ef13f58be9a2859, v[12:13]
	s_delay_alu instid0(VALU_DEP_4) | instskip(NEXT) | instid1(VALU_DEP_4)
	v_add_f64_e64 v[52:53], v[50:51], -v[48:49]
	v_add_f64_e32 v[28:29], 0x3e9102bce7f95efc, v[28:29]
	s_delay_alu instid0(VALU_DEP_4)
	v_add_f64_e64 v[24:25], v[24:25], -v[30:31]
	v_add_f64_e64 v[30:31], v[32:33], -v[38:39]
	v_mul_f64_e32 v[38:39], 0x3ff71547652b82fe, v[20:21]
	v_fma_f64 v[14:15], v[2:3], v[12:13], -v[14:15]
	v_add_f64_e64 v[54:55], v[50:51], -v[52:53]
	v_fma_f64 v[26:27], v[34:35], v[28:29], -v[26:27]
	v_add_f64_e64 v[36:37], v[36:37], -v[52:53]
	s_delay_alu instid0(VALU_DEP_4) | instskip(NEXT) | instid1(VALU_DEP_4)
	v_add_f64_e32 v[14:15], 0xbf0e2b2659c41d5a, v[14:15]
	v_add_f64_e64 v[32:33], v[48:49], -v[54:55]
	s_delay_alu instid0(VALU_DEP_4) | instskip(SKIP_1) | instid1(VALU_DEP_4)
	v_add_f64_e32 v[26:27], 0x3ef7f900fe8cfca0, v[26:27]
	v_add_f64_e32 v[48:49], v[30:31], v[24:25]
	v_fma_f64 v[12:13], v[2:3], v[14:15], -v[12:13]
	s_delay_alu instid0(VALU_DEP_4) | instskip(NEXT) | instid1(VALU_DEP_4)
	v_add_f64_e32 v[32:33], v[36:37], v[32:33]
	v_fma_f64 v[28:29], v[34:35], v[26:27], -v[28:29]
	v_rndne_f64_e32 v[36:37], v[38:39]
	v_add_f64_e64 v[38:39], v[48:49], -v[30:31]
	v_add_f64_e32 v[12:13], 0x3f28b51b74107cab, v[12:13]
	v_add_f64_e32 v[32:33], v[48:49], v[32:33]
	;; [unrolled: 1-line block ×3, first 2 shown]
	v_fmamk_f64 v[20:21], v[36:37], 0xbfe62e42fefa39ef, v[20:21]
	v_add_f64_e64 v[48:49], v[48:49], -v[38:39]
	v_add_f64_e64 v[24:25], v[24:25], -v[38:39]
	v_cvt_i32_f64_e32 v7, v[36:37]
	s_delay_alu instid0(VALU_DEP_4) | instskip(NEXT) | instid1(VALU_DEP_1)
	v_fmamk_f64 v[20:21], v[36:37], 0xbc7abc9e3b39803f, v[20:21]
	v_fmaak_f64 v[54:55], s[8:9], v[20:21], 0x3e928af3fca7ab0c
	s_delay_alu instid0(VALU_DEP_1) | instskip(SKIP_1) | instid1(VALU_DEP_2)
	v_fmaak_f64 v[54:55], v[20:21], v[54:55], 0x3ec71dee623fde64
	v_fma_f64 v[14:15], v[2:3], v[12:13], -v[14:15]
	v_fmaak_f64 v[54:55], v[20:21], v[54:55], 0x3efa01997c89e6b0
	v_add_f64_e32 v[52:53], v[50:51], v[32:33]
	v_fma_f64 v[26:27], v[34:35], v[28:29], -v[26:27]
	v_add_f64_e64 v[30:31], v[30:31], -v[48:49]
	s_delay_alu instid0(VALU_DEP_4) | instskip(NEXT) | instid1(VALU_DEP_1)
	v_fmaak_f64 v[54:55], v[20:21], v[54:55], 0x3f2a01a014761f6e
	v_fmaak_f64 v[48:49], v[20:21], v[54:55], 0x3f56c16c1852b7b0
	v_add_f64_e32 v[14:15], 0xbf42e2fd1f15eb52, v[14:15]
	v_add_f64_e64 v[38:39], v[52:53], -v[50:51]
	v_add_f64_e32 v[26:27], 0x3fa26bf6554a9085, v[26:27]
	v_add_f64_e32 v[24:25], v[24:25], v[30:31]
	s_delay_alu instid0(VALU_DEP_4) | instskip(NEXT) | instid1(VALU_DEP_4)
	v_fma_f64 v[12:13], v[2:3], v[14:15], -v[12:13]
	v_add_f64_e64 v[30:31], v[32:33], -v[38:39]
	s_delay_alu instid0(VALU_DEP_4) | instskip(NEXT) | instid1(VALU_DEP_3)
	v_fma_f64 v[28:29], v[34:35], v[26:27], -v[28:29]
	v_add_f64_e32 v[12:13], 0x3f5adc758a12100e, v[12:13]
	s_delay_alu instid0(VALU_DEP_3) | instskip(NEXT) | instid1(VALU_DEP_3)
	v_add_f64_e32 v[24:25], v[24:25], v[30:31]
	v_add_f64_e32 v[28:29], 0x3fd608d881213db9, v[28:29]
	s_delay_alu instid0(VALU_DEP_3) | instskip(NEXT) | instid1(VALU_DEP_1)
	v_fma_f64 v[14:15], v[2:3], v[12:13], -v[14:15]
	v_add_f64_e32 v[14:15], 0xbf71b65e201aa849, v[14:15]
	s_delay_alu instid0(VALU_DEP_1) | instskip(NEXT) | instid1(VALU_DEP_1)
	v_fma_f64 v[12:13], v[2:3], v[14:15], -v[12:13]
	v_add_f64_e32 v[12:13], 0x3f859961f3dde3dd, v[12:13]
	s_delay_alu instid0(VALU_DEP_1) | instskip(NEXT) | instid1(VALU_DEP_1)
	v_fma_f64 v[14:15], v[2:3], v[12:13], -v[14:15]
	v_add_f64_e32 v[14:15], 0xbf984e9ef121b6f0, v[14:15]
	s_delay_alu instid0(VALU_DEP_1) | instskip(NEXT) | instid1(VALU_DEP_1)
	v_fma_f64 v[12:13], v[2:3], v[14:15], -v[12:13]
	v_add_f64_e32 v[12:13], 0x3fa93e8acea8a32d, v[12:13]
	s_delay_alu instid0(VALU_DEP_1) | instskip(NEXT) | instid1(VALU_DEP_1)
	v_fma_f64 v[14:15], v[2:3], v[12:13], -v[14:15]
	v_add_f64_e32 v[14:15], 0xbfb84b70342d06ea, v[14:15]
	s_delay_alu instid0(VALU_DEP_1) | instskip(NEXT) | instid1(VALU_DEP_1)
	v_fma_f64 v[12:13], v[2:3], v[14:15], -v[12:13]
	v_add_f64_e32 v[12:13], 0x3fc5f7ac77ac88c0, v[12:13]
	s_delay_alu instid0(VALU_DEP_1) | instskip(NEXT) | instid1(VALU_DEP_1)
	v_fma_f64 v[14:15], v[2:3], v[12:13], -v[14:15]
	v_add_f64_e32 v[14:15], 0xbfd37febc057cd8d, v[14:15]
	s_delay_alu instid0(VALU_DEP_1) | instskip(SKIP_1) | instid1(VALU_DEP_1)
	v_fma_f64 v[2:3], v[2:3], v[14:15], -v[12:13]
	v_fmaak_f64 v[14:15], v[20:21], v[48:49], 0x3f81111111122322
	v_fmaak_f64 v[14:15], v[20:21], v[14:15], 0x3fa55555555502a1
	s_delay_alu instid0(VALU_DEP_1) | instskip(NEXT) | instid1(VALU_DEP_1)
	v_fmaak_f64 v[14:15], v[20:21], v[14:15], 0x3fc5555555555511
	v_fmaak_f64 v[14:15], v[20:21], v[14:15], 0x3fe000000000000b
	s_delay_alu instid0(VALU_DEP_1) | instskip(SKIP_1) | instid1(VALU_DEP_2)
	v_fma_f64 v[14:15], v[20:21], v[14:15], 1.0
	v_add_f64_e32 v[2:3], 0x3fe5a84e9035a22a, v[2:3]
	v_fma_f64 v[14:15], v[20:21], v[14:15], 1.0
	v_fma_f64 v[20:21], v[34:35], v[28:29], -v[26:27]
	s_delay_alu instid0(VALU_DEP_3) | instskip(SKIP_1) | instid1(VALU_DEP_4)
	v_add_f64_e64 v[2:3], v[2:3], -v[12:13]
	v_add_f64_e32 v[12:13], v[52:53], v[24:25]
	v_ldexp_f64 v[14:15], v[14:15], v7
	s_delay_alu instid0(VALU_DEP_4) | instskip(NEXT) | instid1(VALU_DEP_4)
	v_add_f64_e32 v[16:17], 0xbfe12166e9d2f61f, v[20:21]
                                        ; implicit-def: $vgpr20_vgpr21
	v_mul_f64_e32 v[2:3], 0.5, v[2:3]
	s_delay_alu instid0(VALU_DEP_4) | instskip(SKIP_2) | instid1(VALU_DEP_2)
	v_cndmask_b32_e32 v7, 0x7ff00000, v13, vcc_lo
	s_and_b32 vcc_lo, s1, vcc_lo
	v_cndmask_b32_e32 v12, 0, v12, vcc_lo
	v_cndmask_b32_e64 v13, 0xfff00000, v7, s1
	v_add_f64_e64 v[16:17], v[16:17], -v[26:27]
	v_mul_f64_e32 v[2:3], v[14:15], v[2:3]
	s_delay_alu instid0(VALU_DEP_1) | instskip(NEXT) | instid1(VALU_DEP_1)
	v_mul_f64_e32 v[2:3], v[12:13], v[2:3]
	v_fma_f64 v[2:3], v[16:17], 0.5, -v[2:3]
	s_delay_alu instid0(VALU_DEP_1)
	v_mul_f64_e32 v[2:3], v[14:15], v[2:3]
.LBB0_13:
	s_and_not1_saveexec_b32 s1, s6
	s_cbranch_execz .LBB0_15
; %bb.14:
	v_div_scale_f64 v[2:3], null, v[20:21], v[20:21], 0x40200000
	v_div_scale_f64 v[16:17], vcc_lo, 0x40200000, v[20:21], 0x40200000
	s_mov_b64 s[6:7], 0x3c5871a5cf8c9ee1
	v_rcp_f64_e32 v[12:13], v[2:3]
	v_nop
	s_delay_alu instid0(TRANS32_DEP_1) | instskip(NEXT) | instid1(VALU_DEP_1)
	v_fma_f64 v[14:15], -v[2:3], v[12:13], 1.0
	v_fmac_f64_e32 v[12:13], v[12:13], v[14:15]
	s_delay_alu instid0(VALU_DEP_1) | instskip(NEXT) | instid1(VALU_DEP_1)
	v_fma_f64 v[14:15], -v[2:3], v[12:13], 1.0
	v_fmac_f64_e32 v[12:13], v[12:13], v[14:15]
	s_delay_alu instid0(VALU_DEP_1) | instskip(NEXT) | instid1(VALU_DEP_1)
	v_mul_f64_e32 v[14:15], v[16:17], v[12:13]
	v_fma_f64 v[2:3], -v[2:3], v[14:15], v[16:17]
	s_delay_alu instid0(VALU_DEP_1) | instskip(SKIP_1) | instid1(VALU_DEP_2)
	v_div_fmas_f64 v[2:3], v[2:3], v[12:13], v[14:15]
	v_cmp_gt_f64_e32 vcc_lo, 0x10000000, v[20:21]
	v_div_fixup_f64 v[2:3], v[2:3], v[20:21], 0x40200000
	v_cndmask_b32_e64 v7, 0, 0x100, vcc_lo
	s_delay_alu instid0(VALU_DEP_1) | instskip(SKIP_1) | instid1(VALU_DEP_2)
	v_ldexp_f64 v[16:17], v[20:21], v7
	v_cndmask_b32_e64 v7, 0, 0xffffff80, vcc_lo
	v_cmp_class_f64_e64 vcc_lo, v[16:17], 0x260
	v_add_f64_e32 v[2:3], -2.0, v[2:3]
	v_rsq_f64_e32 v[20:21], v[16:17]
	s_delay_alu instid0(VALU_DEP_1) | instskip(NEXT) | instid1(TRANS32_DEP_1)
	v_fmaak_f64 v[12:13], s[6:7], v[2:3], 0xbc72fecc93812603
	v_mul_f64_e32 v[24:25], v[16:17], v[20:21]
	s_delay_alu instid0(VALU_DEP_2) | instskip(SKIP_1) | instid1(VALU_DEP_2)
	v_fmaak_f64 v[14:15], v[2:3], v[12:13], 0xbc5871a5cf8c9ee1
	v_mul_f64_e32 v[20:21], 0.5, v[20:21]
	v_add_f64_e32 v[14:15], 0x3c8e092e41a8cdf4, v[14:15]
	s_delay_alu instid0(VALU_DEP_2) | instskip(NEXT) | instid1(VALU_DEP_2)
	v_fma_f64 v[26:27], -v[20:21], v[24:25], 0.5
	v_fma_f64 v[12:13], v[2:3], v[14:15], -v[12:13]
	s_delay_alu instid0(VALU_DEP_2) | instskip(SKIP_1) | instid1(VALU_DEP_3)
	v_fmac_f64_e32 v[24:25], v[24:25], v[26:27]
	v_fmac_f64_e32 v[20:21], v[20:21], v[26:27]
	v_add_f64_e32 v[12:13], 0xbca82f9474d77641, v[12:13]
	s_delay_alu instid0(VALU_DEP_3) | instskip(NEXT) | instid1(VALU_DEP_2)
	v_fma_f64 v[26:27], -v[24:25], v[24:25], v[16:17]
	v_fma_f64 v[14:15], v[2:3], v[12:13], -v[14:15]
	s_delay_alu instid0(VALU_DEP_2) | instskip(NEXT) | instid1(VALU_DEP_2)
	v_fmac_f64_e32 v[24:25], v[26:27], v[20:21]
	v_add_f64_e32 v[14:15], 0x3cc3dbf96b94785b, v[14:15]
	s_delay_alu instid0(VALU_DEP_1) | instskip(NEXT) | instid1(VALU_DEP_1)
	v_fma_f64 v[12:13], v[2:3], v[14:15], -v[12:13]
	v_add_f64_e32 v[12:13], 0xbce0a690ecfadd36, v[12:13]
	s_delay_alu instid0(VALU_DEP_1) | instskip(NEXT) | instid1(VALU_DEP_1)
	v_fma_f64 v[14:15], v[2:3], v[12:13], -v[14:15]
	;; [unrolled: 3-line block ×19, first 2 shown]
	v_add_f64_e32 v[12:13], 0xbfa019f72d4ff71e, v[12:13]
	s_delay_alu instid0(VALU_DEP_1) | instskip(SKIP_1) | instid1(VALU_DEP_2)
	v_fma_f64 v[2:3], v[2:3], v[12:13], -v[14:15]
	v_fma_f64 v[12:13], -v[24:25], v[24:25], v[16:17]
	v_add_f64_e32 v[2:3], 0x400385bd9f4e6907, v[2:3]
	s_delay_alu instid0(VALU_DEP_2) | instskip(NEXT) | instid1(VALU_DEP_2)
	v_fmac_f64_e32 v[24:25], v[12:13], v[20:21]
	v_add_f64_e64 v[2:3], v[2:3], -v[14:15]
	s_delay_alu instid0(VALU_DEP_2) | instskip(NEXT) | instid1(VALU_DEP_1)
	v_ldexp_f64 v[12:13], v[24:25], v7
	v_dual_mul_f64 v[2:3], 0.5, v[2:3] :: v_dual_cndmask_b32 v13, v13, v17, vcc_lo
	s_delay_alu instid0(VALU_DEP_2) | instskip(NEXT) | instid1(VALU_DEP_1)
	v_cndmask_b32_e32 v12, v12, v16, vcc_lo
	v_div_scale_f64 v[14:15], null, v[12:13], v[12:13], v[2:3]
	s_delay_alu instid0(VALU_DEP_1) | instskip(SKIP_1) | instid1(TRANS32_DEP_1)
	v_rcp_f64_e32 v[16:17], v[14:15]
	v_nop
	v_fma_f64 v[20:21], -v[14:15], v[16:17], 1.0
	s_delay_alu instid0(VALU_DEP_1) | instskip(NEXT) | instid1(VALU_DEP_1)
	v_fmac_f64_e32 v[16:17], v[16:17], v[20:21]
	v_fma_f64 v[20:21], -v[14:15], v[16:17], 1.0
	s_delay_alu instid0(VALU_DEP_1) | instskip(SKIP_1) | instid1(VALU_DEP_1)
	v_fmac_f64_e32 v[16:17], v[16:17], v[20:21]
	v_div_scale_f64 v[20:21], vcc_lo, v[2:3], v[12:13], v[2:3]
	v_mul_f64_e32 v[24:25], v[20:21], v[16:17]
	s_delay_alu instid0(VALU_DEP_1) | instskip(NEXT) | instid1(VALU_DEP_1)
	v_fma_f64 v[14:15], -v[14:15], v[24:25], v[20:21]
	v_div_fmas_f64 v[14:15], v[14:15], v[16:17], v[24:25]
	s_delay_alu instid0(VALU_DEP_1)
	v_div_fixup_f64 v[2:3], v[14:15], v[12:13], v[2:3]
.LBB0_15:
	s_or_b32 exec_lo, exec_lo, s1
.LBB0_16:
	s_delay_alu instid0(SALU_CYCLE_1)
	s_or_b32 exec_lo, exec_lo, s5
.LBB0_17:
	s_delay_alu instid0(SALU_CYCLE_1) | instskip(SKIP_1) | instid1(VALU_DEP_1)
	s_or_b32 exec_lo, exec_lo, s4
	v_mov_b32_e32 v16, 0
	v_dual_mov_b32 v17, v16 :: v_dual_mov_b32 v14, v16
	v_dual_mov_b32 v15, v16 :: v_dual_mov_b32 v12, v16
	v_mov_b32_e32 v13, v16
.LBB0_18:
	s_or_b32 exec_lo, exec_lo, s3
	s_delay_alu instid0(SALU_CYCLE_1)
	s_mov_b32 s3, exec_lo
	v_cmpx_lt_i32_e64 v22, v4
	s_cbranch_execz .LBB0_28
; %bb.19:
	v_mov_b64_e32 v[16:17], 0x7ff0000000000000
	s_mov_b32 s4, exec_lo
	s_wait_loadcnt_dscnt 0x0
	v_cmpx_neq_f64_e32 0, v[18:19]
	s_cbranch_execz .LBB0_27
; %bb.20:
	v_mov_b64_e32 v[16:17], 0x7ff8000000000000
	s_mov_b32 s5, exec_lo
	v_cmpx_ngt_f64_e32 0, v[18:19]
	s_cbranch_execz .LBB0_26
; %bb.21:
	s_mov_b32 s1, exec_lo
	v_cmpx_ge_f64_e32 2.0, v[18:19]
	s_xor_b32 s6, exec_lo, s1
                                        ; implicit-def: $vgpr16_vgpr17
	s_cbranch_execz .LBB0_23
; %bb.22:
	v_fma_f64 v[16:17], v[18:19], 0.5, -2.0
	s_mov_b64 s[8:9], 0xbc545cb72134d0ef
	v_mul_f64_e32 v[26:27], 0.5, v[18:19]
	s_delay_alu instid0(VALU_DEP_2) | instskip(SKIP_1) | instid1(VALU_DEP_2)
	v_fmaak_f64 v[20:21], s[8:9], v[16:17], 0x3c833362977da589
	s_mov_b64 s[8:9], 0x3fe5555555555555
	v_frexp_mant_f64_e32 v[28:29], v[26:27]
	v_cmp_neq_f64_e64 s1, 0, v[26:27]
	s_delay_alu instid0(VALU_DEP_3) | instskip(NEXT) | instid1(VALU_DEP_1)
	v_fmaak_f64 v[24:25], v[16:17], v[20:21], 0x3c545cb72134d0ef
	v_add_f64_e32 v[24:25], 0xbcb184eb721ebbb4, v[24:25]
	s_delay_alu instid0(VALU_DEP_4) | instskip(SKIP_1) | instid1(VALU_DEP_2)
	v_cmp_gt_f64_e32 vcc_lo, s[8:9], v[28:29]
	s_mov_b64 s[8:9], 0x3fc3ab76bf559e2b
	v_fma_f64 v[20:21], v[16:17], v[24:25], -v[20:21]
	v_cndmask_b32_e64 v7, 0, 1, vcc_lo
	s_delay_alu instid0(VALU_DEP_1) | instskip(SKIP_1) | instid1(VALU_DEP_4)
	v_ldexp_f64 v[28:29], v[28:29], v7
	v_frexp_exp_i32_f64_e32 v7, v[26:27]
	v_add_f64_e32 v[20:21], 0x3cdee6d893f65eba, v[20:21]
	s_delay_alu instid0(VALU_DEP_3) | instskip(SKIP_1) | instid1(VALU_DEP_4)
	v_add_f64_e32 v[30:31], 1.0, v[28:29]
	v_add_f64_e32 v[36:37], -1.0, v[28:29]
	v_subrev_co_ci_u32_e64 v7, null, 0, v7, vcc_lo
	v_cmp_neq_f64_e32 vcc_lo, 0x7ff00000, v[26:27]
	v_fma_f64 v[24:25], v[16:17], v[20:21], -v[24:25]
	v_rcp_f64_e32 v[32:33], v[30:31]
	v_add_f64_e32 v[38:39], -1.0, v[30:31]
	s_delay_alu instid0(VALU_DEP_2) | instskip(NEXT) | instid1(VALU_DEP_2)
	v_add_f64_e32 v[24:25], 0xbd0a5022c297fbeb, v[24:25]
	v_add_f64_e64 v[28:29], v[28:29], -v[38:39]
	s_delay_alu instid0(TRANS32_DEP_1) | instskip(NEXT) | instid1(VALU_DEP_3)
	v_fma_f64 v[34:35], -v[30:31], v[32:33], 1.0
	v_fma_f64 v[20:21], v[16:17], v[24:25], -v[20:21]
	s_delay_alu instid0(VALU_DEP_2) | instskip(NEXT) | instid1(VALU_DEP_2)
	v_fmac_f64_e32 v[32:33], v[34:35], v[32:33]
	v_add_f64_e32 v[20:21], 0x3d359b464b262627, v[20:21]
	s_delay_alu instid0(VALU_DEP_2) | instskip(NEXT) | instid1(VALU_DEP_2)
	v_fma_f64 v[34:35], -v[30:31], v[32:33], 1.0
	v_fma_f64 v[24:25], v[16:17], v[20:21], -v[24:25]
	s_delay_alu instid0(VALU_DEP_2) | instskip(NEXT) | instid1(VALU_DEP_2)
	v_fmac_f64_e32 v[32:33], v[34:35], v[32:33]
	v_add_f64_e32 v[24:25], 0xbd61164c62ee1af0, v[24:25]
	s_delay_alu instid0(VALU_DEP_2) | instskip(NEXT) | instid1(VALU_DEP_2)
	v_mul_f64_e32 v[34:35], v[36:37], v[32:33]
	v_fma_f64 v[20:21], v[16:17], v[24:25], -v[20:21]
	s_delay_alu instid0(VALU_DEP_2) | instskip(NEXT) | instid1(VALU_DEP_2)
	v_mul_f64_e32 v[48:49], v[30:31], v[34:35]
	v_add_f64_e32 v[20:21], 0x3d89fe2fe19bd324, v[20:21]
	s_delay_alu instid0(VALU_DEP_2) | instskip(NEXT) | instid1(VALU_DEP_2)
	v_fma_f64 v[30:31], v[34:35], v[30:31], -v[48:49]
	v_fma_f64 v[24:25], v[16:17], v[20:21], -v[24:25]
	s_delay_alu instid0(VALU_DEP_2) | instskip(NEXT) | instid1(VALU_DEP_2)
	v_fmac_f64_e32 v[30:31], v[34:35], v[28:29]
	v_add_f64_e32 v[24:25], 0xbdb2fc957a946abc, v[24:25]
	s_delay_alu instid0(VALU_DEP_2) | instskip(NEXT) | instid1(VALU_DEP_2)
	v_add_f64_e32 v[28:29], v[48:49], v[30:31]
	v_fma_f64 v[20:21], v[16:17], v[24:25], -v[20:21]
	s_delay_alu instid0(VALU_DEP_2) | instskip(NEXT) | instid1(VALU_DEP_2)
	v_add_f64_e64 v[38:39], v[36:37], -v[28:29]
	v_add_f64_e32 v[20:21], 0x3dda98becc743c10, v[20:21]
	v_add_f64_e64 v[48:49], v[28:29], -v[48:49]
	s_delay_alu instid0(VALU_DEP_3) | instskip(NEXT) | instid1(VALU_DEP_3)
	v_add_f64_e64 v[36:37], v[36:37], -v[38:39]
	v_fma_f64 v[24:25], v[16:17], v[20:21], -v[24:25]
	s_delay_alu instid0(VALU_DEP_3) | instskip(SKIP_1) | instid1(VALU_DEP_4)
	v_add_f64_e64 v[30:31], v[48:49], -v[30:31]
	v_cvt_f64_i32_e32 v[48:49], v7
	v_add_f64_e64 v[28:29], v[36:37], -v[28:29]
	s_delay_alu instid0(VALU_DEP_4) | instskip(NEXT) | instid1(VALU_DEP_3)
	v_add_f64_e32 v[24:25], 0xbe01d4fe13ae9556, v[24:25]
	v_mul_f64_e32 v[50:51], 0x3fe62e42fefa39ef, v[48:49]
	s_delay_alu instid0(VALU_DEP_3) | instskip(NEXT) | instid1(VALU_DEP_3)
	v_add_f64_e32 v[28:29], v[30:31], v[28:29]
	v_fma_f64 v[20:21], v[16:17], v[24:25], -v[20:21]
	s_delay_alu instid0(VALU_DEP_2) | instskip(NEXT) | instid1(VALU_DEP_2)
	v_add_f64_e32 v[28:29], v[38:39], v[28:29]
	v_add_f64_e32 v[20:21], 0x3e26d903a454cb34, v[20:21]
	s_delay_alu instid0(VALU_DEP_2) | instskip(NEXT) | instid1(VALU_DEP_2)
	v_mul_f64_e32 v[28:29], v[32:33], v[28:29]
	v_fma_f64 v[24:25], v[16:17], v[20:21], -v[24:25]
	s_delay_alu instid0(VALU_DEP_2) | instskip(NEXT) | instid1(VALU_DEP_2)
	v_add_f64_e32 v[30:31], v[34:35], v[28:29]
	v_add_f64_e32 v[24:25], 0xbe4beaf68c0b30ab, v[24:25]
	s_delay_alu instid0(VALU_DEP_2) | instskip(NEXT) | instid1(VALU_DEP_2)
	v_mul_f64_e32 v[32:33], v[30:31], v[30:31]
	v_fma_f64 v[20:21], v[16:17], v[24:25], -v[20:21]
	s_delay_alu instid0(VALU_DEP_2) | instskip(NEXT) | instid1(VALU_DEP_2)
	v_fmaak_f64 v[36:37], s[8:9], v[32:33], 0x3fc385386b47b09a
	v_add_f64_e32 v[20:21], 0x3e703b769d4d6435, v[20:21]
	v_mul_f64_e32 v[38:39], v[30:31], v[32:33]
	s_mov_b64 s[8:9], 0x3ca3cee1e6a7fd77
	s_delay_alu instid0(VALU_DEP_3) | instskip(NEXT) | instid1(VALU_DEP_1)
	v_fmaak_f64 v[36:37], v[32:33], v[36:37], 0x3fc7474dd7f4df2e
	v_fmaak_f64 v[36:37], v[32:33], v[36:37], 0x3fcc71c016291751
	s_delay_alu instid0(VALU_DEP_1) | instskip(NEXT) | instid1(VALU_DEP_1)
	v_fmaak_f64 v[36:37], v[32:33], v[36:37], 0x3fd249249b27acf1
	v_fmaak_f64 v[36:37], v[32:33], v[36:37], 0x3fd99999998ef7b6
	v_fma_f64 v[24:25], v[16:17], v[20:21], -v[24:25]
	s_delay_alu instid0(VALU_DEP_2) | instskip(SKIP_2) | instid1(VALU_DEP_3)
	v_fmaak_f64 v[32:33], v[32:33], v[36:37], 0x3fe5555555555780
	v_ldexp_f64 v[36:37], v[30:31], 1
	v_add_f64_e64 v[30:31], v[30:31], -v[34:35]
	v_mul_f64_e32 v[32:33], v[38:39], v[32:33]
	v_fma_f64 v[38:39], v[18:19], v[18:19], -2.0
	v_add_f64_e32 v[24:25], 0xbe91ec638f227f8d, v[24:25]
	s_delay_alu instid0(VALU_DEP_4) | instskip(NEXT) | instid1(VALU_DEP_4)
	v_add_f64_e64 v[28:29], v[28:29], -v[30:31]
	v_add_f64_e32 v[34:35], v[36:37], v[32:33]
	s_delay_alu instid0(VALU_DEP_3) | instskip(NEXT) | instid1(VALU_DEP_3)
	v_fma_f64 v[20:21], v[16:17], v[24:25], -v[20:21]
	v_ldexp_f64 v[28:29], v[28:29], 1
	s_delay_alu instid0(VALU_DEP_3) | instskip(SKIP_2) | instid1(VALU_DEP_1)
	v_add_f64_e64 v[30:31], v[34:35], -v[36:37]
	v_fmaak_f64 v[36:37], s[8:9], v[38:39], 0x3d27fb0ac384c2aa
	s_mov_b64 s[8:9], 0x3fe62e42fefa39ef
	v_fmaak_f64 v[52:53], v[38:39], v[36:37], 0xbca3cee1e6a7fd77
	v_add_f64_e32 v[20:21], 0x3eb2bf24978cf4ac, v[20:21]
	s_delay_alu instid0(VALU_DEP_4) | instskip(NEXT) | instid1(VALU_DEP_3)
	v_add_f64_e64 v[30:31], v[32:33], -v[30:31]
	v_add_f64_e32 v[32:33], 0x3da6c25c47512144, v[52:53]
	v_fma_f64 v[52:53], v[48:49], s[8:9], -v[50:51]
	s_mov_b64 s[8:9], 0x3e5ade156a5dcb37
	s_delay_alu instid0(VALU_DEP_4) | instskip(NEXT) | instid1(VALU_DEP_4)
	v_fma_f64 v[24:25], v[16:17], v[20:21], -v[24:25]
	v_add_f64_e32 v[28:29], v[28:29], v[30:31]
	s_delay_alu instid0(VALU_DEP_4) | instskip(NEXT) | instid1(VALU_DEP_4)
	v_fma_f64 v[30:31], v[38:39], v[32:33], -v[36:37]
	v_fmamk_f64 v[36:37], v[48:49], 0x3c7abc9e3b39803f, v[52:53]
	s_delay_alu instid0(VALU_DEP_1) | instskip(SKIP_3) | instid1(VALU_DEP_4)
	v_add_f64_e32 v[52:53], v[50:51], v[36:37]
	v_add_f64_e32 v[24:25], 0xbed2866fcba56427, v[24:25]
	;; [unrolled: 1-line block ×4, first 2 shown]
	v_add_f64_e64 v[50:51], v[52:53], -v[50:51]
	s_delay_alu instid0(VALU_DEP_4) | instskip(NEXT) | instid1(VALU_DEP_4)
	v_fma_f64 v[20:21], v[16:17], v[24:25], -v[20:21]
	v_add_f64_e32 v[54:55], v[52:53], v[48:49]
	s_delay_alu instid0(VALU_DEP_4) | instskip(SKIP_1) | instid1(VALU_DEP_4)
	v_fma_f64 v[32:33], v[38:39], v[30:31], -v[32:33]
	v_add_f64_e64 v[34:35], v[48:49], -v[34:35]
	v_add_f64_e32 v[20:21], 0x3ef13f58be9a2859, v[20:21]
	s_delay_alu instid0(VALU_DEP_4) | instskip(NEXT) | instid1(VALU_DEP_4)
	v_add_f64_e64 v[64:65], v[54:55], -v[52:53]
	v_add_f64_e32 v[32:33], 0x3e9102bce7f95efc, v[32:33]
	s_delay_alu instid0(VALU_DEP_4)
	v_add_f64_e64 v[28:29], v[28:29], -v[34:35]
	v_add_f64_e64 v[34:35], v[36:37], -v[50:51]
	v_mul_f64_e32 v[50:51], 0x3ff71547652b82fe, v[18:19]
	v_fma_f64 v[24:25], v[16:17], v[20:21], -v[24:25]
	v_add_f64_e64 v[66:67], v[54:55], -v[64:65]
	v_fma_f64 v[30:31], v[38:39], v[32:33], -v[30:31]
	v_add_f64_e64 v[48:49], v[48:49], -v[64:65]
	s_delay_alu instid0(VALU_DEP_4) | instskip(NEXT) | instid1(VALU_DEP_4)
	v_add_f64_e32 v[24:25], 0xbf0e2b2659c41d5a, v[24:25]
	v_add_f64_e64 v[36:37], v[52:53], -v[66:67]
	s_delay_alu instid0(VALU_DEP_4) | instskip(SKIP_1) | instid1(VALU_DEP_4)
	v_add_f64_e32 v[30:31], 0x3ef7f900fe8cfca0, v[30:31]
	v_add_f64_e32 v[52:53], v[34:35], v[28:29]
	v_fma_f64 v[20:21], v[16:17], v[24:25], -v[20:21]
	s_delay_alu instid0(VALU_DEP_4) | instskip(NEXT) | instid1(VALU_DEP_4)
	v_add_f64_e32 v[36:37], v[48:49], v[36:37]
	v_fma_f64 v[32:33], v[38:39], v[30:31], -v[32:33]
	v_rndne_f64_e32 v[48:49], v[50:51]
	v_add_f64_e64 v[50:51], v[52:53], -v[34:35]
	v_add_f64_e32 v[20:21], 0x3f28b51b74107cab, v[20:21]
	v_add_f64_e32 v[36:37], v[52:53], v[36:37]
	;; [unrolled: 1-line block ×3, first 2 shown]
	v_fmamk_f64 v[18:19], v[48:49], 0xbfe62e42fefa39ef, v[18:19]
	v_add_f64_e64 v[52:53], v[52:53], -v[50:51]
	v_add_f64_e64 v[28:29], v[28:29], -v[50:51]
	v_cvt_i32_f64_e32 v7, v[48:49]
	s_delay_alu instid0(VALU_DEP_4) | instskip(NEXT) | instid1(VALU_DEP_1)
	v_fmamk_f64 v[18:19], v[48:49], 0xbc7abc9e3b39803f, v[18:19]
	v_fmaak_f64 v[66:67], s[8:9], v[18:19], 0x3e928af3fca7ab0c
	s_delay_alu instid0(VALU_DEP_1) | instskip(SKIP_1) | instid1(VALU_DEP_2)
	v_fmaak_f64 v[66:67], v[18:19], v[66:67], 0x3ec71dee623fde64
	v_fma_f64 v[24:25], v[16:17], v[20:21], -v[24:25]
	v_fmaak_f64 v[66:67], v[18:19], v[66:67], 0x3efa01997c89e6b0
	v_add_f64_e32 v[64:65], v[54:55], v[36:37]
	v_fma_f64 v[30:31], v[38:39], v[32:33], -v[30:31]
	v_add_f64_e64 v[34:35], v[34:35], -v[52:53]
	s_delay_alu instid0(VALU_DEP_4) | instskip(NEXT) | instid1(VALU_DEP_1)
	v_fmaak_f64 v[66:67], v[18:19], v[66:67], 0x3f2a01a014761f6e
	v_fmaak_f64 v[52:53], v[18:19], v[66:67], 0x3f56c16c1852b7b0
	v_add_f64_e32 v[24:25], 0xbf42e2fd1f15eb52, v[24:25]
	v_add_f64_e64 v[50:51], v[64:65], -v[54:55]
	v_add_f64_e32 v[30:31], 0x3fa26bf6554a9085, v[30:31]
	v_add_f64_e32 v[28:29], v[28:29], v[34:35]
	s_delay_alu instid0(VALU_DEP_4) | instskip(NEXT) | instid1(VALU_DEP_4)
	v_fma_f64 v[20:21], v[16:17], v[24:25], -v[20:21]
	v_add_f64_e64 v[34:35], v[36:37], -v[50:51]
	s_delay_alu instid0(VALU_DEP_4) | instskip(NEXT) | instid1(VALU_DEP_3)
	v_fma_f64 v[32:33], v[38:39], v[30:31], -v[32:33]
	v_add_f64_e32 v[20:21], 0x3f5adc758a12100e, v[20:21]
	s_delay_alu instid0(VALU_DEP_3) | instskip(NEXT) | instid1(VALU_DEP_3)
	v_add_f64_e32 v[28:29], v[28:29], v[34:35]
	v_add_f64_e32 v[32:33], 0x3fd608d881213db9, v[32:33]
	s_delay_alu instid0(VALU_DEP_3) | instskip(NEXT) | instid1(VALU_DEP_1)
	v_fma_f64 v[24:25], v[16:17], v[20:21], -v[24:25]
	v_add_f64_e32 v[24:25], 0xbf71b65e201aa849, v[24:25]
	s_delay_alu instid0(VALU_DEP_1) | instskip(NEXT) | instid1(VALU_DEP_1)
	v_fma_f64 v[20:21], v[16:17], v[24:25], -v[20:21]
	v_add_f64_e32 v[20:21], 0x3f859961f3dde3dd, v[20:21]
	s_delay_alu instid0(VALU_DEP_1) | instskip(NEXT) | instid1(VALU_DEP_1)
	;; [unrolled: 3-line block ×6, first 2 shown]
	v_fma_f64 v[24:25], v[16:17], v[20:21], -v[24:25]
	v_add_f64_e32 v[24:25], 0xbfd37febc057cd8d, v[24:25]
	s_delay_alu instid0(VALU_DEP_1) | instskip(SKIP_1) | instid1(VALU_DEP_1)
	v_fma_f64 v[16:17], v[16:17], v[24:25], -v[20:21]
	v_fmaak_f64 v[24:25], v[18:19], v[52:53], 0x3f81111111122322
	v_fmaak_f64 v[24:25], v[18:19], v[24:25], 0x3fa55555555502a1
	s_delay_alu instid0(VALU_DEP_1) | instskip(NEXT) | instid1(VALU_DEP_1)
	v_fmaak_f64 v[24:25], v[18:19], v[24:25], 0x3fc5555555555511
	v_fmaak_f64 v[24:25], v[18:19], v[24:25], 0x3fe000000000000b
	s_delay_alu instid0(VALU_DEP_1) | instskip(SKIP_1) | instid1(VALU_DEP_2)
	v_fma_f64 v[24:25], v[18:19], v[24:25], 1.0
	v_add_f64_e32 v[16:17], 0x3fe5a84e9035a22a, v[16:17]
	v_fma_f64 v[18:19], v[18:19], v[24:25], 1.0
	v_fma_f64 v[24:25], v[38:39], v[32:33], -v[30:31]
	s_delay_alu instid0(VALU_DEP_3) | instskip(SKIP_1) | instid1(VALU_DEP_4)
	v_add_f64_e64 v[16:17], v[16:17], -v[20:21]
	v_add_f64_e32 v[20:21], v[64:65], v[28:29]
	v_ldexp_f64 v[18:19], v[18:19], v7
	s_delay_alu instid0(VALU_DEP_4) | instskip(NEXT) | instid1(VALU_DEP_4)
	v_add_f64_e32 v[24:25], 0xbfe12166e9d2f61f, v[24:25]
	v_mul_f64_e32 v[16:17], 0.5, v[16:17]
	s_delay_alu instid0(VALU_DEP_4) | instskip(SKIP_2) | instid1(VALU_DEP_2)
	v_cndmask_b32_e32 v7, 0x7ff00000, v21, vcc_lo
	s_and_b32 vcc_lo, s1, vcc_lo
	v_cndmask_b32_e32 v20, 0, v20, vcc_lo
	v_cndmask_b32_e64 v21, 0xfff00000, v7, s1
	v_add_f64_e64 v[24:25], v[24:25], -v[30:31]
	v_mul_f64_e32 v[16:17], v[18:19], v[16:17]
	s_delay_alu instid0(VALU_DEP_1) | instskip(NEXT) | instid1(VALU_DEP_1)
	v_mul_f64_e32 v[16:17], v[20:21], v[16:17]
	v_fma_f64 v[16:17], v[24:25], 0.5, -v[16:17]
	s_delay_alu instid0(VALU_DEP_1)
	v_mul_f64_e32 v[16:17], v[18:19], v[16:17]
                                        ; implicit-def: $vgpr18_vgpr19
.LBB0_23:
	s_and_not1_saveexec_b32 s1, s6
	s_cbranch_execz .LBB0_25
; %bb.24:
	v_div_scale_f64 v[16:17], null, v[18:19], v[18:19], 0x40200000
	v_div_scale_f64 v[26:27], vcc_lo, 0x40200000, v[18:19], 0x40200000
	s_mov_b64 s[6:7], 0x3c5871a5cf8c9ee1
	v_rcp_f64_e32 v[20:21], v[16:17]
	v_nop
	s_delay_alu instid0(TRANS32_DEP_1) | instskip(NEXT) | instid1(VALU_DEP_1)
	v_fma_f64 v[24:25], -v[16:17], v[20:21], 1.0
	v_fmac_f64_e32 v[20:21], v[20:21], v[24:25]
	s_delay_alu instid0(VALU_DEP_1) | instskip(NEXT) | instid1(VALU_DEP_1)
	v_fma_f64 v[24:25], -v[16:17], v[20:21], 1.0
	v_fmac_f64_e32 v[20:21], v[20:21], v[24:25]
	s_delay_alu instid0(VALU_DEP_1) | instskip(NEXT) | instid1(VALU_DEP_1)
	v_mul_f64_e32 v[24:25], v[26:27], v[20:21]
	v_fma_f64 v[16:17], -v[16:17], v[24:25], v[26:27]
	s_delay_alu instid0(VALU_DEP_1) | instskip(SKIP_1) | instid1(VALU_DEP_2)
	v_div_fmas_f64 v[16:17], v[16:17], v[20:21], v[24:25]
	v_cmp_gt_f64_e32 vcc_lo, 0x10000000, v[18:19]
	v_div_fixup_f64 v[16:17], v[16:17], v[18:19], 0x40200000
	v_cndmask_b32_e64 v7, 0, 0x100, vcc_lo
	s_delay_alu instid0(VALU_DEP_1) | instskip(SKIP_1) | instid1(VALU_DEP_2)
	v_ldexp_f64 v[18:19], v[18:19], v7
	v_cndmask_b32_e64 v7, 0, 0xffffff80, vcc_lo
	v_cmp_class_f64_e64 vcc_lo, v[18:19], 0x260
	v_add_f64_e32 v[16:17], -2.0, v[16:17]
	v_rsq_f64_e32 v[26:27], v[18:19]
	s_delay_alu instid0(VALU_DEP_1) | instskip(NEXT) | instid1(TRANS32_DEP_1)
	v_fmaak_f64 v[20:21], s[6:7], v[16:17], 0xbc72fecc93812603
	v_mul_f64_e32 v[28:29], v[18:19], v[26:27]
	s_delay_alu instid0(VALU_DEP_2) | instskip(SKIP_1) | instid1(VALU_DEP_2)
	v_fmaak_f64 v[24:25], v[16:17], v[20:21], 0xbc5871a5cf8c9ee1
	v_mul_f64_e32 v[26:27], 0.5, v[26:27]
	v_add_f64_e32 v[24:25], 0x3c8e092e41a8cdf4, v[24:25]
	s_delay_alu instid0(VALU_DEP_2) | instskip(NEXT) | instid1(VALU_DEP_2)
	v_fma_f64 v[30:31], -v[26:27], v[28:29], 0.5
	v_fma_f64 v[20:21], v[16:17], v[24:25], -v[20:21]
	s_delay_alu instid0(VALU_DEP_2) | instskip(SKIP_1) | instid1(VALU_DEP_3)
	v_fmac_f64_e32 v[28:29], v[28:29], v[30:31]
	v_fmac_f64_e32 v[26:27], v[26:27], v[30:31]
	v_add_f64_e32 v[20:21], 0xbca82f9474d77641, v[20:21]
	s_delay_alu instid0(VALU_DEP_3) | instskip(NEXT) | instid1(VALU_DEP_2)
	v_fma_f64 v[30:31], -v[28:29], v[28:29], v[18:19]
	v_fma_f64 v[24:25], v[16:17], v[20:21], -v[24:25]
	s_delay_alu instid0(VALU_DEP_2) | instskip(NEXT) | instid1(VALU_DEP_2)
	v_fmac_f64_e32 v[28:29], v[30:31], v[26:27]
	v_add_f64_e32 v[24:25], 0x3cc3dbf96b94785b, v[24:25]
	s_delay_alu instid0(VALU_DEP_1) | instskip(NEXT) | instid1(VALU_DEP_1)
	v_fma_f64 v[20:21], v[16:17], v[24:25], -v[20:21]
	v_add_f64_e32 v[20:21], 0xbce0a690ecfadd36, v[20:21]
	s_delay_alu instid0(VALU_DEP_1) | instskip(NEXT) | instid1(VALU_DEP_1)
	v_fma_f64 v[24:25], v[16:17], v[20:21], -v[24:25]
	;; [unrolled: 3-line block ×19, first 2 shown]
	v_add_f64_e32 v[20:21], 0xbfa019f72d4ff71e, v[20:21]
	s_delay_alu instid0(VALU_DEP_1) | instskip(SKIP_1) | instid1(VALU_DEP_2)
	v_fma_f64 v[16:17], v[16:17], v[20:21], -v[24:25]
	v_fma_f64 v[20:21], -v[28:29], v[28:29], v[18:19]
	v_add_f64_e32 v[16:17], 0x400385bd9f4e6907, v[16:17]
	s_delay_alu instid0(VALU_DEP_2) | instskip(NEXT) | instid1(VALU_DEP_2)
	v_fmac_f64_e32 v[28:29], v[20:21], v[26:27]
	v_add_f64_e64 v[16:17], v[16:17], -v[24:25]
	s_delay_alu instid0(VALU_DEP_2) | instskip(NEXT) | instid1(VALU_DEP_1)
	v_ldexp_f64 v[20:21], v[28:29], v7
	v_dual_mul_f64 v[16:17], 0.5, v[16:17] :: v_dual_cndmask_b32 v19, v21, v19, vcc_lo
	s_delay_alu instid0(VALU_DEP_2) | instskip(NEXT) | instid1(VALU_DEP_1)
	v_cndmask_b32_e32 v18, v20, v18, vcc_lo
	v_div_scale_f64 v[20:21], null, v[18:19], v[18:19], v[16:17]
	s_delay_alu instid0(VALU_DEP_1) | instskip(SKIP_1) | instid1(TRANS32_DEP_1)
	v_rcp_f64_e32 v[24:25], v[20:21]
	v_nop
	v_fma_f64 v[26:27], -v[20:21], v[24:25], 1.0
	s_delay_alu instid0(VALU_DEP_1) | instskip(NEXT) | instid1(VALU_DEP_1)
	v_fmac_f64_e32 v[24:25], v[24:25], v[26:27]
	v_fma_f64 v[26:27], -v[20:21], v[24:25], 1.0
	s_delay_alu instid0(VALU_DEP_1) | instskip(SKIP_1) | instid1(VALU_DEP_1)
	v_fmac_f64_e32 v[24:25], v[24:25], v[26:27]
	v_div_scale_f64 v[26:27], vcc_lo, v[16:17], v[18:19], v[16:17]
	v_mul_f64_e32 v[28:29], v[26:27], v[24:25]
	s_delay_alu instid0(VALU_DEP_1) | instskip(NEXT) | instid1(VALU_DEP_1)
	v_fma_f64 v[20:21], -v[20:21], v[28:29], v[26:27]
	v_div_fmas_f64 v[20:21], v[20:21], v[24:25], v[28:29]
	s_delay_alu instid0(VALU_DEP_1)
	v_div_fixup_f64 v[16:17], v[20:21], v[18:19], v[16:17]
.LBB0_25:
	s_or_b32 exec_lo, exec_lo, s1
.LBB0_26:
	s_delay_alu instid0(SALU_CYCLE_1)
	s_or_b32 exec_lo, exec_lo, s5
.LBB0_27:
	s_delay_alu instid0(SALU_CYCLE_1)
	s_or_b32 exec_lo, exec_lo, s4
.LBB0_28:
	s_delay_alu instid0(SALU_CYCLE_1) | instskip(SKIP_2) | instid1(VALU_DEP_1)
	s_or_b32 exec_lo, exec_lo, s3
	v_add_nc_u32_e32 v7, 0x200, v5
	s_mov_b32 s3, exec_lo
	v_cmpx_lt_i32_e64 v7, v4
	s_cbranch_execz .LBB0_38
; %bb.29:
	v_mov_b64_e32 v[14:15], 0x7ff0000000000000
	s_mov_b32 s4, exec_lo
	s_wait_loadcnt_dscnt 0x0
	v_cmpx_neq_f64_e32 0, v[10:11]
	s_cbranch_execz .LBB0_37
; %bb.30:
	v_mov_b64_e32 v[14:15], 0x7ff8000000000000
	s_mov_b32 s5, exec_lo
	v_cmpx_ngt_f64_e32 0, v[10:11]
	s_cbranch_execz .LBB0_36
; %bb.31:
	s_mov_b32 s1, exec_lo
	v_cmpx_ge_f64_e32 2.0, v[10:11]
	s_xor_b32 s6, exec_lo, s1
                                        ; implicit-def: $vgpr14_vgpr15
	s_cbranch_execz .LBB0_33
; %bb.32:
	v_fma_f64 v[14:15], v[10:11], 0.5, -2.0
	s_mov_b64 s[8:9], 0xbc545cb72134d0ef
	v_mul_f64_e32 v[24:25], 0.5, v[10:11]
	s_delay_alu instid0(VALU_DEP_2) | instskip(SKIP_1) | instid1(VALU_DEP_2)
	v_fmaak_f64 v[18:19], s[8:9], v[14:15], 0x3c833362977da589
	s_mov_b64 s[8:9], 0x3fe5555555555555
	v_frexp_mant_f64_e32 v[26:27], v[24:25]
	v_cmp_neq_f64_e64 s1, 0, v[24:25]
	s_delay_alu instid0(VALU_DEP_3) | instskip(NEXT) | instid1(VALU_DEP_1)
	v_fmaak_f64 v[20:21], v[14:15], v[18:19], 0x3c545cb72134d0ef
	v_add_f64_e32 v[20:21], 0xbcb184eb721ebbb4, v[20:21]
	s_delay_alu instid0(VALU_DEP_4) | instskip(SKIP_1) | instid1(VALU_DEP_2)
	v_cmp_gt_f64_e32 vcc_lo, s[8:9], v[26:27]
	s_mov_b64 s[8:9], 0x3fc3ab76bf559e2b
	v_fma_f64 v[18:19], v[14:15], v[20:21], -v[18:19]
	v_cndmask_b32_e64 v7, 0, 1, vcc_lo
	s_delay_alu instid0(VALU_DEP_1) | instskip(SKIP_1) | instid1(VALU_DEP_4)
	v_ldexp_f64 v[26:27], v[26:27], v7
	v_frexp_exp_i32_f64_e32 v7, v[24:25]
	v_add_f64_e32 v[18:19], 0x3cdee6d893f65eba, v[18:19]
	s_delay_alu instid0(VALU_DEP_3) | instskip(SKIP_1) | instid1(VALU_DEP_4)
	v_add_f64_e32 v[28:29], 1.0, v[26:27]
	v_add_f64_e32 v[34:35], -1.0, v[26:27]
	v_subrev_co_ci_u32_e64 v7, null, 0, v7, vcc_lo
	v_cmp_neq_f64_e32 vcc_lo, 0x7ff00000, v[24:25]
	v_fma_f64 v[20:21], v[14:15], v[18:19], -v[20:21]
	v_rcp_f64_e32 v[30:31], v[28:29]
	v_add_f64_e32 v[36:37], -1.0, v[28:29]
	s_delay_alu instid0(VALU_DEP_2) | instskip(NEXT) | instid1(VALU_DEP_2)
	v_add_f64_e32 v[20:21], 0xbd0a5022c297fbeb, v[20:21]
	v_add_f64_e64 v[26:27], v[26:27], -v[36:37]
	s_delay_alu instid0(TRANS32_DEP_1) | instskip(NEXT) | instid1(VALU_DEP_3)
	v_fma_f64 v[32:33], -v[28:29], v[30:31], 1.0
	v_fma_f64 v[18:19], v[14:15], v[20:21], -v[18:19]
	s_delay_alu instid0(VALU_DEP_2) | instskip(NEXT) | instid1(VALU_DEP_2)
	v_fmac_f64_e32 v[30:31], v[32:33], v[30:31]
	v_add_f64_e32 v[18:19], 0x3d359b464b262627, v[18:19]
	s_delay_alu instid0(VALU_DEP_2) | instskip(NEXT) | instid1(VALU_DEP_2)
	v_fma_f64 v[32:33], -v[28:29], v[30:31], 1.0
	v_fma_f64 v[20:21], v[14:15], v[18:19], -v[20:21]
	s_delay_alu instid0(VALU_DEP_2) | instskip(NEXT) | instid1(VALU_DEP_2)
	v_fmac_f64_e32 v[30:31], v[32:33], v[30:31]
	v_add_f64_e32 v[20:21], 0xbd61164c62ee1af0, v[20:21]
	s_delay_alu instid0(VALU_DEP_2) | instskip(NEXT) | instid1(VALU_DEP_2)
	v_mul_f64_e32 v[32:33], v[34:35], v[30:31]
	v_fma_f64 v[18:19], v[14:15], v[20:21], -v[18:19]
	s_delay_alu instid0(VALU_DEP_2) | instskip(NEXT) | instid1(VALU_DEP_2)
	v_mul_f64_e32 v[38:39], v[28:29], v[32:33]
	v_add_f64_e32 v[18:19], 0x3d89fe2fe19bd324, v[18:19]
	s_delay_alu instid0(VALU_DEP_2) | instskip(NEXT) | instid1(VALU_DEP_2)
	v_fma_f64 v[28:29], v[32:33], v[28:29], -v[38:39]
	v_fma_f64 v[20:21], v[14:15], v[18:19], -v[20:21]
	s_delay_alu instid0(VALU_DEP_2) | instskip(NEXT) | instid1(VALU_DEP_2)
	v_fmac_f64_e32 v[28:29], v[32:33], v[26:27]
	v_add_f64_e32 v[20:21], 0xbdb2fc957a946abc, v[20:21]
	s_delay_alu instid0(VALU_DEP_2) | instskip(NEXT) | instid1(VALU_DEP_2)
	v_add_f64_e32 v[26:27], v[38:39], v[28:29]
	v_fma_f64 v[18:19], v[14:15], v[20:21], -v[18:19]
	s_delay_alu instid0(VALU_DEP_2) | instskip(NEXT) | instid1(VALU_DEP_2)
	v_add_f64_e64 v[36:37], v[34:35], -v[26:27]
	v_add_f64_e32 v[18:19], 0x3dda98becc743c10, v[18:19]
	v_add_f64_e64 v[38:39], v[26:27], -v[38:39]
	s_delay_alu instid0(VALU_DEP_3) | instskip(NEXT) | instid1(VALU_DEP_3)
	v_add_f64_e64 v[34:35], v[34:35], -v[36:37]
	v_fma_f64 v[20:21], v[14:15], v[18:19], -v[20:21]
	s_delay_alu instid0(VALU_DEP_3) | instskip(SKIP_1) | instid1(VALU_DEP_4)
	v_add_f64_e64 v[28:29], v[38:39], -v[28:29]
	v_cvt_f64_i32_e32 v[38:39], v7
	v_add_f64_e64 v[26:27], v[34:35], -v[26:27]
	s_delay_alu instid0(VALU_DEP_4) | instskip(NEXT) | instid1(VALU_DEP_3)
	v_add_f64_e32 v[20:21], 0xbe01d4fe13ae9556, v[20:21]
	v_mul_f64_e32 v[48:49], 0x3fe62e42fefa39ef, v[38:39]
	s_delay_alu instid0(VALU_DEP_3) | instskip(NEXT) | instid1(VALU_DEP_3)
	v_add_f64_e32 v[26:27], v[28:29], v[26:27]
	v_fma_f64 v[18:19], v[14:15], v[20:21], -v[18:19]
	s_delay_alu instid0(VALU_DEP_2) | instskip(NEXT) | instid1(VALU_DEP_2)
	v_add_f64_e32 v[26:27], v[36:37], v[26:27]
	v_add_f64_e32 v[18:19], 0x3e26d903a454cb34, v[18:19]
	s_delay_alu instid0(VALU_DEP_2) | instskip(NEXT) | instid1(VALU_DEP_2)
	v_mul_f64_e32 v[26:27], v[30:31], v[26:27]
	v_fma_f64 v[20:21], v[14:15], v[18:19], -v[20:21]
	s_delay_alu instid0(VALU_DEP_2) | instskip(NEXT) | instid1(VALU_DEP_2)
	v_add_f64_e32 v[28:29], v[32:33], v[26:27]
	v_add_f64_e32 v[20:21], 0xbe4beaf68c0b30ab, v[20:21]
	s_delay_alu instid0(VALU_DEP_2) | instskip(NEXT) | instid1(VALU_DEP_2)
	v_mul_f64_e32 v[30:31], v[28:29], v[28:29]
	v_fma_f64 v[18:19], v[14:15], v[20:21], -v[18:19]
	s_delay_alu instid0(VALU_DEP_2) | instskip(NEXT) | instid1(VALU_DEP_2)
	v_fmaak_f64 v[34:35], s[8:9], v[30:31], 0x3fc385386b47b09a
	v_add_f64_e32 v[18:19], 0x3e703b769d4d6435, v[18:19]
	v_mul_f64_e32 v[36:37], v[28:29], v[30:31]
	s_mov_b64 s[8:9], 0x3ca3cee1e6a7fd77
	s_delay_alu instid0(VALU_DEP_3) | instskip(NEXT) | instid1(VALU_DEP_1)
	v_fmaak_f64 v[34:35], v[30:31], v[34:35], 0x3fc7474dd7f4df2e
	v_fmaak_f64 v[34:35], v[30:31], v[34:35], 0x3fcc71c016291751
	s_delay_alu instid0(VALU_DEP_1) | instskip(NEXT) | instid1(VALU_DEP_1)
	v_fmaak_f64 v[34:35], v[30:31], v[34:35], 0x3fd249249b27acf1
	v_fmaak_f64 v[34:35], v[30:31], v[34:35], 0x3fd99999998ef7b6
	v_fma_f64 v[20:21], v[14:15], v[18:19], -v[20:21]
	s_delay_alu instid0(VALU_DEP_2) | instskip(SKIP_2) | instid1(VALU_DEP_3)
	v_fmaak_f64 v[30:31], v[30:31], v[34:35], 0x3fe5555555555780
	v_ldexp_f64 v[34:35], v[28:29], 1
	v_add_f64_e64 v[28:29], v[28:29], -v[32:33]
	v_mul_f64_e32 v[30:31], v[36:37], v[30:31]
	v_fma_f64 v[36:37], v[10:11], v[10:11], -2.0
	v_add_f64_e32 v[20:21], 0xbe91ec638f227f8d, v[20:21]
	s_delay_alu instid0(VALU_DEP_4) | instskip(NEXT) | instid1(VALU_DEP_4)
	v_add_f64_e64 v[26:27], v[26:27], -v[28:29]
	v_add_f64_e32 v[32:33], v[34:35], v[30:31]
	s_delay_alu instid0(VALU_DEP_3) | instskip(NEXT) | instid1(VALU_DEP_3)
	v_fma_f64 v[18:19], v[14:15], v[20:21], -v[18:19]
	v_ldexp_f64 v[26:27], v[26:27], 1
	s_delay_alu instid0(VALU_DEP_3) | instskip(SKIP_2) | instid1(VALU_DEP_1)
	v_add_f64_e64 v[28:29], v[32:33], -v[34:35]
	v_fmaak_f64 v[34:35], s[8:9], v[36:37], 0x3d27fb0ac384c2aa
	s_mov_b64 s[8:9], 0x3fe62e42fefa39ef
	v_fmaak_f64 v[50:51], v[36:37], v[34:35], 0xbca3cee1e6a7fd77
	v_add_f64_e32 v[18:19], 0x3eb2bf24978cf4ac, v[18:19]
	s_delay_alu instid0(VALU_DEP_4) | instskip(NEXT) | instid1(VALU_DEP_3)
	v_add_f64_e64 v[28:29], v[30:31], -v[28:29]
	v_add_f64_e32 v[30:31], 0x3da6c25c47512144, v[50:51]
	v_fma_f64 v[50:51], v[38:39], s[8:9], -v[48:49]
	s_mov_b64 s[8:9], 0x3e5ade156a5dcb37
	s_delay_alu instid0(VALU_DEP_4) | instskip(NEXT) | instid1(VALU_DEP_4)
	v_fma_f64 v[20:21], v[14:15], v[18:19], -v[20:21]
	v_add_f64_e32 v[26:27], v[26:27], v[28:29]
	s_delay_alu instid0(VALU_DEP_4) | instskip(NEXT) | instid1(VALU_DEP_4)
	v_fma_f64 v[28:29], v[36:37], v[30:31], -v[34:35]
	v_fmamk_f64 v[34:35], v[38:39], 0x3c7abc9e3b39803f, v[50:51]
	s_delay_alu instid0(VALU_DEP_1) | instskip(SKIP_3) | instid1(VALU_DEP_4)
	v_add_f64_e32 v[50:51], v[48:49], v[34:35]
	v_add_f64_e32 v[20:21], 0xbed2866fcba56427, v[20:21]
	;; [unrolled: 1-line block ×4, first 2 shown]
	v_add_f64_e64 v[48:49], v[50:51], -v[48:49]
	s_delay_alu instid0(VALU_DEP_4) | instskip(NEXT) | instid1(VALU_DEP_4)
	v_fma_f64 v[18:19], v[14:15], v[20:21], -v[18:19]
	v_add_f64_e32 v[52:53], v[50:51], v[38:39]
	s_delay_alu instid0(VALU_DEP_4) | instskip(SKIP_1) | instid1(VALU_DEP_4)
	v_fma_f64 v[30:31], v[36:37], v[28:29], -v[30:31]
	v_add_f64_e64 v[32:33], v[38:39], -v[32:33]
	v_add_f64_e32 v[18:19], 0x3ef13f58be9a2859, v[18:19]
	s_delay_alu instid0(VALU_DEP_4) | instskip(NEXT) | instid1(VALU_DEP_4)
	v_add_f64_e64 v[54:55], v[52:53], -v[50:51]
	v_add_f64_e32 v[30:31], 0x3e9102bce7f95efc, v[30:31]
	s_delay_alu instid0(VALU_DEP_4)
	v_add_f64_e64 v[26:27], v[26:27], -v[32:33]
	v_add_f64_e64 v[32:33], v[34:35], -v[48:49]
	v_mul_f64_e32 v[48:49], 0x3ff71547652b82fe, v[10:11]
	v_fma_f64 v[20:21], v[14:15], v[18:19], -v[20:21]
	v_add_f64_e64 v[64:65], v[52:53], -v[54:55]
	v_fma_f64 v[28:29], v[36:37], v[30:31], -v[28:29]
	v_add_f64_e64 v[38:39], v[38:39], -v[54:55]
	s_delay_alu instid0(VALU_DEP_4) | instskip(NEXT) | instid1(VALU_DEP_4)
	v_add_f64_e32 v[20:21], 0xbf0e2b2659c41d5a, v[20:21]
	v_add_f64_e64 v[34:35], v[50:51], -v[64:65]
	s_delay_alu instid0(VALU_DEP_4) | instskip(SKIP_1) | instid1(VALU_DEP_4)
	v_add_f64_e32 v[28:29], 0x3ef7f900fe8cfca0, v[28:29]
	v_add_f64_e32 v[50:51], v[32:33], v[26:27]
	v_fma_f64 v[18:19], v[14:15], v[20:21], -v[18:19]
	s_delay_alu instid0(VALU_DEP_4) | instskip(NEXT) | instid1(VALU_DEP_4)
	v_add_f64_e32 v[34:35], v[38:39], v[34:35]
	v_fma_f64 v[30:31], v[36:37], v[28:29], -v[30:31]
	v_rndne_f64_e32 v[38:39], v[48:49]
	v_add_f64_e64 v[48:49], v[50:51], -v[32:33]
	v_add_f64_e32 v[18:19], 0x3f28b51b74107cab, v[18:19]
	v_add_f64_e32 v[34:35], v[50:51], v[34:35]
	;; [unrolled: 1-line block ×3, first 2 shown]
	v_fmamk_f64 v[10:11], v[38:39], 0xbfe62e42fefa39ef, v[10:11]
	v_add_f64_e64 v[50:51], v[50:51], -v[48:49]
	v_add_f64_e64 v[26:27], v[26:27], -v[48:49]
	v_cvt_i32_f64_e32 v7, v[38:39]
	s_delay_alu instid0(VALU_DEP_4) | instskip(NEXT) | instid1(VALU_DEP_1)
	v_fmamk_f64 v[10:11], v[38:39], 0xbc7abc9e3b39803f, v[10:11]
	v_fmaak_f64 v[64:65], s[8:9], v[10:11], 0x3e928af3fca7ab0c
	s_delay_alu instid0(VALU_DEP_1) | instskip(SKIP_1) | instid1(VALU_DEP_2)
	v_fmaak_f64 v[64:65], v[10:11], v[64:65], 0x3ec71dee623fde64
	v_fma_f64 v[20:21], v[14:15], v[18:19], -v[20:21]
	v_fmaak_f64 v[64:65], v[10:11], v[64:65], 0x3efa01997c89e6b0
	v_add_f64_e32 v[54:55], v[52:53], v[34:35]
	v_fma_f64 v[28:29], v[36:37], v[30:31], -v[28:29]
	v_add_f64_e64 v[32:33], v[32:33], -v[50:51]
	s_delay_alu instid0(VALU_DEP_4) | instskip(NEXT) | instid1(VALU_DEP_1)
	v_fmaak_f64 v[64:65], v[10:11], v[64:65], 0x3f2a01a014761f6e
	v_fmaak_f64 v[50:51], v[10:11], v[64:65], 0x3f56c16c1852b7b0
	v_add_f64_e32 v[20:21], 0xbf42e2fd1f15eb52, v[20:21]
	v_add_f64_e64 v[48:49], v[54:55], -v[52:53]
	v_add_f64_e32 v[28:29], 0x3fa26bf6554a9085, v[28:29]
	v_add_f64_e32 v[26:27], v[26:27], v[32:33]
	s_delay_alu instid0(VALU_DEP_4) | instskip(NEXT) | instid1(VALU_DEP_4)
	v_fma_f64 v[18:19], v[14:15], v[20:21], -v[18:19]
	v_add_f64_e64 v[32:33], v[34:35], -v[48:49]
	s_delay_alu instid0(VALU_DEP_4) | instskip(NEXT) | instid1(VALU_DEP_3)
	v_fma_f64 v[30:31], v[36:37], v[28:29], -v[30:31]
	v_add_f64_e32 v[18:19], 0x3f5adc758a12100e, v[18:19]
	s_delay_alu instid0(VALU_DEP_3) | instskip(NEXT) | instid1(VALU_DEP_3)
	v_add_f64_e32 v[26:27], v[26:27], v[32:33]
	v_add_f64_e32 v[30:31], 0x3fd608d881213db9, v[30:31]
	s_delay_alu instid0(VALU_DEP_3) | instskip(NEXT) | instid1(VALU_DEP_1)
	v_fma_f64 v[20:21], v[14:15], v[18:19], -v[20:21]
	v_add_f64_e32 v[20:21], 0xbf71b65e201aa849, v[20:21]
	s_delay_alu instid0(VALU_DEP_1) | instskip(NEXT) | instid1(VALU_DEP_1)
	v_fma_f64 v[18:19], v[14:15], v[20:21], -v[18:19]
	v_add_f64_e32 v[18:19], 0x3f859961f3dde3dd, v[18:19]
	s_delay_alu instid0(VALU_DEP_1) | instskip(NEXT) | instid1(VALU_DEP_1)
	;; [unrolled: 3-line block ×6, first 2 shown]
	v_fma_f64 v[20:21], v[14:15], v[18:19], -v[20:21]
	v_add_f64_e32 v[20:21], 0xbfd37febc057cd8d, v[20:21]
	s_delay_alu instid0(VALU_DEP_1) | instskip(SKIP_1) | instid1(VALU_DEP_1)
	v_fma_f64 v[14:15], v[14:15], v[20:21], -v[18:19]
	v_fmaak_f64 v[20:21], v[10:11], v[50:51], 0x3f81111111122322
	v_fmaak_f64 v[20:21], v[10:11], v[20:21], 0x3fa55555555502a1
	s_delay_alu instid0(VALU_DEP_1) | instskip(NEXT) | instid1(VALU_DEP_1)
	v_fmaak_f64 v[20:21], v[10:11], v[20:21], 0x3fc5555555555511
	v_fmaak_f64 v[20:21], v[10:11], v[20:21], 0x3fe000000000000b
	s_delay_alu instid0(VALU_DEP_1) | instskip(SKIP_1) | instid1(VALU_DEP_2)
	v_fma_f64 v[20:21], v[10:11], v[20:21], 1.0
	v_add_f64_e32 v[14:15], 0x3fe5a84e9035a22a, v[14:15]
	v_fma_f64 v[10:11], v[10:11], v[20:21], 1.0
	v_fma_f64 v[20:21], v[36:37], v[30:31], -v[28:29]
	s_delay_alu instid0(VALU_DEP_3) | instskip(SKIP_1) | instid1(VALU_DEP_4)
	v_add_f64_e64 v[14:15], v[14:15], -v[18:19]
	v_add_f64_e32 v[18:19], v[54:55], v[26:27]
	v_ldexp_f64 v[10:11], v[10:11], v7
	s_delay_alu instid0(VALU_DEP_4) | instskip(NEXT) | instid1(VALU_DEP_4)
	v_add_f64_e32 v[20:21], 0xbfe12166e9d2f61f, v[20:21]
	v_mul_f64_e32 v[14:15], 0.5, v[14:15]
	s_delay_alu instid0(VALU_DEP_4) | instskip(SKIP_2) | instid1(VALU_DEP_2)
	v_cndmask_b32_e32 v7, 0x7ff00000, v19, vcc_lo
	s_and_b32 vcc_lo, s1, vcc_lo
	v_cndmask_b32_e32 v18, 0, v18, vcc_lo
	v_cndmask_b32_e64 v19, 0xfff00000, v7, s1
	v_add_f64_e64 v[20:21], v[20:21], -v[28:29]
	v_mul_f64_e32 v[14:15], v[10:11], v[14:15]
	s_delay_alu instid0(VALU_DEP_1) | instskip(NEXT) | instid1(VALU_DEP_1)
	v_mul_f64_e32 v[14:15], v[18:19], v[14:15]
	v_fma_f64 v[14:15], v[20:21], 0.5, -v[14:15]
	s_delay_alu instid0(VALU_DEP_1)
	v_mul_f64_e32 v[14:15], v[10:11], v[14:15]
                                        ; implicit-def: $vgpr10_vgpr11
.LBB0_33:
	s_and_not1_saveexec_b32 s1, s6
	s_cbranch_execz .LBB0_35
; %bb.34:
	v_div_scale_f64 v[14:15], null, v[10:11], v[10:11], 0x40200000
	v_div_scale_f64 v[24:25], vcc_lo, 0x40200000, v[10:11], 0x40200000
	s_mov_b64 s[6:7], 0x3c5871a5cf8c9ee1
	v_rcp_f64_e32 v[18:19], v[14:15]
	v_nop
	s_delay_alu instid0(TRANS32_DEP_1) | instskip(NEXT) | instid1(VALU_DEP_1)
	v_fma_f64 v[20:21], -v[14:15], v[18:19], 1.0
	v_fmac_f64_e32 v[18:19], v[18:19], v[20:21]
	s_delay_alu instid0(VALU_DEP_1) | instskip(NEXT) | instid1(VALU_DEP_1)
	v_fma_f64 v[20:21], -v[14:15], v[18:19], 1.0
	v_fmac_f64_e32 v[18:19], v[18:19], v[20:21]
	s_delay_alu instid0(VALU_DEP_1) | instskip(NEXT) | instid1(VALU_DEP_1)
	v_mul_f64_e32 v[20:21], v[24:25], v[18:19]
	v_fma_f64 v[14:15], -v[14:15], v[20:21], v[24:25]
	s_delay_alu instid0(VALU_DEP_1) | instskip(SKIP_1) | instid1(VALU_DEP_2)
	v_div_fmas_f64 v[14:15], v[14:15], v[18:19], v[20:21]
	v_cmp_gt_f64_e32 vcc_lo, 0x10000000, v[10:11]
	v_div_fixup_f64 v[14:15], v[14:15], v[10:11], 0x40200000
	v_cndmask_b32_e64 v7, 0, 0x100, vcc_lo
	s_delay_alu instid0(VALU_DEP_1) | instskip(SKIP_1) | instid1(VALU_DEP_4)
	v_ldexp_f64 v[10:11], v[10:11], v7
	v_cndmask_b32_e64 v7, 0, 0xffffff80, vcc_lo
	v_add_f64_e32 v[14:15], -2.0, v[14:15]
	s_delay_alu instid0(VALU_DEP_3) | instskip(SKIP_1) | instid1(VALU_DEP_2)
	v_rsq_f64_e32 v[24:25], v[10:11]
	v_cmp_class_f64_e64 vcc_lo, v[10:11], 0x260
	v_fmaak_f64 v[18:19], s[6:7], v[14:15], 0xbc72fecc93812603
	s_delay_alu instid0(VALU_DEP_1) | instskip(NEXT) | instid1(TRANS32_DEP_1)
	v_fmaak_f64 v[20:21], v[14:15], v[18:19], 0xbc5871a5cf8c9ee1
	v_mul_f64_e32 v[26:27], v[10:11], v[24:25]
	v_mul_f64_e32 v[24:25], 0.5, v[24:25]
	s_delay_alu instid0(VALU_DEP_3) | instskip(NEXT) | instid1(VALU_DEP_2)
	v_add_f64_e32 v[20:21], 0x3c8e092e41a8cdf4, v[20:21]
	v_fma_f64 v[28:29], -v[24:25], v[26:27], 0.5
	s_delay_alu instid0(VALU_DEP_2) | instskip(NEXT) | instid1(VALU_DEP_2)
	v_fma_f64 v[18:19], v[14:15], v[20:21], -v[18:19]
	v_fmac_f64_e32 v[26:27], v[26:27], v[28:29]
	s_delay_alu instid0(VALU_DEP_2) | instskip(SKIP_1) | instid1(VALU_DEP_3)
	v_add_f64_e32 v[18:19], 0xbca82f9474d77641, v[18:19]
	v_fmac_f64_e32 v[24:25], v[24:25], v[28:29]
	v_fma_f64 v[28:29], -v[26:27], v[26:27], v[10:11]
	s_delay_alu instid0(VALU_DEP_3) | instskip(NEXT) | instid1(VALU_DEP_2)
	v_fma_f64 v[20:21], v[14:15], v[18:19], -v[20:21]
	v_fmac_f64_e32 v[26:27], v[28:29], v[24:25]
	s_delay_alu instid0(VALU_DEP_2) | instskip(NEXT) | instid1(VALU_DEP_1)
	v_add_f64_e32 v[20:21], 0x3cc3dbf96b94785b, v[20:21]
	v_fma_f64 v[18:19], v[14:15], v[20:21], -v[18:19]
	s_delay_alu instid0(VALU_DEP_1) | instskip(NEXT) | instid1(VALU_DEP_1)
	v_add_f64_e32 v[18:19], 0xbce0a690ecfadd36, v[18:19]
	v_fma_f64 v[20:21], v[14:15], v[18:19], -v[20:21]
	s_delay_alu instid0(VALU_DEP_1) | instskip(NEXT) | instid1(VALU_DEP_1)
	;; [unrolled: 3-line block ×19, first 2 shown]
	v_add_f64_e32 v[18:19], 0xbfa019f72d4ff71e, v[18:19]
	v_fma_f64 v[14:15], v[14:15], v[18:19], -v[20:21]
	v_fma_f64 v[18:19], -v[26:27], v[26:27], v[10:11]
	s_delay_alu instid0(VALU_DEP_2) | instskip(NEXT) | instid1(VALU_DEP_2)
	v_add_f64_e32 v[14:15], 0x400385bd9f4e6907, v[14:15]
	v_fmac_f64_e32 v[26:27], v[18:19], v[24:25]
	s_delay_alu instid0(VALU_DEP_2) | instskip(NEXT) | instid1(VALU_DEP_2)
	v_add_f64_e64 v[14:15], v[14:15], -v[20:21]
	v_ldexp_f64 v[18:19], v[26:27], v7
	s_delay_alu instid0(VALU_DEP_2) | instskip(NEXT) | instid1(VALU_DEP_2)
	v_mul_f64_e32 v[14:15], 0.5, v[14:15]
	v_dual_cndmask_b32 v11, v19, v11 :: v_dual_cndmask_b32 v10, v18, v10
	s_delay_alu instid0(VALU_DEP_1) | instskip(NEXT) | instid1(VALU_DEP_1)
	v_div_scale_f64 v[18:19], null, v[10:11], v[10:11], v[14:15]
	v_rcp_f64_e32 v[20:21], v[18:19]
	v_nop
	s_delay_alu instid0(TRANS32_DEP_1) | instskip(NEXT) | instid1(VALU_DEP_1)
	v_fma_f64 v[24:25], -v[18:19], v[20:21], 1.0
	v_fmac_f64_e32 v[20:21], v[20:21], v[24:25]
	s_delay_alu instid0(VALU_DEP_1) | instskip(NEXT) | instid1(VALU_DEP_1)
	v_fma_f64 v[24:25], -v[18:19], v[20:21], 1.0
	v_fmac_f64_e32 v[20:21], v[20:21], v[24:25]
	v_div_scale_f64 v[24:25], vcc_lo, v[14:15], v[10:11], v[14:15]
	s_delay_alu instid0(VALU_DEP_1) | instskip(NEXT) | instid1(VALU_DEP_1)
	v_mul_f64_e32 v[26:27], v[24:25], v[20:21]
	v_fma_f64 v[18:19], -v[18:19], v[26:27], v[24:25]
	s_delay_alu instid0(VALU_DEP_1) | instskip(NEXT) | instid1(VALU_DEP_1)
	v_div_fmas_f64 v[18:19], v[18:19], v[20:21], v[26:27]
	v_div_fixup_f64 v[14:15], v[18:19], v[10:11], v[14:15]
.LBB0_35:
	s_or_b32 exec_lo, exec_lo, s1
.LBB0_36:
	s_delay_alu instid0(SALU_CYCLE_1)
	s_or_b32 exec_lo, exec_lo, s5
.LBB0_37:
	s_delay_alu instid0(SALU_CYCLE_1)
	s_or_b32 exec_lo, exec_lo, s4
.LBB0_38:
	s_delay_alu instid0(SALU_CYCLE_1) | instskip(SKIP_2) | instid1(VALU_DEP_1)
	s_or_b32 exec_lo, exec_lo, s3
	v_add_nc_u32_e32 v7, 0x300, v5
	s_mov_b32 s3, exec_lo
	v_cmpx_lt_i32_e64 v7, v4
	s_cbranch_execnz .LBB0_44
; %bb.39:
	s_or_b32 exec_lo, exec_lo, s3
	s_and_saveexec_b32 s1, s0
	s_delay_alu instid0(SALU_CYCLE_1)
	s_xor_b32 s0, exec_lo, s1
	s_cbranch_execnz .LBB0_53
.LBB0_40:
	s_or_b32 exec_lo, exec_lo, s0
	s_delay_alu instid0(SALU_CYCLE_1)
	s_mov_b32 s0, exec_lo
	v_cmpx_lt_i32_e64 v5, v4
	s_cbranch_execnz .LBB0_54
.LBB0_41:
	s_or_b32 exec_lo, exec_lo, s0
	s_delay_alu instid0(SALU_CYCLE_1)
	s_mov_b32 s0, exec_lo
	v_cmpx_lt_i32_e64 v5, v4
	s_cbranch_execnz .LBB0_55
.LBB0_42:
	s_or_b32 exec_lo, exec_lo, s0
	s_delay_alu instid0(SALU_CYCLE_1)
	s_mov_b32 s0, exec_lo
	v_cmpx_lt_i32_e64 v5, v4
	s_cbranch_execnz .LBB0_56
.LBB0_43:
	s_or_b32 exec_lo, exec_lo, s0
	s_wait_loadcnt_dscnt 0x0
	s_set_pc_i64 s[30:31]
.LBB0_44:
	v_mov_b64_e32 v[12:13], 0x7ff0000000000000
	s_mov_b32 s4, exec_lo
	s_wait_loadcnt_dscnt 0x0
	v_cmpx_neq_f64_e32 0, v[8:9]
	s_cbranch_execz .LBB0_52
; %bb.45:
	v_mov_b64_e32 v[12:13], 0x7ff8000000000000
	s_mov_b32 s5, exec_lo
	v_cmpx_ngt_f64_e32 0, v[8:9]
	s_cbranch_execz .LBB0_51
; %bb.46:
	s_mov_b32 s1, exec_lo
	v_cmpx_ge_f64_e32 2.0, v[8:9]
	s_xor_b32 s6, exec_lo, s1
                                        ; implicit-def: $vgpr12_vgpr13
	s_cbranch_execz .LBB0_48
; %bb.47:
	v_fma_f64 v[10:11], v[8:9], 0.5, -2.0
	s_mov_b64 s[8:9], 0xbc545cb72134d0ef
	v_mul_f64_e32 v[20:21], 0.5, v[8:9]
	s_delay_alu instid0(VALU_DEP_2) | instskip(SKIP_1) | instid1(VALU_DEP_2)
	v_fmaak_f64 v[12:13], s[8:9], v[10:11], 0x3c833362977da589
	s_mov_b64 s[8:9], 0x3fe5555555555555
	v_frexp_mant_f64_e32 v[24:25], v[20:21]
	v_cmp_neq_f64_e64 s1, 0, v[20:21]
	s_delay_alu instid0(VALU_DEP_3) | instskip(NEXT) | instid1(VALU_DEP_1)
	v_fmaak_f64 v[18:19], v[10:11], v[12:13], 0x3c545cb72134d0ef
	v_add_f64_e32 v[18:19], 0xbcb184eb721ebbb4, v[18:19]
	s_delay_alu instid0(VALU_DEP_4) | instskip(SKIP_1) | instid1(VALU_DEP_2)
	v_cmp_gt_f64_e32 vcc_lo, s[8:9], v[24:25]
	s_mov_b64 s[8:9], 0x3fc3ab76bf559e2b
	v_fma_f64 v[12:13], v[10:11], v[18:19], -v[12:13]
	v_cndmask_b32_e64 v7, 0, 1, vcc_lo
	s_delay_alu instid0(VALU_DEP_1) | instskip(SKIP_1) | instid1(VALU_DEP_4)
	v_ldexp_f64 v[24:25], v[24:25], v7
	v_frexp_exp_i32_f64_e32 v7, v[20:21]
	v_add_f64_e32 v[12:13], 0x3cdee6d893f65eba, v[12:13]
	s_delay_alu instid0(VALU_DEP_3) | instskip(SKIP_1) | instid1(VALU_DEP_4)
	v_add_f64_e32 v[26:27], 1.0, v[24:25]
	v_add_f64_e32 v[32:33], -1.0, v[24:25]
	v_subrev_co_ci_u32_e64 v7, null, 0, v7, vcc_lo
	v_cmp_neq_f64_e32 vcc_lo, 0x7ff00000, v[20:21]
	v_fma_f64 v[18:19], v[10:11], v[12:13], -v[18:19]
	v_rcp_f64_e32 v[28:29], v[26:27]
	v_add_f64_e32 v[34:35], -1.0, v[26:27]
	s_delay_alu instid0(VALU_DEP_2) | instskip(NEXT) | instid1(VALU_DEP_2)
	v_add_f64_e32 v[18:19], 0xbd0a5022c297fbeb, v[18:19]
	v_add_f64_e64 v[24:25], v[24:25], -v[34:35]
	s_delay_alu instid0(TRANS32_DEP_1) | instskip(NEXT) | instid1(VALU_DEP_3)
	v_fma_f64 v[30:31], -v[26:27], v[28:29], 1.0
	v_fma_f64 v[12:13], v[10:11], v[18:19], -v[12:13]
	s_delay_alu instid0(VALU_DEP_2) | instskip(NEXT) | instid1(VALU_DEP_2)
	v_fmac_f64_e32 v[28:29], v[30:31], v[28:29]
	v_add_f64_e32 v[12:13], 0x3d359b464b262627, v[12:13]
	s_delay_alu instid0(VALU_DEP_2) | instskip(NEXT) | instid1(VALU_DEP_2)
	v_fma_f64 v[30:31], -v[26:27], v[28:29], 1.0
	v_fma_f64 v[18:19], v[10:11], v[12:13], -v[18:19]
	s_delay_alu instid0(VALU_DEP_2) | instskip(NEXT) | instid1(VALU_DEP_2)
	v_fmac_f64_e32 v[28:29], v[30:31], v[28:29]
	v_add_f64_e32 v[18:19], 0xbd61164c62ee1af0, v[18:19]
	s_delay_alu instid0(VALU_DEP_2) | instskip(NEXT) | instid1(VALU_DEP_2)
	v_mul_f64_e32 v[30:31], v[32:33], v[28:29]
	v_fma_f64 v[12:13], v[10:11], v[18:19], -v[12:13]
	s_delay_alu instid0(VALU_DEP_2) | instskip(NEXT) | instid1(VALU_DEP_2)
	v_mul_f64_e32 v[36:37], v[26:27], v[30:31]
	v_add_f64_e32 v[12:13], 0x3d89fe2fe19bd324, v[12:13]
	s_delay_alu instid0(VALU_DEP_2) | instskip(NEXT) | instid1(VALU_DEP_2)
	v_fma_f64 v[26:27], v[30:31], v[26:27], -v[36:37]
	v_fma_f64 v[18:19], v[10:11], v[12:13], -v[18:19]
	s_delay_alu instid0(VALU_DEP_2) | instskip(NEXT) | instid1(VALU_DEP_2)
	v_fmac_f64_e32 v[26:27], v[30:31], v[24:25]
	v_add_f64_e32 v[18:19], 0xbdb2fc957a946abc, v[18:19]
	s_delay_alu instid0(VALU_DEP_2) | instskip(NEXT) | instid1(VALU_DEP_2)
	v_add_f64_e32 v[24:25], v[36:37], v[26:27]
	v_fma_f64 v[12:13], v[10:11], v[18:19], -v[12:13]
	s_delay_alu instid0(VALU_DEP_2) | instskip(NEXT) | instid1(VALU_DEP_2)
	v_add_f64_e64 v[34:35], v[32:33], -v[24:25]
	v_add_f64_e32 v[12:13], 0x3dda98becc743c10, v[12:13]
	v_add_f64_e64 v[36:37], v[24:25], -v[36:37]
	s_delay_alu instid0(VALU_DEP_3) | instskip(NEXT) | instid1(VALU_DEP_3)
	v_add_f64_e64 v[32:33], v[32:33], -v[34:35]
	v_fma_f64 v[18:19], v[10:11], v[12:13], -v[18:19]
	s_delay_alu instid0(VALU_DEP_3) | instskip(SKIP_1) | instid1(VALU_DEP_4)
	v_add_f64_e64 v[26:27], v[36:37], -v[26:27]
	v_cvt_f64_i32_e32 v[36:37], v7
	v_add_f64_e64 v[24:25], v[32:33], -v[24:25]
	s_delay_alu instid0(VALU_DEP_4) | instskip(NEXT) | instid1(VALU_DEP_3)
	v_add_f64_e32 v[18:19], 0xbe01d4fe13ae9556, v[18:19]
	v_mul_f64_e32 v[38:39], 0x3fe62e42fefa39ef, v[36:37]
	s_delay_alu instid0(VALU_DEP_3) | instskip(NEXT) | instid1(VALU_DEP_3)
	v_add_f64_e32 v[24:25], v[26:27], v[24:25]
	v_fma_f64 v[12:13], v[10:11], v[18:19], -v[12:13]
	s_delay_alu instid0(VALU_DEP_2) | instskip(NEXT) | instid1(VALU_DEP_2)
	v_add_f64_e32 v[24:25], v[34:35], v[24:25]
	v_add_f64_e32 v[12:13], 0x3e26d903a454cb34, v[12:13]
	s_delay_alu instid0(VALU_DEP_2) | instskip(NEXT) | instid1(VALU_DEP_2)
	v_mul_f64_e32 v[24:25], v[28:29], v[24:25]
	v_fma_f64 v[18:19], v[10:11], v[12:13], -v[18:19]
	s_delay_alu instid0(VALU_DEP_2) | instskip(NEXT) | instid1(VALU_DEP_2)
	v_add_f64_e32 v[26:27], v[30:31], v[24:25]
	v_add_f64_e32 v[18:19], 0xbe4beaf68c0b30ab, v[18:19]
	s_delay_alu instid0(VALU_DEP_2) | instskip(NEXT) | instid1(VALU_DEP_2)
	v_mul_f64_e32 v[28:29], v[26:27], v[26:27]
	v_fma_f64 v[12:13], v[10:11], v[18:19], -v[12:13]
	s_delay_alu instid0(VALU_DEP_2) | instskip(NEXT) | instid1(VALU_DEP_2)
	v_fmaak_f64 v[32:33], s[8:9], v[28:29], 0x3fc385386b47b09a
	v_add_f64_e32 v[12:13], 0x3e703b769d4d6435, v[12:13]
	v_mul_f64_e32 v[34:35], v[26:27], v[28:29]
	s_mov_b64 s[8:9], 0x3ca3cee1e6a7fd77
	s_delay_alu instid0(VALU_DEP_3) | instskip(NEXT) | instid1(VALU_DEP_1)
	v_fmaak_f64 v[32:33], v[28:29], v[32:33], 0x3fc7474dd7f4df2e
	v_fmaak_f64 v[32:33], v[28:29], v[32:33], 0x3fcc71c016291751
	s_delay_alu instid0(VALU_DEP_1) | instskip(NEXT) | instid1(VALU_DEP_1)
	v_fmaak_f64 v[32:33], v[28:29], v[32:33], 0x3fd249249b27acf1
	v_fmaak_f64 v[32:33], v[28:29], v[32:33], 0x3fd99999998ef7b6
	v_fma_f64 v[18:19], v[10:11], v[12:13], -v[18:19]
	s_delay_alu instid0(VALU_DEP_2) | instskip(SKIP_2) | instid1(VALU_DEP_3)
	v_fmaak_f64 v[28:29], v[28:29], v[32:33], 0x3fe5555555555780
	v_ldexp_f64 v[32:33], v[26:27], 1
	v_add_f64_e64 v[26:27], v[26:27], -v[30:31]
	v_mul_f64_e32 v[28:29], v[34:35], v[28:29]
	v_fma_f64 v[34:35], v[8:9], v[8:9], -2.0
	v_add_f64_e32 v[18:19], 0xbe91ec638f227f8d, v[18:19]
	s_delay_alu instid0(VALU_DEP_4) | instskip(NEXT) | instid1(VALU_DEP_4)
	v_add_f64_e64 v[24:25], v[24:25], -v[26:27]
	v_add_f64_e32 v[30:31], v[32:33], v[28:29]
	s_delay_alu instid0(VALU_DEP_3) | instskip(NEXT) | instid1(VALU_DEP_3)
	v_fma_f64 v[12:13], v[10:11], v[18:19], -v[12:13]
	v_ldexp_f64 v[24:25], v[24:25], 1
	s_delay_alu instid0(VALU_DEP_3) | instskip(SKIP_2) | instid1(VALU_DEP_1)
	v_add_f64_e64 v[26:27], v[30:31], -v[32:33]
	v_fmaak_f64 v[32:33], s[8:9], v[34:35], 0x3d27fb0ac384c2aa
	s_mov_b64 s[8:9], 0x3fe62e42fefa39ef
	v_fmaak_f64 v[48:49], v[34:35], v[32:33], 0xbca3cee1e6a7fd77
	v_add_f64_e32 v[12:13], 0x3eb2bf24978cf4ac, v[12:13]
	s_delay_alu instid0(VALU_DEP_4) | instskip(NEXT) | instid1(VALU_DEP_3)
	v_add_f64_e64 v[26:27], v[28:29], -v[26:27]
	v_add_f64_e32 v[28:29], 0x3da6c25c47512144, v[48:49]
	v_fma_f64 v[48:49], v[36:37], s[8:9], -v[38:39]
	s_mov_b64 s[8:9], 0x3e5ade156a5dcb37
	s_delay_alu instid0(VALU_DEP_4) | instskip(NEXT) | instid1(VALU_DEP_4)
	v_fma_f64 v[18:19], v[10:11], v[12:13], -v[18:19]
	v_add_f64_e32 v[24:25], v[24:25], v[26:27]
	s_delay_alu instid0(VALU_DEP_4) | instskip(NEXT) | instid1(VALU_DEP_4)
	v_fma_f64 v[26:27], v[34:35], v[28:29], -v[32:33]
	v_fmamk_f64 v[32:33], v[36:37], 0x3c7abc9e3b39803f, v[48:49]
	s_delay_alu instid0(VALU_DEP_1) | instskip(SKIP_3) | instid1(VALU_DEP_4)
	v_add_f64_e32 v[48:49], v[38:39], v[32:33]
	v_add_f64_e32 v[18:19], 0xbed2866fcba56427, v[18:19]
	;; [unrolled: 1-line block ×4, first 2 shown]
	v_add_f64_e64 v[38:39], v[48:49], -v[38:39]
	s_delay_alu instid0(VALU_DEP_4) | instskip(NEXT) | instid1(VALU_DEP_4)
	v_fma_f64 v[12:13], v[10:11], v[18:19], -v[12:13]
	v_add_f64_e32 v[50:51], v[48:49], v[36:37]
	s_delay_alu instid0(VALU_DEP_4) | instskip(SKIP_1) | instid1(VALU_DEP_4)
	v_fma_f64 v[28:29], v[34:35], v[26:27], -v[28:29]
	v_add_f64_e64 v[30:31], v[36:37], -v[30:31]
	v_add_f64_e32 v[12:13], 0x3ef13f58be9a2859, v[12:13]
	s_delay_alu instid0(VALU_DEP_4) | instskip(NEXT) | instid1(VALU_DEP_4)
	v_add_f64_e64 v[52:53], v[50:51], -v[48:49]
	v_add_f64_e32 v[28:29], 0x3e9102bce7f95efc, v[28:29]
	s_delay_alu instid0(VALU_DEP_4)
	v_add_f64_e64 v[24:25], v[24:25], -v[30:31]
	v_add_f64_e64 v[30:31], v[32:33], -v[38:39]
	v_mul_f64_e32 v[38:39], 0x3ff71547652b82fe, v[8:9]
	v_fma_f64 v[18:19], v[10:11], v[12:13], -v[18:19]
	v_add_f64_e64 v[54:55], v[50:51], -v[52:53]
	v_fma_f64 v[26:27], v[34:35], v[28:29], -v[26:27]
	v_add_f64_e64 v[36:37], v[36:37], -v[52:53]
	s_delay_alu instid0(VALU_DEP_4) | instskip(NEXT) | instid1(VALU_DEP_4)
	v_add_f64_e32 v[18:19], 0xbf0e2b2659c41d5a, v[18:19]
	v_add_f64_e64 v[32:33], v[48:49], -v[54:55]
	s_delay_alu instid0(VALU_DEP_4) | instskip(SKIP_1) | instid1(VALU_DEP_4)
	v_add_f64_e32 v[26:27], 0x3ef7f900fe8cfca0, v[26:27]
	v_add_f64_e32 v[48:49], v[30:31], v[24:25]
	v_fma_f64 v[12:13], v[10:11], v[18:19], -v[12:13]
	s_delay_alu instid0(VALU_DEP_4) | instskip(NEXT) | instid1(VALU_DEP_4)
	v_add_f64_e32 v[32:33], v[36:37], v[32:33]
	v_fma_f64 v[28:29], v[34:35], v[26:27], -v[28:29]
	v_rndne_f64_e32 v[36:37], v[38:39]
	v_add_f64_e64 v[38:39], v[48:49], -v[30:31]
	v_add_f64_e32 v[12:13], 0x3f28b51b74107cab, v[12:13]
	v_add_f64_e32 v[32:33], v[48:49], v[32:33]
	;; [unrolled: 1-line block ×3, first 2 shown]
	v_fmamk_f64 v[8:9], v[36:37], 0xbfe62e42fefa39ef, v[8:9]
	v_add_f64_e64 v[48:49], v[48:49], -v[38:39]
	v_add_f64_e64 v[24:25], v[24:25], -v[38:39]
	v_cvt_i32_f64_e32 v7, v[36:37]
	s_delay_alu instid0(VALU_DEP_4) | instskip(NEXT) | instid1(VALU_DEP_1)
	v_fmamk_f64 v[8:9], v[36:37], 0xbc7abc9e3b39803f, v[8:9]
	v_fmaak_f64 v[54:55], s[8:9], v[8:9], 0x3e928af3fca7ab0c
	s_delay_alu instid0(VALU_DEP_1) | instskip(SKIP_1) | instid1(VALU_DEP_2)
	v_fmaak_f64 v[54:55], v[8:9], v[54:55], 0x3ec71dee623fde64
	v_fma_f64 v[18:19], v[10:11], v[12:13], -v[18:19]
	v_fmaak_f64 v[54:55], v[8:9], v[54:55], 0x3efa01997c89e6b0
	v_add_f64_e32 v[52:53], v[50:51], v[32:33]
	v_fma_f64 v[26:27], v[34:35], v[28:29], -v[26:27]
	v_add_f64_e64 v[30:31], v[30:31], -v[48:49]
	s_delay_alu instid0(VALU_DEP_4) | instskip(NEXT) | instid1(VALU_DEP_1)
	v_fmaak_f64 v[54:55], v[8:9], v[54:55], 0x3f2a01a014761f6e
	v_fmaak_f64 v[48:49], v[8:9], v[54:55], 0x3f56c16c1852b7b0
	v_add_f64_e32 v[18:19], 0xbf42e2fd1f15eb52, v[18:19]
	v_add_f64_e64 v[38:39], v[52:53], -v[50:51]
	v_add_f64_e32 v[26:27], 0x3fa26bf6554a9085, v[26:27]
	v_add_f64_e32 v[24:25], v[24:25], v[30:31]
	s_delay_alu instid0(VALU_DEP_4) | instskip(NEXT) | instid1(VALU_DEP_4)
	v_fma_f64 v[12:13], v[10:11], v[18:19], -v[12:13]
	v_add_f64_e64 v[30:31], v[32:33], -v[38:39]
	s_delay_alu instid0(VALU_DEP_4) | instskip(NEXT) | instid1(VALU_DEP_3)
	v_fma_f64 v[28:29], v[34:35], v[26:27], -v[28:29]
	v_add_f64_e32 v[12:13], 0x3f5adc758a12100e, v[12:13]
	s_delay_alu instid0(VALU_DEP_3) | instskip(NEXT) | instid1(VALU_DEP_3)
	v_add_f64_e32 v[24:25], v[24:25], v[30:31]
	v_add_f64_e32 v[28:29], 0x3fd608d881213db9, v[28:29]
	s_delay_alu instid0(VALU_DEP_3) | instskip(NEXT) | instid1(VALU_DEP_1)
	v_fma_f64 v[18:19], v[10:11], v[12:13], -v[18:19]
	v_add_f64_e32 v[18:19], 0xbf71b65e201aa849, v[18:19]
	s_delay_alu instid0(VALU_DEP_1) | instskip(NEXT) | instid1(VALU_DEP_1)
	v_fma_f64 v[12:13], v[10:11], v[18:19], -v[12:13]
	v_add_f64_e32 v[12:13], 0x3f859961f3dde3dd, v[12:13]
	s_delay_alu instid0(VALU_DEP_1) | instskip(NEXT) | instid1(VALU_DEP_1)
	;; [unrolled: 3-line block ×6, first 2 shown]
	v_fma_f64 v[18:19], v[10:11], v[12:13], -v[18:19]
	v_add_f64_e32 v[18:19], 0xbfd37febc057cd8d, v[18:19]
	s_delay_alu instid0(VALU_DEP_1) | instskip(SKIP_1) | instid1(VALU_DEP_1)
	v_fma_f64 v[10:11], v[10:11], v[18:19], -v[12:13]
	v_fmaak_f64 v[18:19], v[8:9], v[48:49], 0x3f81111111122322
	v_fmaak_f64 v[18:19], v[8:9], v[18:19], 0x3fa55555555502a1
	s_delay_alu instid0(VALU_DEP_1) | instskip(NEXT) | instid1(VALU_DEP_1)
	v_fmaak_f64 v[18:19], v[8:9], v[18:19], 0x3fc5555555555511
	v_fmaak_f64 v[18:19], v[8:9], v[18:19], 0x3fe000000000000b
	s_delay_alu instid0(VALU_DEP_1) | instskip(SKIP_1) | instid1(VALU_DEP_2)
	v_fma_f64 v[18:19], v[8:9], v[18:19], 1.0
	v_add_f64_e32 v[10:11], 0x3fe5a84e9035a22a, v[10:11]
	v_fma_f64 v[8:9], v[8:9], v[18:19], 1.0
	v_fma_f64 v[18:19], v[34:35], v[28:29], -v[26:27]
	s_delay_alu instid0(VALU_DEP_3) | instskip(SKIP_1) | instid1(VALU_DEP_4)
	v_add_f64_e64 v[10:11], v[10:11], -v[12:13]
	v_add_f64_e32 v[12:13], v[52:53], v[24:25]
	v_ldexp_f64 v[8:9], v[8:9], v7
	s_delay_alu instid0(VALU_DEP_4) | instskip(NEXT) | instid1(VALU_DEP_4)
	v_add_f64_e32 v[18:19], 0xbfe12166e9d2f61f, v[18:19]
	v_mul_f64_e32 v[10:11], 0.5, v[10:11]
	s_delay_alu instid0(VALU_DEP_4) | instskip(SKIP_2) | instid1(VALU_DEP_2)
	v_cndmask_b32_e32 v7, 0x7ff00000, v13, vcc_lo
	s_and_b32 vcc_lo, s1, vcc_lo
	v_cndmask_b32_e32 v12, 0, v12, vcc_lo
	v_cndmask_b32_e64 v13, 0xfff00000, v7, s1
	v_add_f64_e64 v[18:19], v[18:19], -v[26:27]
	v_mul_f64_e32 v[10:11], v[8:9], v[10:11]
	s_delay_alu instid0(VALU_DEP_1) | instskip(NEXT) | instid1(VALU_DEP_1)
	v_mul_f64_e32 v[10:11], v[12:13], v[10:11]
	v_fma_f64 v[10:11], v[18:19], 0.5, -v[10:11]
	s_delay_alu instid0(VALU_DEP_1)
	v_mul_f64_e32 v[12:13], v[8:9], v[10:11]
                                        ; implicit-def: $vgpr8_vgpr9
.LBB0_48:
	s_and_not1_saveexec_b32 s1, s6
	s_cbranch_execz .LBB0_50
; %bb.49:
	v_div_scale_f64 v[10:11], null, v[8:9], v[8:9], 0x40200000
	v_div_scale_f64 v[20:21], vcc_lo, 0x40200000, v[8:9], 0x40200000
	s_mov_b64 s[6:7], 0x3c5871a5cf8c9ee1
	v_rcp_f64_e32 v[12:13], v[10:11]
	v_nop
	s_delay_alu instid0(TRANS32_DEP_1) | instskip(NEXT) | instid1(VALU_DEP_1)
	v_fma_f64 v[18:19], -v[10:11], v[12:13], 1.0
	v_fmac_f64_e32 v[12:13], v[12:13], v[18:19]
	s_delay_alu instid0(VALU_DEP_1) | instskip(NEXT) | instid1(VALU_DEP_1)
	v_fma_f64 v[18:19], -v[10:11], v[12:13], 1.0
	v_fmac_f64_e32 v[12:13], v[12:13], v[18:19]
	s_delay_alu instid0(VALU_DEP_1) | instskip(NEXT) | instid1(VALU_DEP_1)
	v_mul_f64_e32 v[18:19], v[20:21], v[12:13]
	v_fma_f64 v[10:11], -v[10:11], v[18:19], v[20:21]
	s_delay_alu instid0(VALU_DEP_1) | instskip(SKIP_1) | instid1(VALU_DEP_2)
	v_div_fmas_f64 v[10:11], v[10:11], v[12:13], v[18:19]
	v_cmp_gt_f64_e32 vcc_lo, 0x10000000, v[8:9]
	v_div_fixup_f64 v[10:11], v[10:11], v[8:9], 0x40200000
	v_cndmask_b32_e64 v7, 0, 0x100, vcc_lo
	s_delay_alu instid0(VALU_DEP_1) | instskip(SKIP_1) | instid1(VALU_DEP_2)
	v_ldexp_f64 v[8:9], v[8:9], v7
	v_cndmask_b32_e64 v7, 0, 0xffffff80, vcc_lo
	v_cmp_class_f64_e64 vcc_lo, v[8:9], 0x260
	v_add_f64_e32 v[10:11], -2.0, v[10:11]
	v_rsq_f64_e32 v[20:21], v[8:9]
	s_delay_alu instid0(VALU_DEP_1) | instskip(NEXT) | instid1(TRANS32_DEP_1)
	v_fmaak_f64 v[12:13], s[6:7], v[10:11], 0xbc72fecc93812603
	v_mul_f64_e32 v[24:25], v[8:9], v[20:21]
	s_delay_alu instid0(VALU_DEP_2) | instskip(SKIP_1) | instid1(VALU_DEP_2)
	v_fmaak_f64 v[18:19], v[10:11], v[12:13], 0xbc5871a5cf8c9ee1
	v_mul_f64_e32 v[20:21], 0.5, v[20:21]
	v_add_f64_e32 v[18:19], 0x3c8e092e41a8cdf4, v[18:19]
	s_delay_alu instid0(VALU_DEP_2) | instskip(NEXT) | instid1(VALU_DEP_2)
	v_fma_f64 v[26:27], -v[20:21], v[24:25], 0.5
	v_fma_f64 v[12:13], v[10:11], v[18:19], -v[12:13]
	s_delay_alu instid0(VALU_DEP_2) | instskip(SKIP_1) | instid1(VALU_DEP_3)
	v_fmac_f64_e32 v[24:25], v[24:25], v[26:27]
	v_fmac_f64_e32 v[20:21], v[20:21], v[26:27]
	v_add_f64_e32 v[12:13], 0xbca82f9474d77641, v[12:13]
	s_delay_alu instid0(VALU_DEP_3) | instskip(NEXT) | instid1(VALU_DEP_2)
	v_fma_f64 v[26:27], -v[24:25], v[24:25], v[8:9]
	v_fma_f64 v[18:19], v[10:11], v[12:13], -v[18:19]
	s_delay_alu instid0(VALU_DEP_2) | instskip(NEXT) | instid1(VALU_DEP_2)
	v_fmac_f64_e32 v[24:25], v[26:27], v[20:21]
	v_add_f64_e32 v[18:19], 0x3cc3dbf96b94785b, v[18:19]
	s_delay_alu instid0(VALU_DEP_1) | instskip(NEXT) | instid1(VALU_DEP_1)
	v_fma_f64 v[12:13], v[10:11], v[18:19], -v[12:13]
	v_add_f64_e32 v[12:13], 0xbce0a690ecfadd36, v[12:13]
	s_delay_alu instid0(VALU_DEP_1) | instskip(NEXT) | instid1(VALU_DEP_1)
	v_fma_f64 v[18:19], v[10:11], v[12:13], -v[18:19]
	;; [unrolled: 3-line block ×19, first 2 shown]
	v_add_f64_e32 v[12:13], 0xbfa019f72d4ff71e, v[12:13]
	s_delay_alu instid0(VALU_DEP_1) | instskip(SKIP_1) | instid1(VALU_DEP_2)
	v_fma_f64 v[10:11], v[10:11], v[12:13], -v[18:19]
	v_fma_f64 v[12:13], -v[24:25], v[24:25], v[8:9]
	v_add_f64_e32 v[10:11], 0x400385bd9f4e6907, v[10:11]
	s_delay_alu instid0(VALU_DEP_2) | instskip(NEXT) | instid1(VALU_DEP_2)
	v_fmac_f64_e32 v[24:25], v[12:13], v[20:21]
	v_add_f64_e64 v[10:11], v[10:11], -v[18:19]
	s_delay_alu instid0(VALU_DEP_2) | instskip(NEXT) | instid1(VALU_DEP_1)
	v_ldexp_f64 v[12:13], v[24:25], v7
	v_dual_mul_f64 v[10:11], 0.5, v[10:11] :: v_dual_cndmask_b32 v9, v13, v9, vcc_lo
	s_delay_alu instid0(VALU_DEP_2) | instskip(NEXT) | instid1(VALU_DEP_1)
	v_cndmask_b32_e32 v8, v12, v8, vcc_lo
	v_div_scale_f64 v[12:13], null, v[8:9], v[8:9], v[10:11]
	s_delay_alu instid0(VALU_DEP_1) | instskip(SKIP_1) | instid1(TRANS32_DEP_1)
	v_rcp_f64_e32 v[18:19], v[12:13]
	v_nop
	v_fma_f64 v[20:21], -v[12:13], v[18:19], 1.0
	s_delay_alu instid0(VALU_DEP_1) | instskip(NEXT) | instid1(VALU_DEP_1)
	v_fmac_f64_e32 v[18:19], v[18:19], v[20:21]
	v_fma_f64 v[20:21], -v[12:13], v[18:19], 1.0
	s_delay_alu instid0(VALU_DEP_1) | instskip(SKIP_1) | instid1(VALU_DEP_1)
	v_fmac_f64_e32 v[18:19], v[18:19], v[20:21]
	v_div_scale_f64 v[20:21], vcc_lo, v[10:11], v[8:9], v[10:11]
	v_mul_f64_e32 v[24:25], v[20:21], v[18:19]
	s_delay_alu instid0(VALU_DEP_1) | instskip(NEXT) | instid1(VALU_DEP_1)
	v_fma_f64 v[12:13], -v[12:13], v[24:25], v[20:21]
	v_div_fmas_f64 v[12:13], v[12:13], v[18:19], v[24:25]
	s_delay_alu instid0(VALU_DEP_1)
	v_div_fixup_f64 v[12:13], v[12:13], v[8:9], v[10:11]
.LBB0_50:
	s_or_b32 exec_lo, exec_lo, s1
.LBB0_51:
	s_delay_alu instid0(SALU_CYCLE_1)
	s_or_b32 exec_lo, exec_lo, s5
.LBB0_52:
	s_delay_alu instid0(SALU_CYCLE_1) | instskip(NEXT) | instid1(SALU_CYCLE_1)
	s_or_b32 exec_lo, exec_lo, s4
	s_or_b32 exec_lo, exec_lo, s3
	s_and_saveexec_b32 s1, s0
	s_delay_alu instid0(SALU_CYCLE_1)
	s_xor_b32 s0, exec_lo, s1
	s_cbranch_execz .LBB0_40
.LBB0_53:
	v_dual_mov_b32 v7, 0 :: v_dual_mov_b32 v5, v22
	s_delay_alu instid0(VALU_DEP_1) | instskip(SKIP_3) | instid1(SALU_CYCLE_1)
	v_lshl_add_u64 v[6:7], v[6:7], 3, v[0:1]
	flat_store_b64 v[6:7], v[2:3]
	s_wait_xcnt 0x0
	s_or_b32 exec_lo, exec_lo, s0
	s_mov_b32 s0, exec_lo
	v_cmpx_lt_i32_e64 v5, v4
	s_cbranch_execz .LBB0_41
.LBB0_54:
	v_dual_mov_b32 v3, 0 :: v_dual_add_nc_u32 v2, s2, v5
	v_add_nc_u32_e32 v5, 0x100, v5
	s_delay_alu instid0(VALU_DEP_2) | instskip(SKIP_3) | instid1(SALU_CYCLE_1)
	v_lshl_add_u64 v[2:3], v[2:3], 3, v[0:1]
	flat_store_b64 v[2:3], v[16:17]
	s_wait_xcnt 0x0
	s_or_b32 exec_lo, exec_lo, s0
	s_mov_b32 s0, exec_lo
	v_cmpx_lt_i32_e64 v5, v4
	s_cbranch_execz .LBB0_42
.LBB0_55:
	v_dual_mov_b32 v3, 0 :: v_dual_add_nc_u32 v2, s2, v5
	v_add_nc_u32_e32 v5, 0x100, v5
	s_delay_alu instid0(VALU_DEP_2) | instskip(SKIP_3) | instid1(SALU_CYCLE_1)
	v_lshl_add_u64 v[2:3], v[2:3], 3, v[0:1]
	flat_store_b64 v[2:3], v[14:15]
	s_wait_xcnt 0x0
	s_or_b32 exec_lo, exec_lo, s0
	s_mov_b32 s0, exec_lo
	v_cmpx_lt_i32_e64 v5, v4
	s_cbranch_execz .LBB0_43
.LBB0_56:
	v_dual_mov_b32 v3, 0 :: v_dual_add_nc_u32 v2, s2, v5
	s_delay_alu instid0(VALU_DEP_1)
	v_lshl_add_u64 v[0:1], v[2:3], 3, v[0:1]
	flat_store_b64 v[0:1], v[12:13]
	s_wait_xcnt 0x0
	s_or_b32 exec_lo, exec_lo, s0
	s_wait_loadcnt_dscnt 0x0
	s_set_pc_i64 s[30:31]
.Lfunc_end0:
	.size	_ZN2at6native25elementwise_kernel_helperILb0EZZZNS0_12_GLOBAL__N_137scaled_modified_bessel_k0_kernel_cudaERNS_18TensorIteratorBaseEENKUlvE_clEvENKUlvE_clEvEUldE_NS0_6memory8policies11unroll_baseILi256ESt5arrayIPcLm2EE23TrivialOffsetCalculatorILi1EjESF_NS8_15LoadWithoutCastENS8_16StoreWithoutCastELi4ELi1EEEEEvT0_T1_, .Lfunc_end0-_ZN2at6native25elementwise_kernel_helperILb0EZZZNS0_12_GLOBAL__N_137scaled_modified_bessel_k0_kernel_cudaERNS_18TensorIteratorBaseEENKUlvE_clEvENKUlvE_clEvEUldE_NS0_6memory8policies11unroll_baseILi256ESt5arrayIPcLm2EE23TrivialOffsetCalculatorILi1EjESF_NS8_15LoadWithoutCastENS8_16StoreWithoutCastELi4ELi1EEEEEvT0_T1_
                                        ; -- End function
	.set .L_ZN2at6native25elementwise_kernel_helperILb0EZZZNS0_12_GLOBAL__N_137scaled_modified_bessel_k0_kernel_cudaERNS_18TensorIteratorBaseEENKUlvE_clEvENKUlvE_clEvEUldE_NS0_6memory8policies11unroll_baseILi256ESt5arrayIPcLm2EE23TrivialOffsetCalculatorILi1EjESF_NS8_15LoadWithoutCastENS8_16StoreWithoutCastELi4ELi1EEEEEvT0_T1_.num_vgpr, 68
	.set .L_ZN2at6native25elementwise_kernel_helperILb0EZZZNS0_12_GLOBAL__N_137scaled_modified_bessel_k0_kernel_cudaERNS_18TensorIteratorBaseEENKUlvE_clEvENKUlvE_clEvEUldE_NS0_6memory8policies11unroll_baseILi256ESt5arrayIPcLm2EE23TrivialOffsetCalculatorILi1EjESF_NS8_15LoadWithoutCastENS8_16StoreWithoutCastELi4ELi1EEEEEvT0_T1_.num_agpr, 0
	.set .L_ZN2at6native25elementwise_kernel_helperILb0EZZZNS0_12_GLOBAL__N_137scaled_modified_bessel_k0_kernel_cudaERNS_18TensorIteratorBaseEENKUlvE_clEvENKUlvE_clEvEUldE_NS0_6memory8policies11unroll_baseILi256ESt5arrayIPcLm2EE23TrivialOffsetCalculatorILi1EjESF_NS8_15LoadWithoutCastENS8_16StoreWithoutCastELi4ELi1EEEEEvT0_T1_.numbered_sgpr, 32
	.set .L_ZN2at6native25elementwise_kernel_helperILb0EZZZNS0_12_GLOBAL__N_137scaled_modified_bessel_k0_kernel_cudaERNS_18TensorIteratorBaseEENKUlvE_clEvENKUlvE_clEvEUldE_NS0_6memory8policies11unroll_baseILi256ESt5arrayIPcLm2EE23TrivialOffsetCalculatorILi1EjESF_NS8_15LoadWithoutCastENS8_16StoreWithoutCastELi4ELi1EEEEEvT0_T1_.num_named_barrier, 0
	.set .L_ZN2at6native25elementwise_kernel_helperILb0EZZZNS0_12_GLOBAL__N_137scaled_modified_bessel_k0_kernel_cudaERNS_18TensorIteratorBaseEENKUlvE_clEvENKUlvE_clEvEUldE_NS0_6memory8policies11unroll_baseILi256ESt5arrayIPcLm2EE23TrivialOffsetCalculatorILi1EjESF_NS8_15LoadWithoutCastENS8_16StoreWithoutCastELi4ELi1EEEEEvT0_T1_.private_seg_size, 0
	.set .L_ZN2at6native25elementwise_kernel_helperILb0EZZZNS0_12_GLOBAL__N_137scaled_modified_bessel_k0_kernel_cudaERNS_18TensorIteratorBaseEENKUlvE_clEvENKUlvE_clEvEUldE_NS0_6memory8policies11unroll_baseILi256ESt5arrayIPcLm2EE23TrivialOffsetCalculatorILi1EjESF_NS8_15LoadWithoutCastENS8_16StoreWithoutCastELi4ELi1EEEEEvT0_T1_.uses_vcc, 1
	.set .L_ZN2at6native25elementwise_kernel_helperILb0EZZZNS0_12_GLOBAL__N_137scaled_modified_bessel_k0_kernel_cudaERNS_18TensorIteratorBaseEENKUlvE_clEvENKUlvE_clEvEUldE_NS0_6memory8policies11unroll_baseILi256ESt5arrayIPcLm2EE23TrivialOffsetCalculatorILi1EjESF_NS8_15LoadWithoutCastENS8_16StoreWithoutCastELi4ELi1EEEEEvT0_T1_.uses_flat_scratch, 0
	.set .L_ZN2at6native25elementwise_kernel_helperILb0EZZZNS0_12_GLOBAL__N_137scaled_modified_bessel_k0_kernel_cudaERNS_18TensorIteratorBaseEENKUlvE_clEvENKUlvE_clEvEUldE_NS0_6memory8policies11unroll_baseILi256ESt5arrayIPcLm2EE23TrivialOffsetCalculatorILi1EjESF_NS8_15LoadWithoutCastENS8_16StoreWithoutCastELi4ELi1EEEEEvT0_T1_.has_dyn_sized_stack, 0
	.set .L_ZN2at6native25elementwise_kernel_helperILb0EZZZNS0_12_GLOBAL__N_137scaled_modified_bessel_k0_kernel_cudaERNS_18TensorIteratorBaseEENKUlvE_clEvENKUlvE_clEvEUldE_NS0_6memory8policies11unroll_baseILi256ESt5arrayIPcLm2EE23TrivialOffsetCalculatorILi1EjESF_NS8_15LoadWithoutCastENS8_16StoreWithoutCastELi4ELi1EEEEEvT0_T1_.has_recursion, 0
	.set .L_ZN2at6native25elementwise_kernel_helperILb0EZZZNS0_12_GLOBAL__N_137scaled_modified_bessel_k0_kernel_cudaERNS_18TensorIteratorBaseEENKUlvE_clEvENKUlvE_clEvEUldE_NS0_6memory8policies11unroll_baseILi256ESt5arrayIPcLm2EE23TrivialOffsetCalculatorILi1EjESF_NS8_15LoadWithoutCastENS8_16StoreWithoutCastELi4ELi1EEEEEvT0_T1_.has_indirect_call, 0
	.section	.AMDGPU.csdata,"",@progbits
; Function info:
; codeLenInByte = 12424
; TotalNumSgprs: 34
; NumVgprs: 68
; ScratchSize: 0
; MemoryBound: 0
	.text
	.p2align	2                               ; -- Begin function _ZN2at6native25elementwise_kernel_helperILb0EZZZNS0_12_GLOBAL__N_137scaled_modified_bessel_k0_kernel_cudaERNS_18TensorIteratorBaseEENKUlvE_clEvENKUlvE_clEvEUldE_NS0_6memory8policies10vectorizedILi4ESt5arrayIPcLm2EELi4EEEEEvT0_T1_
	.type	_ZN2at6native25elementwise_kernel_helperILb0EZZZNS0_12_GLOBAL__N_137scaled_modified_bessel_k0_kernel_cudaERNS_18TensorIteratorBaseEENKUlvE_clEvENKUlvE_clEvEUldE_NS0_6memory8policies10vectorizedILi4ESt5arrayIPcLm2EELi4EEEEEvT0_T1_,@function
_ZN2at6native25elementwise_kernel_helperILb0EZZZNS0_12_GLOBAL__N_137scaled_modified_bessel_k0_kernel_cudaERNS_18TensorIteratorBaseEENKUlvE_clEvENKUlvE_clEvEUldE_NS0_6memory8policies10vectorizedILi4ESt5arrayIPcLm2EELi4EEEEEvT0_T1_: ; @_ZN2at6native25elementwise_kernel_helperILb0EZZZNS0_12_GLOBAL__N_137scaled_modified_bessel_k0_kernel_cudaERNS_18TensorIteratorBaseEENKUlvE_clEvENKUlvE_clEvEUldE_NS0_6memory8policies10vectorizedILi4ESt5arrayIPcLm2EELi4EEEEEvT0_T1_
; %bb.0:
	s_wait_loadcnt_dscnt 0x0
	s_wait_kmcnt 0x0
	s_bfe_u32 s0, ttmp6, 0x4000c
	s_and_b32 s1, ttmp6, 15
	s_add_co_i32 s0, s0, 1
	s_getreg_b32 s2, hwreg(HW_REG_IB_STS2, 6, 4)
	s_mul_i32 s0, ttmp9, s0
	v_and_b32_e32 v4, 0x3ff, v31
	s_add_co_i32 s1, s1, s0
	s_cmp_eq_u32 s2, 0
	v_mov_b32_e32 v15, 0
	s_cselect_b32 s0, ttmp9, s1
	v_lshlrev_b32_e32 v14, 5, v4
	s_lshl_b32 s2, s0, 10
	v_mov_b64_e32 v[4:5], 0x7ff0000000000000
	s_ashr_i32 s3, s2, 31
	s_mov_b32 s1, exec_lo
	v_lshl_add_u64 v[2:3], s[2:3], 3, v[2:3]
	s_delay_alu instid0(VALU_DEP_1)
	v_add_nc_u64_e32 v[2:3], v[2:3], v[14:15]
	s_clause 0x1
	flat_load_b128 v[10:13], v[2:3]
	flat_load_b128 v[6:9], v[2:3] offset:16
	s_wait_xcnt 0x0
	v_mov_b64_e32 v[2:3], 0x7ff0000000000000
	s_wait_loadcnt_dscnt 0x101
	v_cmpx_neq_f64_e32 0, v[10:11]
	s_cbranch_execz .LBB1_8
; %bb.1:
	v_mov_b64_e32 v[2:3], 0x7ff8000000000000
	s_mov_b32 s4, exec_lo
	v_cmpx_ngt_f64_e32 0, v[10:11]
	s_cbranch_execz .LBB1_7
; %bb.2:
	s_mov_b32 s0, exec_lo
	v_cmpx_ge_f64_e32 2.0, v[10:11]
	s_xor_b32 s5, exec_lo, s0
	s_cbranch_execz .LBB1_4
; %bb.3:
	v_fma_f64 v[2:3], v[10:11], 0.5, -2.0
	s_mov_b64 s[6:7], 0xbc545cb72134d0ef
	v_mul_f64_e32 v[20:21], 0.5, v[10:11]
	s_delay_alu instid0(VALU_DEP_2) | instskip(SKIP_1) | instid1(VALU_DEP_2)
	v_fmaak_f64 v[16:17], s[6:7], v[2:3], 0x3c833362977da589
	s_mov_b64 s[6:7], 0x3fe5555555555555
	v_frexp_mant_f64_e32 v[22:23], v[20:21]
	v_cmp_neq_f64_e64 s0, 0, v[20:21]
	s_delay_alu instid0(VALU_DEP_3) | instskip(NEXT) | instid1(VALU_DEP_1)
	v_fmaak_f64 v[18:19], v[2:3], v[16:17], 0x3c545cb72134d0ef
	v_add_f64_e32 v[18:19], 0xbcb184eb721ebbb4, v[18:19]
	s_delay_alu instid0(VALU_DEP_4) | instskip(SKIP_1) | instid1(VALU_DEP_2)
	v_cmp_gt_f64_e32 vcc_lo, s[6:7], v[22:23]
	s_mov_b64 s[6:7], 0x3fc3ab76bf559e2b
	v_fma_f64 v[16:17], v[2:3], v[18:19], -v[16:17]
	v_cndmask_b32_e64 v15, 0, 1, vcc_lo
	s_delay_alu instid0(VALU_DEP_1) | instskip(SKIP_1) | instid1(VALU_DEP_4)
	v_ldexp_f64 v[22:23], v[22:23], v15
	v_frexp_exp_i32_f64_e32 v15, v[20:21]
	v_add_f64_e32 v[16:17], 0x3cdee6d893f65eba, v[16:17]
	s_delay_alu instid0(VALU_DEP_3) | instskip(SKIP_1) | instid1(VALU_DEP_4)
	v_add_f64_e32 v[24:25], 1.0, v[22:23]
	v_add_f64_e32 v[30:31], -1.0, v[22:23]
	v_subrev_co_ci_u32_e64 v15, null, 0, v15, vcc_lo
	v_cmp_neq_f64_e32 vcc_lo, 0x7ff00000, v[20:21]
	v_fma_f64 v[18:19], v[2:3], v[16:17], -v[18:19]
	v_rcp_f64_e32 v[26:27], v[24:25]
	v_add_f64_e32 v[32:33], -1.0, v[24:25]
	s_delay_alu instid0(VALU_DEP_2) | instskip(NEXT) | instid1(VALU_DEP_2)
	v_add_f64_e32 v[18:19], 0xbd0a5022c297fbeb, v[18:19]
	v_add_f64_e64 v[22:23], v[22:23], -v[32:33]
	s_delay_alu instid0(TRANS32_DEP_1) | instskip(NEXT) | instid1(VALU_DEP_3)
	v_fma_f64 v[28:29], -v[24:25], v[26:27], 1.0
	v_fma_f64 v[16:17], v[2:3], v[18:19], -v[16:17]
	s_delay_alu instid0(VALU_DEP_2) | instskip(NEXT) | instid1(VALU_DEP_2)
	v_fmac_f64_e32 v[26:27], v[28:29], v[26:27]
	v_add_f64_e32 v[16:17], 0x3d359b464b262627, v[16:17]
	s_delay_alu instid0(VALU_DEP_2) | instskip(NEXT) | instid1(VALU_DEP_2)
	v_fma_f64 v[28:29], -v[24:25], v[26:27], 1.0
	v_fma_f64 v[18:19], v[2:3], v[16:17], -v[18:19]
	s_delay_alu instid0(VALU_DEP_2) | instskip(NEXT) | instid1(VALU_DEP_2)
	v_fmac_f64_e32 v[26:27], v[28:29], v[26:27]
	v_add_f64_e32 v[18:19], 0xbd61164c62ee1af0, v[18:19]
	s_delay_alu instid0(VALU_DEP_2) | instskip(NEXT) | instid1(VALU_DEP_2)
	v_mul_f64_e32 v[28:29], v[30:31], v[26:27]
	v_fma_f64 v[16:17], v[2:3], v[18:19], -v[16:17]
	s_delay_alu instid0(VALU_DEP_2) | instskip(NEXT) | instid1(VALU_DEP_2)
	v_mul_f64_e32 v[34:35], v[24:25], v[28:29]
	v_add_f64_e32 v[16:17], 0x3d89fe2fe19bd324, v[16:17]
	s_delay_alu instid0(VALU_DEP_2) | instskip(NEXT) | instid1(VALU_DEP_2)
	v_fma_f64 v[24:25], v[28:29], v[24:25], -v[34:35]
	v_fma_f64 v[18:19], v[2:3], v[16:17], -v[18:19]
	s_delay_alu instid0(VALU_DEP_2) | instskip(NEXT) | instid1(VALU_DEP_2)
	v_fmac_f64_e32 v[24:25], v[28:29], v[22:23]
	v_add_f64_e32 v[18:19], 0xbdb2fc957a946abc, v[18:19]
	s_delay_alu instid0(VALU_DEP_2) | instskip(NEXT) | instid1(VALU_DEP_2)
	v_add_f64_e32 v[22:23], v[34:35], v[24:25]
	v_fma_f64 v[16:17], v[2:3], v[18:19], -v[16:17]
	s_delay_alu instid0(VALU_DEP_2) | instskip(NEXT) | instid1(VALU_DEP_2)
	v_add_f64_e64 v[32:33], v[30:31], -v[22:23]
	v_add_f64_e32 v[16:17], 0x3dda98becc743c10, v[16:17]
	v_add_f64_e64 v[34:35], v[22:23], -v[34:35]
	s_delay_alu instid0(VALU_DEP_3) | instskip(NEXT) | instid1(VALU_DEP_3)
	v_add_f64_e64 v[30:31], v[30:31], -v[32:33]
	v_fma_f64 v[18:19], v[2:3], v[16:17], -v[18:19]
	s_delay_alu instid0(VALU_DEP_3) | instskip(SKIP_1) | instid1(VALU_DEP_4)
	v_add_f64_e64 v[24:25], v[34:35], -v[24:25]
	v_cvt_f64_i32_e32 v[34:35], v15
	v_add_f64_e64 v[22:23], v[30:31], -v[22:23]
	s_delay_alu instid0(VALU_DEP_4) | instskip(NEXT) | instid1(VALU_DEP_3)
	v_add_f64_e32 v[18:19], 0xbe01d4fe13ae9556, v[18:19]
	v_mul_f64_e32 v[36:37], 0x3fe62e42fefa39ef, v[34:35]
	s_delay_alu instid0(VALU_DEP_3) | instskip(NEXT) | instid1(VALU_DEP_3)
	v_add_f64_e32 v[22:23], v[24:25], v[22:23]
	v_fma_f64 v[16:17], v[2:3], v[18:19], -v[16:17]
	s_delay_alu instid0(VALU_DEP_2) | instskip(NEXT) | instid1(VALU_DEP_2)
	v_add_f64_e32 v[22:23], v[32:33], v[22:23]
	v_add_f64_e32 v[16:17], 0x3e26d903a454cb34, v[16:17]
	s_delay_alu instid0(VALU_DEP_2) | instskip(NEXT) | instid1(VALU_DEP_2)
	v_mul_f64_e32 v[22:23], v[26:27], v[22:23]
	v_fma_f64 v[18:19], v[2:3], v[16:17], -v[18:19]
	s_delay_alu instid0(VALU_DEP_2) | instskip(NEXT) | instid1(VALU_DEP_2)
	v_add_f64_e32 v[24:25], v[28:29], v[22:23]
	v_add_f64_e32 v[18:19], 0xbe4beaf68c0b30ab, v[18:19]
	s_delay_alu instid0(VALU_DEP_2) | instskip(NEXT) | instid1(VALU_DEP_2)
	v_mul_f64_e32 v[26:27], v[24:25], v[24:25]
	v_fma_f64 v[16:17], v[2:3], v[18:19], -v[16:17]
	s_delay_alu instid0(VALU_DEP_2) | instskip(NEXT) | instid1(VALU_DEP_2)
	v_fmaak_f64 v[30:31], s[6:7], v[26:27], 0x3fc385386b47b09a
	v_add_f64_e32 v[16:17], 0x3e703b769d4d6435, v[16:17]
	v_mul_f64_e32 v[32:33], v[24:25], v[26:27]
	s_mov_b64 s[6:7], 0x3ca3cee1e6a7fd77
	s_delay_alu instid0(VALU_DEP_3) | instskip(NEXT) | instid1(VALU_DEP_1)
	v_fmaak_f64 v[30:31], v[26:27], v[30:31], 0x3fc7474dd7f4df2e
	v_fmaak_f64 v[30:31], v[26:27], v[30:31], 0x3fcc71c016291751
	s_delay_alu instid0(VALU_DEP_1) | instskip(NEXT) | instid1(VALU_DEP_1)
	v_fmaak_f64 v[30:31], v[26:27], v[30:31], 0x3fd249249b27acf1
	v_fmaak_f64 v[30:31], v[26:27], v[30:31], 0x3fd99999998ef7b6
	v_fma_f64 v[18:19], v[2:3], v[16:17], -v[18:19]
	s_delay_alu instid0(VALU_DEP_2) | instskip(SKIP_2) | instid1(VALU_DEP_3)
	v_fmaak_f64 v[26:27], v[26:27], v[30:31], 0x3fe5555555555780
	v_ldexp_f64 v[30:31], v[24:25], 1
	v_add_f64_e64 v[24:25], v[24:25], -v[28:29]
	v_mul_f64_e32 v[26:27], v[32:33], v[26:27]
	v_fma_f64 v[32:33], v[10:11], v[10:11], -2.0
	v_add_f64_e32 v[18:19], 0xbe91ec638f227f8d, v[18:19]
	s_delay_alu instid0(VALU_DEP_4) | instskip(NEXT) | instid1(VALU_DEP_4)
	v_add_f64_e64 v[22:23], v[22:23], -v[24:25]
	v_add_f64_e32 v[28:29], v[30:31], v[26:27]
	s_delay_alu instid0(VALU_DEP_3) | instskip(NEXT) | instid1(VALU_DEP_3)
	v_fma_f64 v[16:17], v[2:3], v[18:19], -v[16:17]
	v_ldexp_f64 v[22:23], v[22:23], 1
	s_delay_alu instid0(VALU_DEP_3) | instskip(SKIP_2) | instid1(VALU_DEP_1)
	v_add_f64_e64 v[24:25], v[28:29], -v[30:31]
	v_fmaak_f64 v[30:31], s[6:7], v[32:33], 0x3d27fb0ac384c2aa
	s_mov_b64 s[6:7], 0x3fe62e42fefa39ef
	v_fmaak_f64 v[38:39], v[32:33], v[30:31], 0xbca3cee1e6a7fd77
	v_add_f64_e32 v[16:17], 0x3eb2bf24978cf4ac, v[16:17]
	s_delay_alu instid0(VALU_DEP_4) | instskip(NEXT) | instid1(VALU_DEP_3)
	v_add_f64_e64 v[24:25], v[26:27], -v[24:25]
	v_add_f64_e32 v[26:27], 0x3da6c25c47512144, v[38:39]
	v_fma_f64 v[38:39], v[34:35], s[6:7], -v[36:37]
	s_mov_b64 s[6:7], 0x3e5ade156a5dcb37
	s_delay_alu instid0(VALU_DEP_4) | instskip(NEXT) | instid1(VALU_DEP_4)
	v_fma_f64 v[18:19], v[2:3], v[16:17], -v[18:19]
	v_add_f64_e32 v[22:23], v[22:23], v[24:25]
	s_delay_alu instid0(VALU_DEP_4) | instskip(NEXT) | instid1(VALU_DEP_4)
	v_fma_f64 v[24:25], v[32:33], v[26:27], -v[30:31]
	v_fmamk_f64 v[30:31], v[34:35], 0x3c7abc9e3b39803f, v[38:39]
	s_delay_alu instid0(VALU_DEP_1) | instskip(SKIP_3) | instid1(VALU_DEP_4)
	v_add_f64_e32 v[38:39], v[36:37], v[30:31]
	v_add_f64_e32 v[18:19], 0xbed2866fcba56427, v[18:19]
	;; [unrolled: 1-line block ×4, first 2 shown]
	v_add_f64_e64 v[36:37], v[38:39], -v[36:37]
	s_delay_alu instid0(VALU_DEP_4) | instskip(NEXT) | instid1(VALU_DEP_4)
	v_fma_f64 v[16:17], v[2:3], v[18:19], -v[16:17]
	v_add_f64_e32 v[48:49], v[38:39], v[34:35]
	s_delay_alu instid0(VALU_DEP_4) | instskip(SKIP_1) | instid1(VALU_DEP_4)
	v_fma_f64 v[26:27], v[32:33], v[24:25], -v[26:27]
	v_add_f64_e64 v[28:29], v[34:35], -v[28:29]
	v_add_f64_e32 v[16:17], 0x3ef13f58be9a2859, v[16:17]
	s_delay_alu instid0(VALU_DEP_4) | instskip(NEXT) | instid1(VALU_DEP_4)
	v_add_f64_e64 v[50:51], v[48:49], -v[38:39]
	v_add_f64_e32 v[26:27], 0x3e9102bce7f95efc, v[26:27]
	s_delay_alu instid0(VALU_DEP_4)
	v_add_f64_e64 v[22:23], v[22:23], -v[28:29]
	v_add_f64_e64 v[28:29], v[30:31], -v[36:37]
	v_mul_f64_e32 v[36:37], 0x3ff71547652b82fe, v[10:11]
	v_fma_f64 v[18:19], v[2:3], v[16:17], -v[18:19]
	v_add_f64_e64 v[52:53], v[48:49], -v[50:51]
	v_fma_f64 v[24:25], v[32:33], v[26:27], -v[24:25]
	v_add_f64_e64 v[34:35], v[34:35], -v[50:51]
	s_delay_alu instid0(VALU_DEP_4) | instskip(NEXT) | instid1(VALU_DEP_4)
	v_add_f64_e32 v[18:19], 0xbf0e2b2659c41d5a, v[18:19]
	v_add_f64_e64 v[30:31], v[38:39], -v[52:53]
	s_delay_alu instid0(VALU_DEP_4) | instskip(SKIP_1) | instid1(VALU_DEP_4)
	v_add_f64_e32 v[24:25], 0x3ef7f900fe8cfca0, v[24:25]
	v_add_f64_e32 v[38:39], v[28:29], v[22:23]
	v_fma_f64 v[16:17], v[2:3], v[18:19], -v[16:17]
	s_delay_alu instid0(VALU_DEP_4) | instskip(NEXT) | instid1(VALU_DEP_4)
	v_add_f64_e32 v[30:31], v[34:35], v[30:31]
	v_fma_f64 v[26:27], v[32:33], v[24:25], -v[26:27]
	v_rndne_f64_e32 v[34:35], v[36:37]
	v_add_f64_e64 v[36:37], v[38:39], -v[28:29]
	v_add_f64_e32 v[16:17], 0x3f28b51b74107cab, v[16:17]
	v_add_f64_e32 v[30:31], v[38:39], v[30:31]
	;; [unrolled: 1-line block ×3, first 2 shown]
	v_fmamk_f64 v[50:51], v[34:35], 0xbfe62e42fefa39ef, v[10:11]
	v_add_f64_e64 v[38:39], v[38:39], -v[36:37]
	v_add_f64_e64 v[22:23], v[22:23], -v[36:37]
	v_cvt_i32_f64_e32 v15, v[34:35]
	s_delay_alu instid0(VALU_DEP_4) | instskip(NEXT) | instid1(VALU_DEP_1)
	v_fmamk_f64 v[50:51], v[34:35], 0xbc7abc9e3b39803f, v[50:51]
	v_fmaak_f64 v[54:55], s[6:7], v[50:51], 0x3e928af3fca7ab0c
	s_delay_alu instid0(VALU_DEP_1) | instskip(SKIP_1) | instid1(VALU_DEP_2)
	v_fmaak_f64 v[54:55], v[50:51], v[54:55], 0x3ec71dee623fde64
	v_fma_f64 v[18:19], v[2:3], v[16:17], -v[18:19]
	v_fmaak_f64 v[54:55], v[50:51], v[54:55], 0x3efa01997c89e6b0
	v_add_f64_e32 v[52:53], v[48:49], v[30:31]
	v_fma_f64 v[24:25], v[32:33], v[26:27], -v[24:25]
	v_add_f64_e64 v[28:29], v[28:29], -v[38:39]
	s_delay_alu instid0(VALU_DEP_4) | instskip(NEXT) | instid1(VALU_DEP_1)
	v_fmaak_f64 v[54:55], v[50:51], v[54:55], 0x3f2a01a014761f6e
	v_fmaak_f64 v[38:39], v[50:51], v[54:55], 0x3f56c16c1852b7b0
	v_add_f64_e32 v[18:19], 0xbf42e2fd1f15eb52, v[18:19]
	v_add_f64_e64 v[36:37], v[52:53], -v[48:49]
	v_add_f64_e32 v[24:25], 0x3fa26bf6554a9085, v[24:25]
	v_add_f64_e32 v[22:23], v[22:23], v[28:29]
	s_delay_alu instid0(VALU_DEP_4) | instskip(NEXT) | instid1(VALU_DEP_4)
	v_fma_f64 v[16:17], v[2:3], v[18:19], -v[16:17]
	v_add_f64_e64 v[28:29], v[30:31], -v[36:37]
	s_delay_alu instid0(VALU_DEP_4) | instskip(NEXT) | instid1(VALU_DEP_3)
	v_fma_f64 v[26:27], v[32:33], v[24:25], -v[26:27]
	v_add_f64_e32 v[16:17], 0x3f5adc758a12100e, v[16:17]
	s_delay_alu instid0(VALU_DEP_3) | instskip(NEXT) | instid1(VALU_DEP_3)
	v_add_f64_e32 v[22:23], v[22:23], v[28:29]
	v_add_f64_e32 v[26:27], 0x3fd608d881213db9, v[26:27]
	s_delay_alu instid0(VALU_DEP_3) | instskip(NEXT) | instid1(VALU_DEP_1)
	v_fma_f64 v[18:19], v[2:3], v[16:17], -v[18:19]
	v_add_f64_e32 v[18:19], 0xbf71b65e201aa849, v[18:19]
	s_delay_alu instid0(VALU_DEP_1) | instskip(NEXT) | instid1(VALU_DEP_1)
	v_fma_f64 v[16:17], v[2:3], v[18:19], -v[16:17]
	v_add_f64_e32 v[16:17], 0x3f859961f3dde3dd, v[16:17]
	s_delay_alu instid0(VALU_DEP_1) | instskip(NEXT) | instid1(VALU_DEP_1)
	;; [unrolled: 3-line block ×6, first 2 shown]
	v_fma_f64 v[18:19], v[2:3], v[16:17], -v[18:19]
	v_add_f64_e32 v[18:19], 0xbfd37febc057cd8d, v[18:19]
	s_delay_alu instid0(VALU_DEP_1) | instskip(SKIP_1) | instid1(VALU_DEP_1)
	v_fma_f64 v[2:3], v[2:3], v[18:19], -v[16:17]
	v_fmaak_f64 v[18:19], v[50:51], v[38:39], 0x3f81111111122322
	v_fmaak_f64 v[18:19], v[50:51], v[18:19], 0x3fa55555555502a1
	s_delay_alu instid0(VALU_DEP_1) | instskip(NEXT) | instid1(VALU_DEP_1)
	v_fmaak_f64 v[18:19], v[50:51], v[18:19], 0x3fc5555555555511
	v_fmaak_f64 v[18:19], v[50:51], v[18:19], 0x3fe000000000000b
	s_delay_alu instid0(VALU_DEP_1) | instskip(SKIP_1) | instid1(VALU_DEP_2)
	v_fma_f64 v[18:19], v[50:51], v[18:19], 1.0
	v_add_f64_e32 v[2:3], 0x3fe5a84e9035a22a, v[2:3]
	v_fma_f64 v[18:19], v[50:51], v[18:19], 1.0
	s_delay_alu instid0(VALU_DEP_2) | instskip(SKIP_2) | instid1(VALU_DEP_4)
	v_add_f64_e64 v[2:3], v[2:3], -v[16:17]
	v_add_f64_e32 v[16:17], v[52:53], v[22:23]
	v_fma_f64 v[22:23], v[32:33], v[26:27], -v[24:25]
	v_ldexp_f64 v[18:19], v[18:19], v15
	s_delay_alu instid0(VALU_DEP_4) | instskip(NEXT) | instid1(VALU_DEP_4)
	v_mul_f64_e32 v[2:3], 0.5, v[2:3]
	v_cndmask_b32_e32 v15, 0x7ff00000, v17, vcc_lo
	s_delay_alu instid0(VALU_DEP_4) | instskip(SKIP_2) | instid1(VALU_DEP_3)
	v_add_f64_e32 v[20:21], 0xbfe12166e9d2f61f, v[22:23]
	s_and_b32 vcc_lo, s0, vcc_lo
	v_cndmask_b32_e32 v16, 0, v16, vcc_lo
	v_cndmask_b32_e64 v17, 0xfff00000, v15, s0
	v_mul_f64_e32 v[2:3], v[18:19], v[2:3]
	s_delay_alu instid0(VALU_DEP_4) | instskip(NEXT) | instid1(VALU_DEP_2)
	v_add_f64_e64 v[20:21], v[20:21], -v[24:25]
	v_mul_f64_e32 v[2:3], v[16:17], v[2:3]
	s_delay_alu instid0(VALU_DEP_1) | instskip(NEXT) | instid1(VALU_DEP_1)
	v_fma_f64 v[2:3], v[20:21], 0.5, -v[2:3]
	v_mul_f64_e32 v[2:3], v[18:19], v[2:3]
.LBB1_4:
	s_and_not1_saveexec_b32 s0, s5
	s_cbranch_execz .LBB1_6
; %bb.5:
	v_div_scale_f64 v[2:3], null, v[10:11], v[10:11], 0x40200000
	v_div_scale_f64 v[20:21], vcc_lo, 0x40200000, v[10:11], 0x40200000
	s_mov_b64 s[6:7], 0x3c5871a5cf8c9ee1
	v_rcp_f64_e32 v[16:17], v[2:3]
	v_nop
	s_delay_alu instid0(TRANS32_DEP_1) | instskip(NEXT) | instid1(VALU_DEP_1)
	v_fma_f64 v[18:19], -v[2:3], v[16:17], 1.0
	v_fmac_f64_e32 v[16:17], v[16:17], v[18:19]
	s_delay_alu instid0(VALU_DEP_1) | instskip(NEXT) | instid1(VALU_DEP_1)
	v_fma_f64 v[18:19], -v[2:3], v[16:17], 1.0
	v_fmac_f64_e32 v[16:17], v[16:17], v[18:19]
	s_delay_alu instid0(VALU_DEP_1) | instskip(NEXT) | instid1(VALU_DEP_1)
	v_mul_f64_e32 v[18:19], v[20:21], v[16:17]
	v_fma_f64 v[2:3], -v[2:3], v[18:19], v[20:21]
	s_delay_alu instid0(VALU_DEP_1) | instskip(SKIP_1) | instid1(VALU_DEP_2)
	v_div_fmas_f64 v[2:3], v[2:3], v[16:17], v[18:19]
	v_cmp_gt_f64_e32 vcc_lo, 0x10000000, v[10:11]
	v_div_fixup_f64 v[2:3], v[2:3], v[10:11], 0x40200000
	v_cndmask_b32_e64 v15, 0, 0x100, vcc_lo
	s_delay_alu instid0(VALU_DEP_1) | instskip(SKIP_1) | instid1(VALU_DEP_4)
	v_ldexp_f64 v[10:11], v[10:11], v15
	v_cndmask_b32_e64 v15, 0, 0xffffff80, vcc_lo
	v_add_f64_e32 v[2:3], -2.0, v[2:3]
	s_delay_alu instid0(VALU_DEP_3) | instskip(SKIP_1) | instid1(VALU_DEP_2)
	v_cmp_class_f64_e64 vcc_lo, v[10:11], 0x260
	v_rsq_f64_e32 v[20:21], v[10:11]
	v_fmaak_f64 v[16:17], s[6:7], v[2:3], 0xbc72fecc93812603
	s_delay_alu instid0(VALU_DEP_1) | instskip(NEXT) | instid1(TRANS32_DEP_1)
	v_fmaak_f64 v[18:19], v[2:3], v[16:17], 0xbc5871a5cf8c9ee1
	v_mul_f64_e32 v[22:23], v[10:11], v[20:21]
	s_delay_alu instid0(VALU_DEP_2) | instskip(SKIP_1) | instid1(VALU_DEP_2)
	v_add_f64_e32 v[18:19], 0x3c8e092e41a8cdf4, v[18:19]
	v_mul_f64_e32 v[20:21], 0.5, v[20:21]
	v_fma_f64 v[16:17], v[2:3], v[18:19], -v[16:17]
	s_delay_alu instid0(VALU_DEP_2) | instskip(NEXT) | instid1(VALU_DEP_2)
	v_fma_f64 v[24:25], -v[20:21], v[22:23], 0.5
	v_add_f64_e32 v[16:17], 0xbca82f9474d77641, v[16:17]
	s_delay_alu instid0(VALU_DEP_2) | instskip(SKIP_1) | instid1(VALU_DEP_3)
	v_fmac_f64_e32 v[22:23], v[22:23], v[24:25]
	v_fmac_f64_e32 v[20:21], v[20:21], v[24:25]
	v_fma_f64 v[18:19], v[2:3], v[16:17], -v[18:19]
	s_delay_alu instid0(VALU_DEP_3) | instskip(NEXT) | instid1(VALU_DEP_2)
	v_fma_f64 v[24:25], -v[22:23], v[22:23], v[10:11]
	v_add_f64_e32 v[18:19], 0x3cc3dbf96b94785b, v[18:19]
	s_delay_alu instid0(VALU_DEP_2) | instskip(NEXT) | instid1(VALU_DEP_2)
	v_fmac_f64_e32 v[22:23], v[24:25], v[20:21]
	v_fma_f64 v[16:17], v[2:3], v[18:19], -v[16:17]
	s_delay_alu instid0(VALU_DEP_1) | instskip(NEXT) | instid1(VALU_DEP_1)
	v_add_f64_e32 v[16:17], 0xbce0a690ecfadd36, v[16:17]
	v_fma_f64 v[18:19], v[2:3], v[16:17], -v[18:19]
	s_delay_alu instid0(VALU_DEP_1) | instskip(NEXT) | instid1(VALU_DEP_1)
	v_add_f64_e32 v[18:19], 0x3cfc8d9c4a7ddc98, v[18:19]
	;; [unrolled: 3-line block ×19, first 2 shown]
	v_fma_f64 v[2:3], v[2:3], v[16:17], -v[18:19]
	v_fma_f64 v[16:17], -v[22:23], v[22:23], v[10:11]
	s_delay_alu instid0(VALU_DEP_2) | instskip(NEXT) | instid1(VALU_DEP_2)
	v_add_f64_e32 v[2:3], 0x400385bd9f4e6907, v[2:3]
	v_fmac_f64_e32 v[22:23], v[16:17], v[20:21]
	s_delay_alu instid0(VALU_DEP_2) | instskip(NEXT) | instid1(VALU_DEP_2)
	v_add_f64_e64 v[2:3], v[2:3], -v[18:19]
	v_ldexp_f64 v[16:17], v[22:23], v15
	s_delay_alu instid0(VALU_DEP_2) | instskip(NEXT) | instid1(VALU_DEP_2)
	v_mul_f64_e32 v[2:3], 0.5, v[2:3]
	v_dual_cndmask_b32 v11, v17, v11 :: v_dual_cndmask_b32 v10, v16, v10
	s_delay_alu instid0(VALU_DEP_1) | instskip(NEXT) | instid1(VALU_DEP_1)
	v_div_scale_f64 v[16:17], null, v[10:11], v[10:11], v[2:3]
	v_rcp_f64_e32 v[18:19], v[16:17]
	v_nop
	s_delay_alu instid0(TRANS32_DEP_1) | instskip(NEXT) | instid1(VALU_DEP_1)
	v_fma_f64 v[20:21], -v[16:17], v[18:19], 1.0
	v_fmac_f64_e32 v[18:19], v[18:19], v[20:21]
	s_delay_alu instid0(VALU_DEP_1) | instskip(NEXT) | instid1(VALU_DEP_1)
	v_fma_f64 v[20:21], -v[16:17], v[18:19], 1.0
	v_fmac_f64_e32 v[18:19], v[18:19], v[20:21]
	v_div_scale_f64 v[20:21], vcc_lo, v[2:3], v[10:11], v[2:3]
	s_delay_alu instid0(VALU_DEP_1) | instskip(NEXT) | instid1(VALU_DEP_1)
	v_mul_f64_e32 v[22:23], v[20:21], v[18:19]
	v_fma_f64 v[16:17], -v[16:17], v[22:23], v[20:21]
	s_delay_alu instid0(VALU_DEP_1) | instskip(NEXT) | instid1(VALU_DEP_1)
	v_div_fmas_f64 v[16:17], v[16:17], v[18:19], v[22:23]
	v_div_fixup_f64 v[2:3], v[16:17], v[10:11], v[2:3]
.LBB1_6:
	s_or_b32 exec_lo, exec_lo, s0
.LBB1_7:
	s_delay_alu instid0(SALU_CYCLE_1)
	s_or_b32 exec_lo, exec_lo, s4
.LBB1_8:
	s_delay_alu instid0(SALU_CYCLE_1) | instskip(NEXT) | instid1(SALU_CYCLE_1)
	s_or_b32 exec_lo, exec_lo, s1
	s_mov_b32 s1, exec_lo
	v_cmpx_neq_f64_e32 0, v[12:13]
	s_cbranch_execz .LBB1_16
; %bb.9:
	v_mov_b64_e32 v[4:5], 0x7ff8000000000000
	s_mov_b32 s4, exec_lo
	v_cmpx_ngt_f64_e32 0, v[12:13]
	s_cbranch_execz .LBB1_15
; %bb.10:
	s_mov_b32 s0, exec_lo
	v_cmpx_ge_f64_e32 2.0, v[12:13]
	s_xor_b32 s5, exec_lo, s0
	s_cbranch_execz .LBB1_12
; %bb.11:
	v_fma_f64 v[4:5], v[12:13], 0.5, -2.0
	s_mov_b64 s[6:7], 0xbc545cb72134d0ef
	v_mul_f64_e32 v[18:19], 0.5, v[12:13]
	s_delay_alu instid0(VALU_DEP_2) | instskip(SKIP_1) | instid1(VALU_DEP_2)
	v_fmaak_f64 v[10:11], s[6:7], v[4:5], 0x3c833362977da589
	s_mov_b64 s[6:7], 0x3fe5555555555555
	v_frexp_mant_f64_e32 v[20:21], v[18:19]
	v_cmp_neq_f64_e64 s0, 0, v[18:19]
	s_delay_alu instid0(VALU_DEP_3) | instskip(NEXT) | instid1(VALU_DEP_1)
	v_fmaak_f64 v[16:17], v[4:5], v[10:11], 0x3c545cb72134d0ef
	v_add_f64_e32 v[16:17], 0xbcb184eb721ebbb4, v[16:17]
	s_delay_alu instid0(VALU_DEP_4) | instskip(SKIP_1) | instid1(VALU_DEP_2)
	v_cmp_gt_f64_e32 vcc_lo, s[6:7], v[20:21]
	s_mov_b64 s[6:7], 0x3fc3ab76bf559e2b
	v_fma_f64 v[10:11], v[4:5], v[16:17], -v[10:11]
	v_cndmask_b32_e64 v15, 0, 1, vcc_lo
	s_delay_alu instid0(VALU_DEP_1) | instskip(SKIP_1) | instid1(VALU_DEP_4)
	v_ldexp_f64 v[20:21], v[20:21], v15
	v_frexp_exp_i32_f64_e32 v15, v[18:19]
	v_add_f64_e32 v[10:11], 0x3cdee6d893f65eba, v[10:11]
	s_delay_alu instid0(VALU_DEP_3) | instskip(SKIP_1) | instid1(VALU_DEP_4)
	v_add_f64_e32 v[22:23], 1.0, v[20:21]
	v_add_f64_e32 v[28:29], -1.0, v[20:21]
	v_subrev_co_ci_u32_e64 v15, null, 0, v15, vcc_lo
	v_cmp_neq_f64_e32 vcc_lo, 0x7ff00000, v[18:19]
	v_fma_f64 v[16:17], v[4:5], v[10:11], -v[16:17]
	v_rcp_f64_e32 v[24:25], v[22:23]
	v_add_f64_e32 v[30:31], -1.0, v[22:23]
	s_delay_alu instid0(VALU_DEP_2) | instskip(NEXT) | instid1(VALU_DEP_2)
	v_add_f64_e32 v[16:17], 0xbd0a5022c297fbeb, v[16:17]
	v_add_f64_e64 v[20:21], v[20:21], -v[30:31]
	s_delay_alu instid0(TRANS32_DEP_1) | instskip(NEXT) | instid1(VALU_DEP_3)
	v_fma_f64 v[26:27], -v[22:23], v[24:25], 1.0
	v_fma_f64 v[10:11], v[4:5], v[16:17], -v[10:11]
	s_delay_alu instid0(VALU_DEP_2) | instskip(NEXT) | instid1(VALU_DEP_2)
	v_fmac_f64_e32 v[24:25], v[26:27], v[24:25]
	v_add_f64_e32 v[10:11], 0x3d359b464b262627, v[10:11]
	s_delay_alu instid0(VALU_DEP_2) | instskip(NEXT) | instid1(VALU_DEP_2)
	v_fma_f64 v[26:27], -v[22:23], v[24:25], 1.0
	v_fma_f64 v[16:17], v[4:5], v[10:11], -v[16:17]
	s_delay_alu instid0(VALU_DEP_2) | instskip(NEXT) | instid1(VALU_DEP_2)
	v_fmac_f64_e32 v[24:25], v[26:27], v[24:25]
	v_add_f64_e32 v[16:17], 0xbd61164c62ee1af0, v[16:17]
	s_delay_alu instid0(VALU_DEP_2) | instskip(NEXT) | instid1(VALU_DEP_2)
	v_mul_f64_e32 v[26:27], v[28:29], v[24:25]
	v_fma_f64 v[10:11], v[4:5], v[16:17], -v[10:11]
	s_delay_alu instid0(VALU_DEP_2) | instskip(NEXT) | instid1(VALU_DEP_2)
	v_mul_f64_e32 v[32:33], v[22:23], v[26:27]
	v_add_f64_e32 v[10:11], 0x3d89fe2fe19bd324, v[10:11]
	s_delay_alu instid0(VALU_DEP_2) | instskip(NEXT) | instid1(VALU_DEP_2)
	v_fma_f64 v[22:23], v[26:27], v[22:23], -v[32:33]
	v_fma_f64 v[16:17], v[4:5], v[10:11], -v[16:17]
	s_delay_alu instid0(VALU_DEP_2) | instskip(NEXT) | instid1(VALU_DEP_2)
	v_fmac_f64_e32 v[22:23], v[26:27], v[20:21]
	v_add_f64_e32 v[16:17], 0xbdb2fc957a946abc, v[16:17]
	s_delay_alu instid0(VALU_DEP_2) | instskip(NEXT) | instid1(VALU_DEP_2)
	v_add_f64_e32 v[20:21], v[32:33], v[22:23]
	v_fma_f64 v[10:11], v[4:5], v[16:17], -v[10:11]
	s_delay_alu instid0(VALU_DEP_2) | instskip(NEXT) | instid1(VALU_DEP_2)
	v_add_f64_e64 v[30:31], v[28:29], -v[20:21]
	v_add_f64_e32 v[10:11], 0x3dda98becc743c10, v[10:11]
	v_add_f64_e64 v[32:33], v[20:21], -v[32:33]
	s_delay_alu instid0(VALU_DEP_3) | instskip(NEXT) | instid1(VALU_DEP_3)
	v_add_f64_e64 v[28:29], v[28:29], -v[30:31]
	v_fma_f64 v[16:17], v[4:5], v[10:11], -v[16:17]
	s_delay_alu instid0(VALU_DEP_3) | instskip(SKIP_1) | instid1(VALU_DEP_4)
	v_add_f64_e64 v[22:23], v[32:33], -v[22:23]
	v_cvt_f64_i32_e32 v[32:33], v15
	v_add_f64_e64 v[20:21], v[28:29], -v[20:21]
	s_delay_alu instid0(VALU_DEP_4) | instskip(NEXT) | instid1(VALU_DEP_3)
	v_add_f64_e32 v[16:17], 0xbe01d4fe13ae9556, v[16:17]
	v_mul_f64_e32 v[34:35], 0x3fe62e42fefa39ef, v[32:33]
	s_delay_alu instid0(VALU_DEP_3) | instskip(NEXT) | instid1(VALU_DEP_3)
	v_add_f64_e32 v[20:21], v[22:23], v[20:21]
	v_fma_f64 v[10:11], v[4:5], v[16:17], -v[10:11]
	s_delay_alu instid0(VALU_DEP_2) | instskip(NEXT) | instid1(VALU_DEP_2)
	v_add_f64_e32 v[20:21], v[30:31], v[20:21]
	v_add_f64_e32 v[10:11], 0x3e26d903a454cb34, v[10:11]
	s_delay_alu instid0(VALU_DEP_2) | instskip(NEXT) | instid1(VALU_DEP_2)
	v_mul_f64_e32 v[20:21], v[24:25], v[20:21]
	v_fma_f64 v[16:17], v[4:5], v[10:11], -v[16:17]
	s_delay_alu instid0(VALU_DEP_2) | instskip(NEXT) | instid1(VALU_DEP_2)
	v_add_f64_e32 v[22:23], v[26:27], v[20:21]
	v_add_f64_e32 v[16:17], 0xbe4beaf68c0b30ab, v[16:17]
	s_delay_alu instid0(VALU_DEP_2) | instskip(NEXT) | instid1(VALU_DEP_2)
	v_mul_f64_e32 v[24:25], v[22:23], v[22:23]
	v_fma_f64 v[10:11], v[4:5], v[16:17], -v[10:11]
	s_delay_alu instid0(VALU_DEP_2) | instskip(NEXT) | instid1(VALU_DEP_2)
	v_fmaak_f64 v[28:29], s[6:7], v[24:25], 0x3fc385386b47b09a
	v_add_f64_e32 v[10:11], 0x3e703b769d4d6435, v[10:11]
	v_mul_f64_e32 v[30:31], v[22:23], v[24:25]
	s_mov_b64 s[6:7], 0x3ca3cee1e6a7fd77
	s_delay_alu instid0(VALU_DEP_3) | instskip(NEXT) | instid1(VALU_DEP_1)
	v_fmaak_f64 v[28:29], v[24:25], v[28:29], 0x3fc7474dd7f4df2e
	v_fmaak_f64 v[28:29], v[24:25], v[28:29], 0x3fcc71c016291751
	s_delay_alu instid0(VALU_DEP_1) | instskip(NEXT) | instid1(VALU_DEP_1)
	v_fmaak_f64 v[28:29], v[24:25], v[28:29], 0x3fd249249b27acf1
	v_fmaak_f64 v[28:29], v[24:25], v[28:29], 0x3fd99999998ef7b6
	v_fma_f64 v[16:17], v[4:5], v[10:11], -v[16:17]
	s_delay_alu instid0(VALU_DEP_2) | instskip(SKIP_2) | instid1(VALU_DEP_3)
	v_fmaak_f64 v[24:25], v[24:25], v[28:29], 0x3fe5555555555780
	v_ldexp_f64 v[28:29], v[22:23], 1
	v_add_f64_e64 v[22:23], v[22:23], -v[26:27]
	v_mul_f64_e32 v[24:25], v[30:31], v[24:25]
	v_fma_f64 v[30:31], v[12:13], v[12:13], -2.0
	v_add_f64_e32 v[16:17], 0xbe91ec638f227f8d, v[16:17]
	s_delay_alu instid0(VALU_DEP_4) | instskip(NEXT) | instid1(VALU_DEP_4)
	v_add_f64_e64 v[20:21], v[20:21], -v[22:23]
	v_add_f64_e32 v[26:27], v[28:29], v[24:25]
	s_delay_alu instid0(VALU_DEP_3) | instskip(NEXT) | instid1(VALU_DEP_3)
	v_fma_f64 v[10:11], v[4:5], v[16:17], -v[10:11]
	v_ldexp_f64 v[20:21], v[20:21], 1
	s_delay_alu instid0(VALU_DEP_3) | instskip(SKIP_2) | instid1(VALU_DEP_1)
	v_add_f64_e64 v[22:23], v[26:27], -v[28:29]
	v_fmaak_f64 v[28:29], s[6:7], v[30:31], 0x3d27fb0ac384c2aa
	s_mov_b64 s[6:7], 0x3fe62e42fefa39ef
	v_fmaak_f64 v[36:37], v[30:31], v[28:29], 0xbca3cee1e6a7fd77
	v_add_f64_e32 v[10:11], 0x3eb2bf24978cf4ac, v[10:11]
	s_delay_alu instid0(VALU_DEP_4) | instskip(NEXT) | instid1(VALU_DEP_3)
	v_add_f64_e64 v[22:23], v[24:25], -v[22:23]
	v_add_f64_e32 v[24:25], 0x3da6c25c47512144, v[36:37]
	v_fma_f64 v[36:37], v[32:33], s[6:7], -v[34:35]
	s_mov_b64 s[6:7], 0x3e5ade156a5dcb37
	s_delay_alu instid0(VALU_DEP_4) | instskip(NEXT) | instid1(VALU_DEP_4)
	v_fma_f64 v[16:17], v[4:5], v[10:11], -v[16:17]
	v_add_f64_e32 v[20:21], v[20:21], v[22:23]
	s_delay_alu instid0(VALU_DEP_4) | instskip(NEXT) | instid1(VALU_DEP_4)
	v_fma_f64 v[22:23], v[30:31], v[24:25], -v[28:29]
	v_fmamk_f64 v[28:29], v[32:33], 0x3c7abc9e3b39803f, v[36:37]
	s_delay_alu instid0(VALU_DEP_1) | instskip(SKIP_3) | instid1(VALU_DEP_4)
	v_add_f64_e32 v[36:37], v[34:35], v[28:29]
	v_add_f64_e32 v[16:17], 0xbed2866fcba56427, v[16:17]
	;; [unrolled: 1-line block ×4, first 2 shown]
	v_add_f64_e64 v[34:35], v[36:37], -v[34:35]
	s_delay_alu instid0(VALU_DEP_4) | instskip(NEXT) | instid1(VALU_DEP_4)
	v_fma_f64 v[10:11], v[4:5], v[16:17], -v[10:11]
	v_add_f64_e32 v[38:39], v[36:37], v[32:33]
	s_delay_alu instid0(VALU_DEP_4) | instskip(SKIP_1) | instid1(VALU_DEP_4)
	v_fma_f64 v[24:25], v[30:31], v[22:23], -v[24:25]
	v_add_f64_e64 v[26:27], v[32:33], -v[26:27]
	v_add_f64_e32 v[10:11], 0x3ef13f58be9a2859, v[10:11]
	s_delay_alu instid0(VALU_DEP_4) | instskip(NEXT) | instid1(VALU_DEP_4)
	v_add_f64_e64 v[48:49], v[38:39], -v[36:37]
	v_add_f64_e32 v[24:25], 0x3e9102bce7f95efc, v[24:25]
	s_delay_alu instid0(VALU_DEP_4)
	v_add_f64_e64 v[20:21], v[20:21], -v[26:27]
	v_add_f64_e64 v[26:27], v[28:29], -v[34:35]
	v_mul_f64_e32 v[34:35], 0x3ff71547652b82fe, v[12:13]
	v_fma_f64 v[16:17], v[4:5], v[10:11], -v[16:17]
	v_add_f64_e64 v[50:51], v[38:39], -v[48:49]
	v_fma_f64 v[22:23], v[30:31], v[24:25], -v[22:23]
	v_add_f64_e64 v[32:33], v[32:33], -v[48:49]
	s_delay_alu instid0(VALU_DEP_4) | instskip(NEXT) | instid1(VALU_DEP_4)
	v_add_f64_e32 v[16:17], 0xbf0e2b2659c41d5a, v[16:17]
	v_add_f64_e64 v[28:29], v[36:37], -v[50:51]
	s_delay_alu instid0(VALU_DEP_4) | instskip(SKIP_1) | instid1(VALU_DEP_4)
	v_add_f64_e32 v[22:23], 0x3ef7f900fe8cfca0, v[22:23]
	v_add_f64_e32 v[36:37], v[26:27], v[20:21]
	v_fma_f64 v[10:11], v[4:5], v[16:17], -v[10:11]
	s_delay_alu instid0(VALU_DEP_4) | instskip(NEXT) | instid1(VALU_DEP_4)
	v_add_f64_e32 v[28:29], v[32:33], v[28:29]
	v_fma_f64 v[24:25], v[30:31], v[22:23], -v[24:25]
	v_rndne_f64_e32 v[32:33], v[34:35]
	v_add_f64_e64 v[34:35], v[36:37], -v[26:27]
	v_add_f64_e32 v[10:11], 0x3f28b51b74107cab, v[10:11]
	v_add_f64_e32 v[28:29], v[36:37], v[28:29]
	;; [unrolled: 1-line block ×3, first 2 shown]
	v_fmamk_f64 v[12:13], v[32:33], 0xbfe62e42fefa39ef, v[12:13]
	v_add_f64_e64 v[36:37], v[36:37], -v[34:35]
	v_add_f64_e64 v[20:21], v[20:21], -v[34:35]
	v_cvt_i32_f64_e32 v15, v[32:33]
	s_delay_alu instid0(VALU_DEP_4) | instskip(NEXT) | instid1(VALU_DEP_1)
	v_fmamk_f64 v[12:13], v[32:33], 0xbc7abc9e3b39803f, v[12:13]
	v_fmaak_f64 v[50:51], s[6:7], v[12:13], 0x3e928af3fca7ab0c
	s_delay_alu instid0(VALU_DEP_1) | instskip(SKIP_1) | instid1(VALU_DEP_2)
	v_fmaak_f64 v[50:51], v[12:13], v[50:51], 0x3ec71dee623fde64
	v_fma_f64 v[16:17], v[4:5], v[10:11], -v[16:17]
	v_fmaak_f64 v[50:51], v[12:13], v[50:51], 0x3efa01997c89e6b0
	v_add_f64_e32 v[48:49], v[38:39], v[28:29]
	v_fma_f64 v[22:23], v[30:31], v[24:25], -v[22:23]
	v_add_f64_e64 v[26:27], v[26:27], -v[36:37]
	s_delay_alu instid0(VALU_DEP_4) | instskip(NEXT) | instid1(VALU_DEP_1)
	v_fmaak_f64 v[50:51], v[12:13], v[50:51], 0x3f2a01a014761f6e
	v_fmaak_f64 v[36:37], v[12:13], v[50:51], 0x3f56c16c1852b7b0
	v_add_f64_e32 v[16:17], 0xbf42e2fd1f15eb52, v[16:17]
	v_add_f64_e64 v[34:35], v[48:49], -v[38:39]
	v_add_f64_e32 v[22:23], 0x3fa26bf6554a9085, v[22:23]
	v_add_f64_e32 v[20:21], v[20:21], v[26:27]
	s_delay_alu instid0(VALU_DEP_4) | instskip(NEXT) | instid1(VALU_DEP_4)
	v_fma_f64 v[10:11], v[4:5], v[16:17], -v[10:11]
	v_add_f64_e64 v[26:27], v[28:29], -v[34:35]
	s_delay_alu instid0(VALU_DEP_4) | instskip(NEXT) | instid1(VALU_DEP_3)
	v_fma_f64 v[24:25], v[30:31], v[22:23], -v[24:25]
	v_add_f64_e32 v[10:11], 0x3f5adc758a12100e, v[10:11]
	s_delay_alu instid0(VALU_DEP_3) | instskip(NEXT) | instid1(VALU_DEP_3)
	v_add_f64_e32 v[20:21], v[20:21], v[26:27]
	v_add_f64_e32 v[24:25], 0x3fd608d881213db9, v[24:25]
	s_delay_alu instid0(VALU_DEP_3) | instskip(NEXT) | instid1(VALU_DEP_1)
	v_fma_f64 v[16:17], v[4:5], v[10:11], -v[16:17]
	v_add_f64_e32 v[16:17], 0xbf71b65e201aa849, v[16:17]
	s_delay_alu instid0(VALU_DEP_1) | instskip(NEXT) | instid1(VALU_DEP_1)
	v_fma_f64 v[10:11], v[4:5], v[16:17], -v[10:11]
	v_add_f64_e32 v[10:11], 0x3f859961f3dde3dd, v[10:11]
	s_delay_alu instid0(VALU_DEP_1) | instskip(NEXT) | instid1(VALU_DEP_1)
	;; [unrolled: 3-line block ×6, first 2 shown]
	v_fma_f64 v[16:17], v[4:5], v[10:11], -v[16:17]
	v_add_f64_e32 v[16:17], 0xbfd37febc057cd8d, v[16:17]
	s_delay_alu instid0(VALU_DEP_1) | instskip(SKIP_1) | instid1(VALU_DEP_1)
	v_fma_f64 v[4:5], v[4:5], v[16:17], -v[10:11]
	v_fmaak_f64 v[16:17], v[12:13], v[36:37], 0x3f81111111122322
	v_fmaak_f64 v[16:17], v[12:13], v[16:17], 0x3fa55555555502a1
	s_delay_alu instid0(VALU_DEP_1) | instskip(NEXT) | instid1(VALU_DEP_1)
	v_fmaak_f64 v[16:17], v[12:13], v[16:17], 0x3fc5555555555511
	v_fmaak_f64 v[16:17], v[12:13], v[16:17], 0x3fe000000000000b
	s_delay_alu instid0(VALU_DEP_1) | instskip(SKIP_1) | instid1(VALU_DEP_2)
	v_fma_f64 v[16:17], v[12:13], v[16:17], 1.0
	v_add_f64_e32 v[4:5], 0x3fe5a84e9035a22a, v[4:5]
	v_fma_f64 v[12:13], v[12:13], v[16:17], 1.0
	v_fma_f64 v[16:17], v[30:31], v[24:25], -v[22:23]
	s_delay_alu instid0(VALU_DEP_3) | instskip(SKIP_1) | instid1(VALU_DEP_4)
	v_add_f64_e64 v[4:5], v[4:5], -v[10:11]
	v_add_f64_e32 v[10:11], v[48:49], v[20:21]
	v_ldexp_f64 v[12:13], v[12:13], v15
	s_delay_alu instid0(VALU_DEP_4) | instskip(NEXT) | instid1(VALU_DEP_4)
	v_add_f64_e32 v[16:17], 0xbfe12166e9d2f61f, v[16:17]
	v_mul_f64_e32 v[4:5], 0.5, v[4:5]
	s_delay_alu instid0(VALU_DEP_4) | instskip(SKIP_2) | instid1(VALU_DEP_2)
	v_cndmask_b32_e32 v11, 0x7ff00000, v11, vcc_lo
	s_and_b32 vcc_lo, s0, vcc_lo
	v_cndmask_b32_e32 v10, 0, v10, vcc_lo
	v_cndmask_b32_e64 v11, 0xfff00000, v11, s0
	v_add_f64_e64 v[16:17], v[16:17], -v[22:23]
	v_mul_f64_e32 v[4:5], v[12:13], v[4:5]
	s_delay_alu instid0(VALU_DEP_1) | instskip(NEXT) | instid1(VALU_DEP_1)
	v_mul_f64_e32 v[4:5], v[10:11], v[4:5]
	v_fma_f64 v[4:5], v[16:17], 0.5, -v[4:5]
	s_delay_alu instid0(VALU_DEP_1)
	v_mul_f64_e32 v[4:5], v[12:13], v[4:5]
                                        ; implicit-def: $vgpr12_vgpr13
.LBB1_12:
	s_and_not1_saveexec_b32 s0, s5
	s_cbranch_execz .LBB1_14
; %bb.13:
	v_div_scale_f64 v[4:5], null, v[12:13], v[12:13], 0x40200000
	v_div_scale_f64 v[18:19], vcc_lo, 0x40200000, v[12:13], 0x40200000
	s_mov_b64 s[6:7], 0x3c5871a5cf8c9ee1
	v_rcp_f64_e32 v[10:11], v[4:5]
	v_nop
	s_delay_alu instid0(TRANS32_DEP_1) | instskip(NEXT) | instid1(VALU_DEP_1)
	v_fma_f64 v[16:17], -v[4:5], v[10:11], 1.0
	v_fmac_f64_e32 v[10:11], v[10:11], v[16:17]
	s_delay_alu instid0(VALU_DEP_1) | instskip(NEXT) | instid1(VALU_DEP_1)
	v_fma_f64 v[16:17], -v[4:5], v[10:11], 1.0
	v_fmac_f64_e32 v[10:11], v[10:11], v[16:17]
	s_delay_alu instid0(VALU_DEP_1) | instskip(NEXT) | instid1(VALU_DEP_1)
	v_mul_f64_e32 v[16:17], v[18:19], v[10:11]
	v_fma_f64 v[4:5], -v[4:5], v[16:17], v[18:19]
	s_delay_alu instid0(VALU_DEP_1) | instskip(SKIP_1) | instid1(VALU_DEP_2)
	v_div_fmas_f64 v[4:5], v[4:5], v[10:11], v[16:17]
	v_cmp_gt_f64_e32 vcc_lo, 0x10000000, v[12:13]
	v_div_fixup_f64 v[4:5], v[4:5], v[12:13], 0x40200000
	v_cndmask_b32_e64 v15, 0, 0x100, vcc_lo
	s_delay_alu instid0(VALU_DEP_1) | instskip(NEXT) | instid1(VALU_DEP_3)
	v_ldexp_f64 v[12:13], v[12:13], v15
	v_add_f64_e32 v[4:5], -2.0, v[4:5]
	s_delay_alu instid0(VALU_DEP_2) | instskip(NEXT) | instid1(VALU_DEP_1)
	v_rsq_f64_e32 v[18:19], v[12:13]
	v_fmaak_f64 v[10:11], s[6:7], v[4:5], 0xbc72fecc93812603
	s_delay_alu instid0(VALU_DEP_1) | instskip(NEXT) | instid1(TRANS32_DEP_1)
	v_fmaak_f64 v[16:17], v[4:5], v[10:11], 0xbc5871a5cf8c9ee1
	v_mul_f64_e32 v[20:21], v[12:13], v[18:19]
	v_mul_f64_e32 v[18:19], 0.5, v[18:19]
	s_delay_alu instid0(VALU_DEP_3) | instskip(NEXT) | instid1(VALU_DEP_2)
	v_add_f64_e32 v[16:17], 0x3c8e092e41a8cdf4, v[16:17]
	v_fma_f64 v[22:23], -v[18:19], v[20:21], 0.5
	s_delay_alu instid0(VALU_DEP_2) | instskip(NEXT) | instid1(VALU_DEP_2)
	v_fma_f64 v[10:11], v[4:5], v[16:17], -v[10:11]
	v_fmac_f64_e32 v[20:21], v[20:21], v[22:23]
	s_delay_alu instid0(VALU_DEP_2) | instskip(SKIP_1) | instid1(VALU_DEP_3)
	v_add_f64_e32 v[10:11], 0xbca82f9474d77641, v[10:11]
	v_fmac_f64_e32 v[18:19], v[18:19], v[22:23]
	v_fma_f64 v[22:23], -v[20:21], v[20:21], v[12:13]
	s_delay_alu instid0(VALU_DEP_3) | instskip(NEXT) | instid1(VALU_DEP_2)
	v_fma_f64 v[16:17], v[4:5], v[10:11], -v[16:17]
	v_fmac_f64_e32 v[20:21], v[22:23], v[18:19]
	s_delay_alu instid0(VALU_DEP_2) | instskip(NEXT) | instid1(VALU_DEP_1)
	v_add_f64_e32 v[16:17], 0x3cc3dbf96b94785b, v[16:17]
	v_fma_f64 v[10:11], v[4:5], v[16:17], -v[10:11]
	s_delay_alu instid0(VALU_DEP_1) | instskip(NEXT) | instid1(VALU_DEP_1)
	v_add_f64_e32 v[10:11], 0xbce0a690ecfadd36, v[10:11]
	v_fma_f64 v[16:17], v[4:5], v[10:11], -v[16:17]
	s_delay_alu instid0(VALU_DEP_1) | instskip(NEXT) | instid1(VALU_DEP_1)
	;; [unrolled: 3-line block ×19, first 2 shown]
	v_add_f64_e32 v[10:11], 0xbfa019f72d4ff71e, v[10:11]
	v_fma_f64 v[4:5], v[4:5], v[10:11], -v[16:17]
	v_fma_f64 v[10:11], -v[20:21], v[20:21], v[12:13]
	s_delay_alu instid0(VALU_DEP_2) | instskip(NEXT) | instid1(VALU_DEP_2)
	v_add_f64_e32 v[4:5], 0x400385bd9f4e6907, v[4:5]
	v_fmac_f64_e32 v[20:21], v[10:11], v[18:19]
	v_cndmask_b32_e64 v10, 0, 0xffffff80, vcc_lo
	v_cmp_class_f64_e64 vcc_lo, v[12:13], 0x260
	s_delay_alu instid0(VALU_DEP_4) | instskip(NEXT) | instid1(VALU_DEP_3)
	v_add_f64_e64 v[4:5], v[4:5], -v[16:17]
	v_ldexp_f64 v[10:11], v[20:21], v10
	s_delay_alu instid0(VALU_DEP_2) | instskip(NEXT) | instid1(VALU_DEP_2)
	v_mul_f64_e32 v[4:5], 0.5, v[4:5]
	v_dual_cndmask_b32 v11, v11, v13 :: v_dual_cndmask_b32 v10, v10, v12
	s_delay_alu instid0(VALU_DEP_1) | instskip(NEXT) | instid1(VALU_DEP_1)
	v_div_scale_f64 v[12:13], null, v[10:11], v[10:11], v[4:5]
	v_rcp_f64_e32 v[16:17], v[12:13]
	v_nop
	s_delay_alu instid0(TRANS32_DEP_1) | instskip(NEXT) | instid1(VALU_DEP_1)
	v_fma_f64 v[18:19], -v[12:13], v[16:17], 1.0
	v_fmac_f64_e32 v[16:17], v[16:17], v[18:19]
	s_delay_alu instid0(VALU_DEP_1) | instskip(NEXT) | instid1(VALU_DEP_1)
	v_fma_f64 v[18:19], -v[12:13], v[16:17], 1.0
	v_fmac_f64_e32 v[16:17], v[16:17], v[18:19]
	v_div_scale_f64 v[18:19], vcc_lo, v[4:5], v[10:11], v[4:5]
	s_delay_alu instid0(VALU_DEP_1) | instskip(NEXT) | instid1(VALU_DEP_1)
	v_mul_f64_e32 v[20:21], v[18:19], v[16:17]
	v_fma_f64 v[12:13], -v[12:13], v[20:21], v[18:19]
	s_delay_alu instid0(VALU_DEP_1) | instskip(NEXT) | instid1(VALU_DEP_1)
	v_div_fmas_f64 v[12:13], v[12:13], v[16:17], v[20:21]
	v_div_fixup_f64 v[4:5], v[12:13], v[10:11], v[4:5]
.LBB1_14:
	s_or_b32 exec_lo, exec_lo, s0
.LBB1_15:
	s_delay_alu instid0(SALU_CYCLE_1)
	s_or_b32 exec_lo, exec_lo, s4
.LBB1_16:
	s_delay_alu instid0(SALU_CYCLE_1)
	s_or_b32 exec_lo, exec_lo, s1
	v_mov_b64_e32 v[12:13], 0x7ff0000000000000
	v_mov_b64_e32 v[10:11], 0x7ff0000000000000
	s_mov_b32 s1, exec_lo
	s_wait_loadcnt_dscnt 0x0
	v_cmpx_neq_f64_e32 0, v[6:7]
	s_cbranch_execz .LBB1_24
; %bb.17:
	v_mov_b64_e32 v[10:11], 0x7ff8000000000000
	s_mov_b32 s4, exec_lo
	v_cmpx_ngt_f64_e32 0, v[6:7]
	s_cbranch_execz .LBB1_23
; %bb.18:
	s_mov_b32 s0, exec_lo
	v_cmpx_ge_f64_e32 2.0, v[6:7]
	s_xor_b32 s5, exec_lo, s0
	s_cbranch_execz .LBB1_20
; %bb.19:
	v_fma_f64 v[10:11], v[6:7], 0.5, -2.0
	s_mov_b64 s[6:7], 0xbc545cb72134d0ef
	v_mul_f64_e32 v[20:21], 0.5, v[6:7]
	s_delay_alu instid0(VALU_DEP_2) | instskip(SKIP_1) | instid1(VALU_DEP_2)
	v_fmaak_f64 v[16:17], s[6:7], v[10:11], 0x3c833362977da589
	s_mov_b64 s[6:7], 0x3fe5555555555555
	v_frexp_mant_f64_e32 v[22:23], v[20:21]
	v_cmp_neq_f64_e64 s0, 0, v[20:21]
	s_delay_alu instid0(VALU_DEP_3) | instskip(NEXT) | instid1(VALU_DEP_1)
	v_fmaak_f64 v[18:19], v[10:11], v[16:17], 0x3c545cb72134d0ef
	v_add_f64_e32 v[18:19], 0xbcb184eb721ebbb4, v[18:19]
	s_delay_alu instid0(VALU_DEP_4) | instskip(SKIP_1) | instid1(VALU_DEP_2)
	v_cmp_gt_f64_e32 vcc_lo, s[6:7], v[22:23]
	s_mov_b64 s[6:7], 0x3fc3ab76bf559e2b
	v_fma_f64 v[16:17], v[10:11], v[18:19], -v[16:17]
	v_cndmask_b32_e64 v15, 0, 1, vcc_lo
	s_delay_alu instid0(VALU_DEP_1) | instskip(SKIP_1) | instid1(VALU_DEP_4)
	v_ldexp_f64 v[22:23], v[22:23], v15
	v_frexp_exp_i32_f64_e32 v15, v[20:21]
	v_add_f64_e32 v[16:17], 0x3cdee6d893f65eba, v[16:17]
	s_delay_alu instid0(VALU_DEP_3) | instskip(SKIP_1) | instid1(VALU_DEP_4)
	v_add_f64_e32 v[24:25], 1.0, v[22:23]
	v_add_f64_e32 v[30:31], -1.0, v[22:23]
	v_subrev_co_ci_u32_e64 v15, null, 0, v15, vcc_lo
	v_cmp_neq_f64_e32 vcc_lo, 0x7ff00000, v[20:21]
	v_fma_f64 v[18:19], v[10:11], v[16:17], -v[18:19]
	v_rcp_f64_e32 v[26:27], v[24:25]
	v_add_f64_e32 v[32:33], -1.0, v[24:25]
	s_delay_alu instid0(VALU_DEP_2) | instskip(NEXT) | instid1(VALU_DEP_2)
	v_add_f64_e32 v[18:19], 0xbd0a5022c297fbeb, v[18:19]
	v_add_f64_e64 v[22:23], v[22:23], -v[32:33]
	s_delay_alu instid0(TRANS32_DEP_1) | instskip(NEXT) | instid1(VALU_DEP_3)
	v_fma_f64 v[28:29], -v[24:25], v[26:27], 1.0
	v_fma_f64 v[16:17], v[10:11], v[18:19], -v[16:17]
	s_delay_alu instid0(VALU_DEP_2) | instskip(NEXT) | instid1(VALU_DEP_2)
	v_fmac_f64_e32 v[26:27], v[28:29], v[26:27]
	v_add_f64_e32 v[16:17], 0x3d359b464b262627, v[16:17]
	s_delay_alu instid0(VALU_DEP_2) | instskip(NEXT) | instid1(VALU_DEP_2)
	v_fma_f64 v[28:29], -v[24:25], v[26:27], 1.0
	v_fma_f64 v[18:19], v[10:11], v[16:17], -v[18:19]
	s_delay_alu instid0(VALU_DEP_2) | instskip(NEXT) | instid1(VALU_DEP_2)
	v_fmac_f64_e32 v[26:27], v[28:29], v[26:27]
	v_add_f64_e32 v[18:19], 0xbd61164c62ee1af0, v[18:19]
	s_delay_alu instid0(VALU_DEP_2) | instskip(NEXT) | instid1(VALU_DEP_2)
	v_mul_f64_e32 v[28:29], v[30:31], v[26:27]
	v_fma_f64 v[16:17], v[10:11], v[18:19], -v[16:17]
	s_delay_alu instid0(VALU_DEP_2) | instskip(NEXT) | instid1(VALU_DEP_2)
	v_mul_f64_e32 v[34:35], v[24:25], v[28:29]
	v_add_f64_e32 v[16:17], 0x3d89fe2fe19bd324, v[16:17]
	s_delay_alu instid0(VALU_DEP_2) | instskip(NEXT) | instid1(VALU_DEP_2)
	v_fma_f64 v[24:25], v[28:29], v[24:25], -v[34:35]
	v_fma_f64 v[18:19], v[10:11], v[16:17], -v[18:19]
	s_delay_alu instid0(VALU_DEP_2) | instskip(NEXT) | instid1(VALU_DEP_2)
	v_fmac_f64_e32 v[24:25], v[28:29], v[22:23]
	v_add_f64_e32 v[18:19], 0xbdb2fc957a946abc, v[18:19]
	s_delay_alu instid0(VALU_DEP_2) | instskip(NEXT) | instid1(VALU_DEP_2)
	v_add_f64_e32 v[22:23], v[34:35], v[24:25]
	v_fma_f64 v[16:17], v[10:11], v[18:19], -v[16:17]
	s_delay_alu instid0(VALU_DEP_2) | instskip(NEXT) | instid1(VALU_DEP_2)
	v_add_f64_e64 v[32:33], v[30:31], -v[22:23]
	v_add_f64_e32 v[16:17], 0x3dda98becc743c10, v[16:17]
	v_add_f64_e64 v[34:35], v[22:23], -v[34:35]
	s_delay_alu instid0(VALU_DEP_3) | instskip(NEXT) | instid1(VALU_DEP_3)
	v_add_f64_e64 v[30:31], v[30:31], -v[32:33]
	v_fma_f64 v[18:19], v[10:11], v[16:17], -v[18:19]
	s_delay_alu instid0(VALU_DEP_3) | instskip(SKIP_1) | instid1(VALU_DEP_4)
	v_add_f64_e64 v[24:25], v[34:35], -v[24:25]
	v_cvt_f64_i32_e32 v[34:35], v15
	v_add_f64_e64 v[22:23], v[30:31], -v[22:23]
	s_delay_alu instid0(VALU_DEP_4) | instskip(NEXT) | instid1(VALU_DEP_3)
	v_add_f64_e32 v[18:19], 0xbe01d4fe13ae9556, v[18:19]
	v_mul_f64_e32 v[36:37], 0x3fe62e42fefa39ef, v[34:35]
	s_delay_alu instid0(VALU_DEP_3) | instskip(NEXT) | instid1(VALU_DEP_3)
	v_add_f64_e32 v[22:23], v[24:25], v[22:23]
	v_fma_f64 v[16:17], v[10:11], v[18:19], -v[16:17]
	s_delay_alu instid0(VALU_DEP_2) | instskip(NEXT) | instid1(VALU_DEP_2)
	v_add_f64_e32 v[22:23], v[32:33], v[22:23]
	v_add_f64_e32 v[16:17], 0x3e26d903a454cb34, v[16:17]
	s_delay_alu instid0(VALU_DEP_2) | instskip(NEXT) | instid1(VALU_DEP_2)
	v_mul_f64_e32 v[22:23], v[26:27], v[22:23]
	v_fma_f64 v[18:19], v[10:11], v[16:17], -v[18:19]
	s_delay_alu instid0(VALU_DEP_2) | instskip(NEXT) | instid1(VALU_DEP_2)
	v_add_f64_e32 v[24:25], v[28:29], v[22:23]
	v_add_f64_e32 v[18:19], 0xbe4beaf68c0b30ab, v[18:19]
	s_delay_alu instid0(VALU_DEP_2) | instskip(NEXT) | instid1(VALU_DEP_2)
	v_mul_f64_e32 v[26:27], v[24:25], v[24:25]
	v_fma_f64 v[16:17], v[10:11], v[18:19], -v[16:17]
	s_delay_alu instid0(VALU_DEP_2) | instskip(NEXT) | instid1(VALU_DEP_2)
	v_fmaak_f64 v[30:31], s[6:7], v[26:27], 0x3fc385386b47b09a
	v_add_f64_e32 v[16:17], 0x3e703b769d4d6435, v[16:17]
	v_mul_f64_e32 v[32:33], v[24:25], v[26:27]
	s_mov_b64 s[6:7], 0x3ca3cee1e6a7fd77
	s_delay_alu instid0(VALU_DEP_3) | instskip(NEXT) | instid1(VALU_DEP_1)
	v_fmaak_f64 v[30:31], v[26:27], v[30:31], 0x3fc7474dd7f4df2e
	v_fmaak_f64 v[30:31], v[26:27], v[30:31], 0x3fcc71c016291751
	s_delay_alu instid0(VALU_DEP_1) | instskip(NEXT) | instid1(VALU_DEP_1)
	v_fmaak_f64 v[30:31], v[26:27], v[30:31], 0x3fd249249b27acf1
	v_fmaak_f64 v[30:31], v[26:27], v[30:31], 0x3fd99999998ef7b6
	v_fma_f64 v[18:19], v[10:11], v[16:17], -v[18:19]
	s_delay_alu instid0(VALU_DEP_2) | instskip(SKIP_2) | instid1(VALU_DEP_3)
	v_fmaak_f64 v[26:27], v[26:27], v[30:31], 0x3fe5555555555780
	v_ldexp_f64 v[30:31], v[24:25], 1
	v_add_f64_e64 v[24:25], v[24:25], -v[28:29]
	v_mul_f64_e32 v[26:27], v[32:33], v[26:27]
	v_fma_f64 v[32:33], v[6:7], v[6:7], -2.0
	v_add_f64_e32 v[18:19], 0xbe91ec638f227f8d, v[18:19]
	s_delay_alu instid0(VALU_DEP_4) | instskip(NEXT) | instid1(VALU_DEP_4)
	v_add_f64_e64 v[22:23], v[22:23], -v[24:25]
	v_add_f64_e32 v[28:29], v[30:31], v[26:27]
	s_delay_alu instid0(VALU_DEP_3) | instskip(NEXT) | instid1(VALU_DEP_3)
	v_fma_f64 v[16:17], v[10:11], v[18:19], -v[16:17]
	v_ldexp_f64 v[22:23], v[22:23], 1
	s_delay_alu instid0(VALU_DEP_3) | instskip(SKIP_2) | instid1(VALU_DEP_1)
	v_add_f64_e64 v[24:25], v[28:29], -v[30:31]
	v_fmaak_f64 v[30:31], s[6:7], v[32:33], 0x3d27fb0ac384c2aa
	s_mov_b64 s[6:7], 0x3fe62e42fefa39ef
	v_fmaak_f64 v[38:39], v[32:33], v[30:31], 0xbca3cee1e6a7fd77
	v_add_f64_e32 v[16:17], 0x3eb2bf24978cf4ac, v[16:17]
	s_delay_alu instid0(VALU_DEP_4) | instskip(NEXT) | instid1(VALU_DEP_3)
	v_add_f64_e64 v[24:25], v[26:27], -v[24:25]
	v_add_f64_e32 v[26:27], 0x3da6c25c47512144, v[38:39]
	v_fma_f64 v[38:39], v[34:35], s[6:7], -v[36:37]
	s_mov_b64 s[6:7], 0x3e5ade156a5dcb37
	s_delay_alu instid0(VALU_DEP_4) | instskip(NEXT) | instid1(VALU_DEP_4)
	v_fma_f64 v[18:19], v[10:11], v[16:17], -v[18:19]
	v_add_f64_e32 v[22:23], v[22:23], v[24:25]
	s_delay_alu instid0(VALU_DEP_4) | instskip(NEXT) | instid1(VALU_DEP_4)
	v_fma_f64 v[24:25], v[32:33], v[26:27], -v[30:31]
	v_fmamk_f64 v[30:31], v[34:35], 0x3c7abc9e3b39803f, v[38:39]
	s_delay_alu instid0(VALU_DEP_1) | instskip(SKIP_3) | instid1(VALU_DEP_4)
	v_add_f64_e32 v[38:39], v[36:37], v[30:31]
	v_add_f64_e32 v[18:19], 0xbed2866fcba56427, v[18:19]
	;; [unrolled: 1-line block ×4, first 2 shown]
	v_add_f64_e64 v[36:37], v[38:39], -v[36:37]
	s_delay_alu instid0(VALU_DEP_4) | instskip(NEXT) | instid1(VALU_DEP_4)
	v_fma_f64 v[16:17], v[10:11], v[18:19], -v[16:17]
	v_add_f64_e32 v[48:49], v[38:39], v[34:35]
	s_delay_alu instid0(VALU_DEP_4) | instskip(SKIP_1) | instid1(VALU_DEP_4)
	v_fma_f64 v[26:27], v[32:33], v[24:25], -v[26:27]
	v_add_f64_e64 v[28:29], v[34:35], -v[28:29]
	v_add_f64_e32 v[16:17], 0x3ef13f58be9a2859, v[16:17]
	s_delay_alu instid0(VALU_DEP_4) | instskip(NEXT) | instid1(VALU_DEP_4)
	v_add_f64_e64 v[50:51], v[48:49], -v[38:39]
	v_add_f64_e32 v[26:27], 0x3e9102bce7f95efc, v[26:27]
	s_delay_alu instid0(VALU_DEP_4)
	v_add_f64_e64 v[22:23], v[22:23], -v[28:29]
	v_add_f64_e64 v[28:29], v[30:31], -v[36:37]
	v_mul_f64_e32 v[36:37], 0x3ff71547652b82fe, v[6:7]
	v_fma_f64 v[18:19], v[10:11], v[16:17], -v[18:19]
	v_add_f64_e64 v[52:53], v[48:49], -v[50:51]
	v_fma_f64 v[24:25], v[32:33], v[26:27], -v[24:25]
	v_add_f64_e64 v[34:35], v[34:35], -v[50:51]
	s_delay_alu instid0(VALU_DEP_4) | instskip(NEXT) | instid1(VALU_DEP_4)
	v_add_f64_e32 v[18:19], 0xbf0e2b2659c41d5a, v[18:19]
	v_add_f64_e64 v[30:31], v[38:39], -v[52:53]
	s_delay_alu instid0(VALU_DEP_4) | instskip(SKIP_1) | instid1(VALU_DEP_4)
	v_add_f64_e32 v[24:25], 0x3ef7f900fe8cfca0, v[24:25]
	v_add_f64_e32 v[38:39], v[28:29], v[22:23]
	v_fma_f64 v[16:17], v[10:11], v[18:19], -v[16:17]
	s_delay_alu instid0(VALU_DEP_4) | instskip(NEXT) | instid1(VALU_DEP_4)
	v_add_f64_e32 v[30:31], v[34:35], v[30:31]
	v_fma_f64 v[26:27], v[32:33], v[24:25], -v[26:27]
	v_rndne_f64_e32 v[34:35], v[36:37]
	v_add_f64_e64 v[36:37], v[38:39], -v[28:29]
	v_add_f64_e32 v[16:17], 0x3f28b51b74107cab, v[16:17]
	v_add_f64_e32 v[30:31], v[38:39], v[30:31]
	;; [unrolled: 1-line block ×3, first 2 shown]
	v_fmamk_f64 v[50:51], v[34:35], 0xbfe62e42fefa39ef, v[6:7]
	v_add_f64_e64 v[38:39], v[38:39], -v[36:37]
	v_add_f64_e64 v[22:23], v[22:23], -v[36:37]
	v_cvt_i32_f64_e32 v15, v[34:35]
	s_delay_alu instid0(VALU_DEP_4) | instskip(NEXT) | instid1(VALU_DEP_1)
	v_fmamk_f64 v[50:51], v[34:35], 0xbc7abc9e3b39803f, v[50:51]
	v_fmaak_f64 v[54:55], s[6:7], v[50:51], 0x3e928af3fca7ab0c
	s_delay_alu instid0(VALU_DEP_1) | instskip(SKIP_1) | instid1(VALU_DEP_2)
	v_fmaak_f64 v[54:55], v[50:51], v[54:55], 0x3ec71dee623fde64
	v_fma_f64 v[18:19], v[10:11], v[16:17], -v[18:19]
	v_fmaak_f64 v[54:55], v[50:51], v[54:55], 0x3efa01997c89e6b0
	v_add_f64_e32 v[52:53], v[48:49], v[30:31]
	v_fma_f64 v[24:25], v[32:33], v[26:27], -v[24:25]
	v_add_f64_e64 v[28:29], v[28:29], -v[38:39]
	s_delay_alu instid0(VALU_DEP_4) | instskip(NEXT) | instid1(VALU_DEP_1)
	v_fmaak_f64 v[54:55], v[50:51], v[54:55], 0x3f2a01a014761f6e
	v_fmaak_f64 v[38:39], v[50:51], v[54:55], 0x3f56c16c1852b7b0
	v_add_f64_e32 v[18:19], 0xbf42e2fd1f15eb52, v[18:19]
	v_add_f64_e64 v[36:37], v[52:53], -v[48:49]
	v_add_f64_e32 v[24:25], 0x3fa26bf6554a9085, v[24:25]
	v_add_f64_e32 v[22:23], v[22:23], v[28:29]
	s_delay_alu instid0(VALU_DEP_4) | instskip(NEXT) | instid1(VALU_DEP_4)
	v_fma_f64 v[16:17], v[10:11], v[18:19], -v[16:17]
	v_add_f64_e64 v[28:29], v[30:31], -v[36:37]
	s_delay_alu instid0(VALU_DEP_4) | instskip(NEXT) | instid1(VALU_DEP_3)
	v_fma_f64 v[26:27], v[32:33], v[24:25], -v[26:27]
	v_add_f64_e32 v[16:17], 0x3f5adc758a12100e, v[16:17]
	s_delay_alu instid0(VALU_DEP_3) | instskip(NEXT) | instid1(VALU_DEP_3)
	v_add_f64_e32 v[22:23], v[22:23], v[28:29]
	v_add_f64_e32 v[26:27], 0x3fd608d881213db9, v[26:27]
	s_delay_alu instid0(VALU_DEP_3) | instskip(NEXT) | instid1(VALU_DEP_1)
	v_fma_f64 v[18:19], v[10:11], v[16:17], -v[18:19]
	v_add_f64_e32 v[18:19], 0xbf71b65e201aa849, v[18:19]
	s_delay_alu instid0(VALU_DEP_1) | instskip(NEXT) | instid1(VALU_DEP_1)
	v_fma_f64 v[16:17], v[10:11], v[18:19], -v[16:17]
	v_add_f64_e32 v[16:17], 0x3f859961f3dde3dd, v[16:17]
	s_delay_alu instid0(VALU_DEP_1) | instskip(NEXT) | instid1(VALU_DEP_1)
	v_fma_f64 v[18:19], v[10:11], v[16:17], -v[18:19]
	v_add_f64_e32 v[18:19], 0xbf984e9ef121b6f0, v[18:19]
	s_delay_alu instid0(VALU_DEP_1) | instskip(NEXT) | instid1(VALU_DEP_1)
	v_fma_f64 v[16:17], v[10:11], v[18:19], -v[16:17]
	v_add_f64_e32 v[16:17], 0x3fa93e8acea8a32d, v[16:17]
	s_delay_alu instid0(VALU_DEP_1) | instskip(NEXT) | instid1(VALU_DEP_1)
	v_fma_f64 v[18:19], v[10:11], v[16:17], -v[18:19]
	v_add_f64_e32 v[18:19], 0xbfb84b70342d06ea, v[18:19]
	s_delay_alu instid0(VALU_DEP_1) | instskip(NEXT) | instid1(VALU_DEP_1)
	v_fma_f64 v[16:17], v[10:11], v[18:19], -v[16:17]
	v_add_f64_e32 v[16:17], 0x3fc5f7ac77ac88c0, v[16:17]
	s_delay_alu instid0(VALU_DEP_1) | instskip(NEXT) | instid1(VALU_DEP_1)
	v_fma_f64 v[18:19], v[10:11], v[16:17], -v[18:19]
	v_add_f64_e32 v[18:19], 0xbfd37febc057cd8d, v[18:19]
	s_delay_alu instid0(VALU_DEP_1) | instskip(SKIP_1) | instid1(VALU_DEP_1)
	v_fma_f64 v[10:11], v[10:11], v[18:19], -v[16:17]
	v_fmaak_f64 v[18:19], v[50:51], v[38:39], 0x3f81111111122322
	v_fmaak_f64 v[18:19], v[50:51], v[18:19], 0x3fa55555555502a1
	s_delay_alu instid0(VALU_DEP_1) | instskip(NEXT) | instid1(VALU_DEP_1)
	v_fmaak_f64 v[18:19], v[50:51], v[18:19], 0x3fc5555555555511
	v_fmaak_f64 v[18:19], v[50:51], v[18:19], 0x3fe000000000000b
	s_delay_alu instid0(VALU_DEP_1) | instskip(SKIP_1) | instid1(VALU_DEP_2)
	v_fma_f64 v[18:19], v[50:51], v[18:19], 1.0
	v_add_f64_e32 v[10:11], 0x3fe5a84e9035a22a, v[10:11]
	v_fma_f64 v[18:19], v[50:51], v[18:19], 1.0
	s_delay_alu instid0(VALU_DEP_2) | instskip(SKIP_2) | instid1(VALU_DEP_4)
	v_add_f64_e64 v[10:11], v[10:11], -v[16:17]
	v_add_f64_e32 v[16:17], v[52:53], v[22:23]
	v_fma_f64 v[22:23], v[32:33], v[26:27], -v[24:25]
	v_ldexp_f64 v[18:19], v[18:19], v15
	s_delay_alu instid0(VALU_DEP_4) | instskip(NEXT) | instid1(VALU_DEP_4)
	v_mul_f64_e32 v[10:11], 0.5, v[10:11]
	v_cndmask_b32_e32 v15, 0x7ff00000, v17, vcc_lo
	s_delay_alu instid0(VALU_DEP_4) | instskip(SKIP_2) | instid1(VALU_DEP_3)
	v_add_f64_e32 v[20:21], 0xbfe12166e9d2f61f, v[22:23]
	s_and_b32 vcc_lo, s0, vcc_lo
	v_cndmask_b32_e32 v16, 0, v16, vcc_lo
	v_cndmask_b32_e64 v17, 0xfff00000, v15, s0
	v_mul_f64_e32 v[10:11], v[18:19], v[10:11]
	s_delay_alu instid0(VALU_DEP_4) | instskip(NEXT) | instid1(VALU_DEP_2)
	v_add_f64_e64 v[20:21], v[20:21], -v[24:25]
	v_mul_f64_e32 v[10:11], v[16:17], v[10:11]
	s_delay_alu instid0(VALU_DEP_1) | instskip(NEXT) | instid1(VALU_DEP_1)
	v_fma_f64 v[10:11], v[20:21], 0.5, -v[10:11]
	v_mul_f64_e32 v[10:11], v[18:19], v[10:11]
.LBB1_20:
	s_and_not1_saveexec_b32 s0, s5
	s_cbranch_execz .LBB1_22
; %bb.21:
	v_div_scale_f64 v[10:11], null, v[6:7], v[6:7], 0x40200000
	v_div_scale_f64 v[20:21], vcc_lo, 0x40200000, v[6:7], 0x40200000
	s_mov_b64 s[6:7], 0x3c5871a5cf8c9ee1
	v_rcp_f64_e32 v[16:17], v[10:11]
	v_nop
	s_delay_alu instid0(TRANS32_DEP_1) | instskip(NEXT) | instid1(VALU_DEP_1)
	v_fma_f64 v[18:19], -v[10:11], v[16:17], 1.0
	v_fmac_f64_e32 v[16:17], v[16:17], v[18:19]
	s_delay_alu instid0(VALU_DEP_1) | instskip(NEXT) | instid1(VALU_DEP_1)
	v_fma_f64 v[18:19], -v[10:11], v[16:17], 1.0
	v_fmac_f64_e32 v[16:17], v[16:17], v[18:19]
	s_delay_alu instid0(VALU_DEP_1) | instskip(NEXT) | instid1(VALU_DEP_1)
	v_mul_f64_e32 v[18:19], v[20:21], v[16:17]
	v_fma_f64 v[10:11], -v[10:11], v[18:19], v[20:21]
	s_delay_alu instid0(VALU_DEP_1) | instskip(SKIP_1) | instid1(VALU_DEP_2)
	v_div_fmas_f64 v[10:11], v[10:11], v[16:17], v[18:19]
	v_cmp_gt_f64_e32 vcc_lo, 0x10000000, v[6:7]
	v_div_fixup_f64 v[10:11], v[10:11], v[6:7], 0x40200000
	v_cndmask_b32_e64 v15, 0, 0x100, vcc_lo
	s_delay_alu instid0(VALU_DEP_1) | instskip(SKIP_1) | instid1(VALU_DEP_4)
	v_ldexp_f64 v[6:7], v[6:7], v15
	v_cndmask_b32_e64 v15, 0, 0xffffff80, vcc_lo
	v_add_f64_e32 v[10:11], -2.0, v[10:11]
	s_delay_alu instid0(VALU_DEP_3) | instskip(SKIP_1) | instid1(VALU_DEP_2)
	v_cmp_class_f64_e64 vcc_lo, v[6:7], 0x260
	v_rsq_f64_e32 v[20:21], v[6:7]
	v_fmaak_f64 v[16:17], s[6:7], v[10:11], 0xbc72fecc93812603
	s_delay_alu instid0(VALU_DEP_1) | instskip(NEXT) | instid1(TRANS32_DEP_1)
	v_fmaak_f64 v[18:19], v[10:11], v[16:17], 0xbc5871a5cf8c9ee1
	v_mul_f64_e32 v[22:23], v[6:7], v[20:21]
	s_delay_alu instid0(VALU_DEP_2) | instskip(SKIP_1) | instid1(VALU_DEP_2)
	v_add_f64_e32 v[18:19], 0x3c8e092e41a8cdf4, v[18:19]
	v_mul_f64_e32 v[20:21], 0.5, v[20:21]
	v_fma_f64 v[16:17], v[10:11], v[18:19], -v[16:17]
	s_delay_alu instid0(VALU_DEP_2) | instskip(NEXT) | instid1(VALU_DEP_2)
	v_fma_f64 v[24:25], -v[20:21], v[22:23], 0.5
	v_add_f64_e32 v[16:17], 0xbca82f9474d77641, v[16:17]
	s_delay_alu instid0(VALU_DEP_2) | instskip(SKIP_1) | instid1(VALU_DEP_3)
	v_fmac_f64_e32 v[22:23], v[22:23], v[24:25]
	v_fmac_f64_e32 v[20:21], v[20:21], v[24:25]
	v_fma_f64 v[18:19], v[10:11], v[16:17], -v[18:19]
	s_delay_alu instid0(VALU_DEP_3) | instskip(NEXT) | instid1(VALU_DEP_2)
	v_fma_f64 v[24:25], -v[22:23], v[22:23], v[6:7]
	v_add_f64_e32 v[18:19], 0x3cc3dbf96b94785b, v[18:19]
	s_delay_alu instid0(VALU_DEP_2) | instskip(NEXT) | instid1(VALU_DEP_2)
	v_fmac_f64_e32 v[22:23], v[24:25], v[20:21]
	v_fma_f64 v[16:17], v[10:11], v[18:19], -v[16:17]
	s_delay_alu instid0(VALU_DEP_1) | instskip(NEXT) | instid1(VALU_DEP_1)
	v_add_f64_e32 v[16:17], 0xbce0a690ecfadd36, v[16:17]
	v_fma_f64 v[18:19], v[10:11], v[16:17], -v[18:19]
	s_delay_alu instid0(VALU_DEP_1) | instskip(NEXT) | instid1(VALU_DEP_1)
	v_add_f64_e32 v[18:19], 0x3cfc8d9c4a7ddc98, v[18:19]
	v_fma_f64 v[16:17], v[10:11], v[18:19], -v[16:17]
	s_delay_alu instid0(VALU_DEP_1) | instskip(NEXT) | instid1(VALU_DEP_1)
	v_add_f64_e32 v[16:17], 0xbd19145ebb056fc2, v[16:17]
	v_fma_f64 v[18:19], v[10:11], v[16:17], -v[18:19]
	s_delay_alu instid0(VALU_DEP_1) | instskip(NEXT) | instid1(VALU_DEP_1)
	v_add_f64_e32 v[18:19], 0x3d369c4ecd94cfe2, v[18:19]
	v_fma_f64 v[16:17], v[10:11], v[18:19], -v[16:17]
	s_delay_alu instid0(VALU_DEP_1) | instskip(NEXT) | instid1(VALU_DEP_1)
	v_add_f64_e32 v[16:17], 0xbd54f87721a470d1, v[16:17]
	v_fma_f64 v[18:19], v[10:11], v[16:17], -v[18:19]
	s_delay_alu instid0(VALU_DEP_1) | instskip(NEXT) | instid1(VALU_DEP_1)
	v_add_f64_e32 v[18:19], 0x3d740fa32fccfc25, v[18:19]
	v_fma_f64 v[16:17], v[10:11], v[18:19], -v[16:17]
	s_delay_alu instid0(VALU_DEP_1) | instskip(NEXT) | instid1(VALU_DEP_1)
	v_add_f64_e32 v[16:17], 0xbd93dafc3f005143, v[16:17]
	v_fma_f64 v[18:19], v[10:11], v[16:17], -v[18:19]
	s_delay_alu instid0(VALU_DEP_1) | instskip(NEXT) | instid1(VALU_DEP_1)
	v_add_f64_e32 v[18:19], 0x3db46808475fbcc7, v[18:19]
	v_fma_f64 v[16:17], v[10:11], v[18:19], -v[16:17]
	s_delay_alu instid0(VALU_DEP_1) | instskip(NEXT) | instid1(VALU_DEP_1)
	v_add_f64_e32 v[16:17], 0xbdd5df95d2e7c935, v[16:17]
	v_fma_f64 v[18:19], v[10:11], v[16:17], -v[18:19]
	s_delay_alu instid0(VALU_DEP_1) | instskip(NEXT) | instid1(VALU_DEP_1)
	v_add_f64_e32 v[18:19], 0x3df8956c819ff608, v[18:19]
	v_fma_f64 v[16:17], v[10:11], v[18:19], -v[16:17]
	s_delay_alu instid0(VALU_DEP_1) | instskip(NEXT) | instid1(VALU_DEP_1)
	v_add_f64_e32 v[16:17], 0xbe1d29d5f22bf5db, v[16:17]
	v_fma_f64 v[18:19], v[10:11], v[16:17], -v[18:19]
	s_delay_alu instid0(VALU_DEP_1) | instskip(NEXT) | instid1(VALU_DEP_1)
	v_add_f64_e32 v[18:19], 0x3e4269a0033f428e, v[18:19]
	v_fma_f64 v[16:17], v[10:11], v[18:19], -v[16:17]
	s_delay_alu instid0(VALU_DEP_1) | instskip(NEXT) | instid1(VALU_DEP_1)
	v_add_f64_e32 v[16:17], 0xbe6905541b54f2af, v[16:17]
	v_fma_f64 v[18:19], v[10:11], v[16:17], -v[18:19]
	s_delay_alu instid0(VALU_DEP_1) | instskip(NEXT) | instid1(VALU_DEP_1)
	v_add_f64_e32 v[18:19], 0x3e92915981e3e46f, v[18:19]
	v_fma_f64 v[16:17], v[10:11], v[18:19], -v[16:17]
	s_delay_alu instid0(VALU_DEP_1) | instskip(NEXT) | instid1(VALU_DEP_1)
	v_add_f64_e32 v[16:17], 0xbebebb547f18d3a9, v[16:17]
	v_fma_f64 v[18:19], v[10:11], v[16:17], -v[18:19]
	s_delay_alu instid0(VALU_DEP_1) | instskip(NEXT) | instid1(VALU_DEP_1)
	v_add_f64_e32 v[18:19], 0x3eed413fcc7470a9, v[18:19]
	v_fma_f64 v[16:17], v[10:11], v[18:19], -v[16:17]
	s_delay_alu instid0(VALU_DEP_1) | instskip(NEXT) | instid1(VALU_DEP_1)
	v_add_f64_e32 v[16:17], 0xbf20d797e7889f42, v[16:17]
	v_fma_f64 v[18:19], v[10:11], v[16:17], -v[18:19]
	s_delay_alu instid0(VALU_DEP_1) | instskip(NEXT) | instid1(VALU_DEP_1)
	v_add_f64_e32 v[18:19], 0x3f59b891fca79342, v[18:19]
	v_fma_f64 v[16:17], v[10:11], v[18:19], -v[16:17]
	s_delay_alu instid0(VALU_DEP_1) | instskip(NEXT) | instid1(VALU_DEP_1)
	v_add_f64_e32 v[16:17], 0xbfa019f72d4ff71e, v[16:17]
	v_fma_f64 v[10:11], v[10:11], v[16:17], -v[18:19]
	v_fma_f64 v[16:17], -v[22:23], v[22:23], v[6:7]
	s_delay_alu instid0(VALU_DEP_2) | instskip(NEXT) | instid1(VALU_DEP_2)
	v_add_f64_e32 v[10:11], 0x400385bd9f4e6907, v[10:11]
	v_fmac_f64_e32 v[22:23], v[16:17], v[20:21]
	s_delay_alu instid0(VALU_DEP_2) | instskip(NEXT) | instid1(VALU_DEP_2)
	v_add_f64_e64 v[10:11], v[10:11], -v[18:19]
	v_ldexp_f64 v[16:17], v[22:23], v15
	s_delay_alu instid0(VALU_DEP_2) | instskip(NEXT) | instid1(VALU_DEP_2)
	v_mul_f64_e32 v[10:11], 0.5, v[10:11]
	v_dual_cndmask_b32 v7, v17, v7 :: v_dual_cndmask_b32 v6, v16, v6
	s_delay_alu instid0(VALU_DEP_1) | instskip(NEXT) | instid1(VALU_DEP_1)
	v_div_scale_f64 v[16:17], null, v[6:7], v[6:7], v[10:11]
	v_rcp_f64_e32 v[18:19], v[16:17]
	v_nop
	s_delay_alu instid0(TRANS32_DEP_1) | instskip(NEXT) | instid1(VALU_DEP_1)
	v_fma_f64 v[20:21], -v[16:17], v[18:19], 1.0
	v_fmac_f64_e32 v[18:19], v[18:19], v[20:21]
	s_delay_alu instid0(VALU_DEP_1) | instskip(NEXT) | instid1(VALU_DEP_1)
	v_fma_f64 v[20:21], -v[16:17], v[18:19], 1.0
	v_fmac_f64_e32 v[18:19], v[18:19], v[20:21]
	v_div_scale_f64 v[20:21], vcc_lo, v[10:11], v[6:7], v[10:11]
	s_delay_alu instid0(VALU_DEP_1) | instskip(NEXT) | instid1(VALU_DEP_1)
	v_mul_f64_e32 v[22:23], v[20:21], v[18:19]
	v_fma_f64 v[16:17], -v[16:17], v[22:23], v[20:21]
	s_delay_alu instid0(VALU_DEP_1) | instskip(NEXT) | instid1(VALU_DEP_1)
	v_div_fmas_f64 v[16:17], v[16:17], v[18:19], v[22:23]
	v_div_fixup_f64 v[10:11], v[16:17], v[6:7], v[10:11]
.LBB1_22:
	s_or_b32 exec_lo, exec_lo, s0
.LBB1_23:
	s_delay_alu instid0(SALU_CYCLE_1)
	s_or_b32 exec_lo, exec_lo, s4
.LBB1_24:
	s_delay_alu instid0(SALU_CYCLE_1) | instskip(NEXT) | instid1(SALU_CYCLE_1)
	s_or_b32 exec_lo, exec_lo, s1
	s_mov_b32 s1, exec_lo
	v_cmpx_neq_f64_e32 0, v[8:9]
	s_cbranch_execz .LBB1_32
; %bb.25:
	v_mov_b64_e32 v[12:13], 0x7ff8000000000000
	s_mov_b32 s4, exec_lo
	v_cmpx_ngt_f64_e32 0, v[8:9]
	s_cbranch_execz .LBB1_31
; %bb.26:
	s_mov_b32 s0, exec_lo
	v_cmpx_ge_f64_e32 2.0, v[8:9]
	s_xor_b32 s5, exec_lo, s0
	s_cbranch_execz .LBB1_28
; %bb.27:
	v_fma_f64 v[6:7], v[8:9], 0.5, -2.0
	s_mov_b64 s[6:7], 0xbc545cb72134d0ef
	v_mul_f64_e32 v[18:19], 0.5, v[8:9]
	s_delay_alu instid0(VALU_DEP_2) | instskip(SKIP_1) | instid1(VALU_DEP_2)
	v_fmaak_f64 v[12:13], s[6:7], v[6:7], 0x3c833362977da589
	s_mov_b64 s[6:7], 0x3fe5555555555555
	v_frexp_mant_f64_e32 v[20:21], v[18:19]
	v_cmp_neq_f64_e64 s0, 0, v[18:19]
	s_delay_alu instid0(VALU_DEP_3) | instskip(NEXT) | instid1(VALU_DEP_1)
	v_fmaak_f64 v[16:17], v[6:7], v[12:13], 0x3c545cb72134d0ef
	v_add_f64_e32 v[16:17], 0xbcb184eb721ebbb4, v[16:17]
	s_delay_alu instid0(VALU_DEP_4) | instskip(SKIP_1) | instid1(VALU_DEP_2)
	v_cmp_gt_f64_e32 vcc_lo, s[6:7], v[20:21]
	s_mov_b64 s[6:7], 0x3fc3ab76bf559e2b
	v_fma_f64 v[12:13], v[6:7], v[16:17], -v[12:13]
	v_cndmask_b32_e64 v15, 0, 1, vcc_lo
	s_delay_alu instid0(VALU_DEP_1) | instskip(SKIP_1) | instid1(VALU_DEP_4)
	v_ldexp_f64 v[20:21], v[20:21], v15
	v_frexp_exp_i32_f64_e32 v15, v[18:19]
	v_add_f64_e32 v[12:13], 0x3cdee6d893f65eba, v[12:13]
	s_delay_alu instid0(VALU_DEP_3) | instskip(SKIP_1) | instid1(VALU_DEP_4)
	v_add_f64_e32 v[22:23], 1.0, v[20:21]
	v_add_f64_e32 v[28:29], -1.0, v[20:21]
	v_subrev_co_ci_u32_e64 v15, null, 0, v15, vcc_lo
	v_cmp_neq_f64_e32 vcc_lo, 0x7ff00000, v[18:19]
	v_fma_f64 v[16:17], v[6:7], v[12:13], -v[16:17]
	v_rcp_f64_e32 v[24:25], v[22:23]
	v_add_f64_e32 v[30:31], -1.0, v[22:23]
	s_delay_alu instid0(VALU_DEP_2) | instskip(NEXT) | instid1(VALU_DEP_2)
	v_add_f64_e32 v[16:17], 0xbd0a5022c297fbeb, v[16:17]
	v_add_f64_e64 v[20:21], v[20:21], -v[30:31]
	s_delay_alu instid0(TRANS32_DEP_1) | instskip(NEXT) | instid1(VALU_DEP_3)
	v_fma_f64 v[26:27], -v[22:23], v[24:25], 1.0
	v_fma_f64 v[12:13], v[6:7], v[16:17], -v[12:13]
	s_delay_alu instid0(VALU_DEP_2) | instskip(NEXT) | instid1(VALU_DEP_2)
	v_fmac_f64_e32 v[24:25], v[26:27], v[24:25]
	v_add_f64_e32 v[12:13], 0x3d359b464b262627, v[12:13]
	s_delay_alu instid0(VALU_DEP_2) | instskip(NEXT) | instid1(VALU_DEP_2)
	v_fma_f64 v[26:27], -v[22:23], v[24:25], 1.0
	v_fma_f64 v[16:17], v[6:7], v[12:13], -v[16:17]
	s_delay_alu instid0(VALU_DEP_2) | instskip(NEXT) | instid1(VALU_DEP_2)
	v_fmac_f64_e32 v[24:25], v[26:27], v[24:25]
	v_add_f64_e32 v[16:17], 0xbd61164c62ee1af0, v[16:17]
	s_delay_alu instid0(VALU_DEP_2) | instskip(NEXT) | instid1(VALU_DEP_2)
	v_mul_f64_e32 v[26:27], v[28:29], v[24:25]
	v_fma_f64 v[12:13], v[6:7], v[16:17], -v[12:13]
	s_delay_alu instid0(VALU_DEP_2) | instskip(NEXT) | instid1(VALU_DEP_2)
	v_mul_f64_e32 v[32:33], v[22:23], v[26:27]
	v_add_f64_e32 v[12:13], 0x3d89fe2fe19bd324, v[12:13]
	s_delay_alu instid0(VALU_DEP_2) | instskip(NEXT) | instid1(VALU_DEP_2)
	v_fma_f64 v[22:23], v[26:27], v[22:23], -v[32:33]
	v_fma_f64 v[16:17], v[6:7], v[12:13], -v[16:17]
	s_delay_alu instid0(VALU_DEP_2) | instskip(NEXT) | instid1(VALU_DEP_2)
	v_fmac_f64_e32 v[22:23], v[26:27], v[20:21]
	v_add_f64_e32 v[16:17], 0xbdb2fc957a946abc, v[16:17]
	s_delay_alu instid0(VALU_DEP_2) | instskip(NEXT) | instid1(VALU_DEP_2)
	v_add_f64_e32 v[20:21], v[32:33], v[22:23]
	v_fma_f64 v[12:13], v[6:7], v[16:17], -v[12:13]
	s_delay_alu instid0(VALU_DEP_2) | instskip(NEXT) | instid1(VALU_DEP_2)
	v_add_f64_e64 v[30:31], v[28:29], -v[20:21]
	v_add_f64_e32 v[12:13], 0x3dda98becc743c10, v[12:13]
	v_add_f64_e64 v[32:33], v[20:21], -v[32:33]
	s_delay_alu instid0(VALU_DEP_3) | instskip(NEXT) | instid1(VALU_DEP_3)
	v_add_f64_e64 v[28:29], v[28:29], -v[30:31]
	v_fma_f64 v[16:17], v[6:7], v[12:13], -v[16:17]
	s_delay_alu instid0(VALU_DEP_3) | instskip(SKIP_1) | instid1(VALU_DEP_4)
	v_add_f64_e64 v[22:23], v[32:33], -v[22:23]
	v_cvt_f64_i32_e32 v[32:33], v15
	v_add_f64_e64 v[20:21], v[28:29], -v[20:21]
	s_delay_alu instid0(VALU_DEP_4) | instskip(NEXT) | instid1(VALU_DEP_3)
	v_add_f64_e32 v[16:17], 0xbe01d4fe13ae9556, v[16:17]
	v_mul_f64_e32 v[34:35], 0x3fe62e42fefa39ef, v[32:33]
	s_delay_alu instid0(VALU_DEP_3) | instskip(NEXT) | instid1(VALU_DEP_3)
	v_add_f64_e32 v[20:21], v[22:23], v[20:21]
	v_fma_f64 v[12:13], v[6:7], v[16:17], -v[12:13]
	s_delay_alu instid0(VALU_DEP_2) | instskip(NEXT) | instid1(VALU_DEP_2)
	v_add_f64_e32 v[20:21], v[30:31], v[20:21]
	v_add_f64_e32 v[12:13], 0x3e26d903a454cb34, v[12:13]
	s_delay_alu instid0(VALU_DEP_2) | instskip(NEXT) | instid1(VALU_DEP_2)
	v_mul_f64_e32 v[20:21], v[24:25], v[20:21]
	v_fma_f64 v[16:17], v[6:7], v[12:13], -v[16:17]
	s_delay_alu instid0(VALU_DEP_2) | instskip(NEXT) | instid1(VALU_DEP_2)
	v_add_f64_e32 v[22:23], v[26:27], v[20:21]
	v_add_f64_e32 v[16:17], 0xbe4beaf68c0b30ab, v[16:17]
	s_delay_alu instid0(VALU_DEP_2) | instskip(NEXT) | instid1(VALU_DEP_2)
	v_mul_f64_e32 v[24:25], v[22:23], v[22:23]
	v_fma_f64 v[12:13], v[6:7], v[16:17], -v[12:13]
	s_delay_alu instid0(VALU_DEP_2) | instskip(NEXT) | instid1(VALU_DEP_2)
	v_fmaak_f64 v[28:29], s[6:7], v[24:25], 0x3fc385386b47b09a
	v_add_f64_e32 v[12:13], 0x3e703b769d4d6435, v[12:13]
	v_mul_f64_e32 v[30:31], v[22:23], v[24:25]
	s_mov_b64 s[6:7], 0x3ca3cee1e6a7fd77
	s_delay_alu instid0(VALU_DEP_3) | instskip(NEXT) | instid1(VALU_DEP_1)
	v_fmaak_f64 v[28:29], v[24:25], v[28:29], 0x3fc7474dd7f4df2e
	v_fmaak_f64 v[28:29], v[24:25], v[28:29], 0x3fcc71c016291751
	s_delay_alu instid0(VALU_DEP_1) | instskip(NEXT) | instid1(VALU_DEP_1)
	v_fmaak_f64 v[28:29], v[24:25], v[28:29], 0x3fd249249b27acf1
	v_fmaak_f64 v[28:29], v[24:25], v[28:29], 0x3fd99999998ef7b6
	v_fma_f64 v[16:17], v[6:7], v[12:13], -v[16:17]
	s_delay_alu instid0(VALU_DEP_2) | instskip(SKIP_2) | instid1(VALU_DEP_3)
	v_fmaak_f64 v[24:25], v[24:25], v[28:29], 0x3fe5555555555780
	v_ldexp_f64 v[28:29], v[22:23], 1
	v_add_f64_e64 v[22:23], v[22:23], -v[26:27]
	v_mul_f64_e32 v[24:25], v[30:31], v[24:25]
	v_fma_f64 v[30:31], v[8:9], v[8:9], -2.0
	v_add_f64_e32 v[16:17], 0xbe91ec638f227f8d, v[16:17]
	s_delay_alu instid0(VALU_DEP_4) | instskip(NEXT) | instid1(VALU_DEP_4)
	v_add_f64_e64 v[20:21], v[20:21], -v[22:23]
	v_add_f64_e32 v[26:27], v[28:29], v[24:25]
	s_delay_alu instid0(VALU_DEP_3) | instskip(NEXT) | instid1(VALU_DEP_3)
	v_fma_f64 v[12:13], v[6:7], v[16:17], -v[12:13]
	v_ldexp_f64 v[20:21], v[20:21], 1
	s_delay_alu instid0(VALU_DEP_3) | instskip(SKIP_2) | instid1(VALU_DEP_1)
	v_add_f64_e64 v[22:23], v[26:27], -v[28:29]
	v_fmaak_f64 v[28:29], s[6:7], v[30:31], 0x3d27fb0ac384c2aa
	s_mov_b64 s[6:7], 0x3fe62e42fefa39ef
	v_fmaak_f64 v[36:37], v[30:31], v[28:29], 0xbca3cee1e6a7fd77
	v_add_f64_e32 v[12:13], 0x3eb2bf24978cf4ac, v[12:13]
	s_delay_alu instid0(VALU_DEP_4) | instskip(NEXT) | instid1(VALU_DEP_3)
	v_add_f64_e64 v[22:23], v[24:25], -v[22:23]
	v_add_f64_e32 v[24:25], 0x3da6c25c47512144, v[36:37]
	v_fma_f64 v[36:37], v[32:33], s[6:7], -v[34:35]
	s_mov_b64 s[6:7], 0x3e5ade156a5dcb37
	s_delay_alu instid0(VALU_DEP_4) | instskip(NEXT) | instid1(VALU_DEP_4)
	v_fma_f64 v[16:17], v[6:7], v[12:13], -v[16:17]
	v_add_f64_e32 v[20:21], v[20:21], v[22:23]
	s_delay_alu instid0(VALU_DEP_4) | instskip(NEXT) | instid1(VALU_DEP_4)
	v_fma_f64 v[22:23], v[30:31], v[24:25], -v[28:29]
	v_fmamk_f64 v[28:29], v[32:33], 0x3c7abc9e3b39803f, v[36:37]
	s_delay_alu instid0(VALU_DEP_1) | instskip(SKIP_3) | instid1(VALU_DEP_4)
	v_add_f64_e32 v[36:37], v[34:35], v[28:29]
	v_add_f64_e32 v[16:17], 0xbed2866fcba56427, v[16:17]
	;; [unrolled: 1-line block ×4, first 2 shown]
	v_add_f64_e64 v[34:35], v[36:37], -v[34:35]
	s_delay_alu instid0(VALU_DEP_4) | instskip(NEXT) | instid1(VALU_DEP_4)
	v_fma_f64 v[12:13], v[6:7], v[16:17], -v[12:13]
	v_add_f64_e32 v[38:39], v[36:37], v[32:33]
	s_delay_alu instid0(VALU_DEP_4) | instskip(SKIP_1) | instid1(VALU_DEP_4)
	v_fma_f64 v[24:25], v[30:31], v[22:23], -v[24:25]
	v_add_f64_e64 v[26:27], v[32:33], -v[26:27]
	v_add_f64_e32 v[12:13], 0x3ef13f58be9a2859, v[12:13]
	s_delay_alu instid0(VALU_DEP_4) | instskip(NEXT) | instid1(VALU_DEP_4)
	v_add_f64_e64 v[48:49], v[38:39], -v[36:37]
	v_add_f64_e32 v[24:25], 0x3e9102bce7f95efc, v[24:25]
	s_delay_alu instid0(VALU_DEP_4)
	v_add_f64_e64 v[20:21], v[20:21], -v[26:27]
	v_add_f64_e64 v[26:27], v[28:29], -v[34:35]
	v_mul_f64_e32 v[34:35], 0x3ff71547652b82fe, v[8:9]
	v_fma_f64 v[16:17], v[6:7], v[12:13], -v[16:17]
	v_add_f64_e64 v[50:51], v[38:39], -v[48:49]
	v_fma_f64 v[22:23], v[30:31], v[24:25], -v[22:23]
	v_add_f64_e64 v[32:33], v[32:33], -v[48:49]
	s_delay_alu instid0(VALU_DEP_4) | instskip(NEXT) | instid1(VALU_DEP_4)
	v_add_f64_e32 v[16:17], 0xbf0e2b2659c41d5a, v[16:17]
	v_add_f64_e64 v[28:29], v[36:37], -v[50:51]
	s_delay_alu instid0(VALU_DEP_4) | instskip(SKIP_1) | instid1(VALU_DEP_4)
	v_add_f64_e32 v[22:23], 0x3ef7f900fe8cfca0, v[22:23]
	v_add_f64_e32 v[36:37], v[26:27], v[20:21]
	v_fma_f64 v[12:13], v[6:7], v[16:17], -v[12:13]
	s_delay_alu instid0(VALU_DEP_4) | instskip(NEXT) | instid1(VALU_DEP_4)
	v_add_f64_e32 v[28:29], v[32:33], v[28:29]
	v_fma_f64 v[24:25], v[30:31], v[22:23], -v[24:25]
	v_rndne_f64_e32 v[32:33], v[34:35]
	v_add_f64_e64 v[34:35], v[36:37], -v[26:27]
	v_add_f64_e32 v[12:13], 0x3f28b51b74107cab, v[12:13]
	v_add_f64_e32 v[28:29], v[36:37], v[28:29]
	;; [unrolled: 1-line block ×3, first 2 shown]
	v_fmamk_f64 v[8:9], v[32:33], 0xbfe62e42fefa39ef, v[8:9]
	v_add_f64_e64 v[36:37], v[36:37], -v[34:35]
	v_add_f64_e64 v[20:21], v[20:21], -v[34:35]
	v_cvt_i32_f64_e32 v15, v[32:33]
	s_delay_alu instid0(VALU_DEP_4) | instskip(NEXT) | instid1(VALU_DEP_1)
	v_fmamk_f64 v[8:9], v[32:33], 0xbc7abc9e3b39803f, v[8:9]
	v_fmaak_f64 v[50:51], s[6:7], v[8:9], 0x3e928af3fca7ab0c
	s_delay_alu instid0(VALU_DEP_1) | instskip(SKIP_1) | instid1(VALU_DEP_2)
	v_fmaak_f64 v[50:51], v[8:9], v[50:51], 0x3ec71dee623fde64
	v_fma_f64 v[16:17], v[6:7], v[12:13], -v[16:17]
	v_fmaak_f64 v[50:51], v[8:9], v[50:51], 0x3efa01997c89e6b0
	v_add_f64_e32 v[48:49], v[38:39], v[28:29]
	v_fma_f64 v[22:23], v[30:31], v[24:25], -v[22:23]
	v_add_f64_e64 v[26:27], v[26:27], -v[36:37]
	s_delay_alu instid0(VALU_DEP_4) | instskip(NEXT) | instid1(VALU_DEP_1)
	v_fmaak_f64 v[50:51], v[8:9], v[50:51], 0x3f2a01a014761f6e
	v_fmaak_f64 v[36:37], v[8:9], v[50:51], 0x3f56c16c1852b7b0
	v_add_f64_e32 v[16:17], 0xbf42e2fd1f15eb52, v[16:17]
	v_add_f64_e64 v[34:35], v[48:49], -v[38:39]
	v_add_f64_e32 v[22:23], 0x3fa26bf6554a9085, v[22:23]
	v_add_f64_e32 v[20:21], v[20:21], v[26:27]
	s_delay_alu instid0(VALU_DEP_4) | instskip(NEXT) | instid1(VALU_DEP_4)
	v_fma_f64 v[12:13], v[6:7], v[16:17], -v[12:13]
	v_add_f64_e64 v[26:27], v[28:29], -v[34:35]
	s_delay_alu instid0(VALU_DEP_4) | instskip(NEXT) | instid1(VALU_DEP_3)
	v_fma_f64 v[24:25], v[30:31], v[22:23], -v[24:25]
	v_add_f64_e32 v[12:13], 0x3f5adc758a12100e, v[12:13]
	s_delay_alu instid0(VALU_DEP_3) | instskip(NEXT) | instid1(VALU_DEP_3)
	v_add_f64_e32 v[20:21], v[20:21], v[26:27]
	v_add_f64_e32 v[24:25], 0x3fd608d881213db9, v[24:25]
	s_delay_alu instid0(VALU_DEP_3) | instskip(NEXT) | instid1(VALU_DEP_1)
	v_fma_f64 v[16:17], v[6:7], v[12:13], -v[16:17]
	v_add_f64_e32 v[16:17], 0xbf71b65e201aa849, v[16:17]
	s_delay_alu instid0(VALU_DEP_1) | instskip(NEXT) | instid1(VALU_DEP_1)
	v_fma_f64 v[12:13], v[6:7], v[16:17], -v[12:13]
	v_add_f64_e32 v[12:13], 0x3f859961f3dde3dd, v[12:13]
	s_delay_alu instid0(VALU_DEP_1) | instskip(NEXT) | instid1(VALU_DEP_1)
	;; [unrolled: 3-line block ×6, first 2 shown]
	v_fma_f64 v[16:17], v[6:7], v[12:13], -v[16:17]
	v_add_f64_e32 v[16:17], 0xbfd37febc057cd8d, v[16:17]
	s_delay_alu instid0(VALU_DEP_1) | instskip(SKIP_1) | instid1(VALU_DEP_1)
	v_fma_f64 v[6:7], v[6:7], v[16:17], -v[12:13]
	v_fmaak_f64 v[16:17], v[8:9], v[36:37], 0x3f81111111122322
	v_fmaak_f64 v[16:17], v[8:9], v[16:17], 0x3fa55555555502a1
	s_delay_alu instid0(VALU_DEP_1) | instskip(NEXT) | instid1(VALU_DEP_1)
	v_fmaak_f64 v[16:17], v[8:9], v[16:17], 0x3fc5555555555511
	v_fmaak_f64 v[16:17], v[8:9], v[16:17], 0x3fe000000000000b
	s_delay_alu instid0(VALU_DEP_1) | instskip(SKIP_1) | instid1(VALU_DEP_2)
	v_fma_f64 v[16:17], v[8:9], v[16:17], 1.0
	v_add_f64_e32 v[6:7], 0x3fe5a84e9035a22a, v[6:7]
	v_fma_f64 v[8:9], v[8:9], v[16:17], 1.0
	v_fma_f64 v[16:17], v[30:31], v[24:25], -v[22:23]
	s_delay_alu instid0(VALU_DEP_3) | instskip(SKIP_1) | instid1(VALU_DEP_4)
	v_add_f64_e64 v[6:7], v[6:7], -v[12:13]
	v_add_f64_e32 v[12:13], v[48:49], v[20:21]
	v_ldexp_f64 v[8:9], v[8:9], v15
	s_delay_alu instid0(VALU_DEP_4) | instskip(NEXT) | instid1(VALU_DEP_4)
	v_add_f64_e32 v[16:17], 0xbfe12166e9d2f61f, v[16:17]
	v_mul_f64_e32 v[6:7], 0.5, v[6:7]
	s_delay_alu instid0(VALU_DEP_4) | instskip(SKIP_2) | instid1(VALU_DEP_2)
	v_cndmask_b32_e32 v13, 0x7ff00000, v13, vcc_lo
	s_and_b32 vcc_lo, s0, vcc_lo
	v_cndmask_b32_e32 v12, 0, v12, vcc_lo
	v_cndmask_b32_e64 v13, 0xfff00000, v13, s0
	v_add_f64_e64 v[16:17], v[16:17], -v[22:23]
	v_mul_f64_e32 v[6:7], v[8:9], v[6:7]
	s_delay_alu instid0(VALU_DEP_1) | instskip(NEXT) | instid1(VALU_DEP_1)
	v_mul_f64_e32 v[6:7], v[12:13], v[6:7]
	v_fma_f64 v[6:7], v[16:17], 0.5, -v[6:7]
	s_delay_alu instid0(VALU_DEP_1)
	v_mul_f64_e32 v[12:13], v[8:9], v[6:7]
                                        ; implicit-def: $vgpr8_vgpr9
.LBB1_28:
	s_and_not1_saveexec_b32 s0, s5
	s_cbranch_execz .LBB1_30
; %bb.29:
	v_div_scale_f64 v[6:7], null, v[8:9], v[8:9], 0x40200000
	v_div_scale_f64 v[18:19], vcc_lo, 0x40200000, v[8:9], 0x40200000
	s_mov_b64 s[6:7], 0x3c5871a5cf8c9ee1
	v_rcp_f64_e32 v[12:13], v[6:7]
	v_nop
	s_delay_alu instid0(TRANS32_DEP_1) | instskip(NEXT) | instid1(VALU_DEP_1)
	v_fma_f64 v[16:17], -v[6:7], v[12:13], 1.0
	v_fmac_f64_e32 v[12:13], v[12:13], v[16:17]
	s_delay_alu instid0(VALU_DEP_1) | instskip(NEXT) | instid1(VALU_DEP_1)
	v_fma_f64 v[16:17], -v[6:7], v[12:13], 1.0
	v_fmac_f64_e32 v[12:13], v[12:13], v[16:17]
	s_delay_alu instid0(VALU_DEP_1) | instskip(NEXT) | instid1(VALU_DEP_1)
	v_mul_f64_e32 v[16:17], v[18:19], v[12:13]
	v_fma_f64 v[6:7], -v[6:7], v[16:17], v[18:19]
	s_delay_alu instid0(VALU_DEP_1) | instskip(SKIP_1) | instid1(VALU_DEP_2)
	v_div_fmas_f64 v[6:7], v[6:7], v[12:13], v[16:17]
	v_cmp_gt_f64_e32 vcc_lo, 0x10000000, v[8:9]
	v_div_fixup_f64 v[6:7], v[6:7], v[8:9], 0x40200000
	v_cndmask_b32_e64 v15, 0, 0x100, vcc_lo
	s_delay_alu instid0(VALU_DEP_1) | instskip(NEXT) | instid1(VALU_DEP_3)
	v_ldexp_f64 v[8:9], v[8:9], v15
	v_add_f64_e32 v[6:7], -2.0, v[6:7]
	s_delay_alu instid0(VALU_DEP_2) | instskip(NEXT) | instid1(VALU_DEP_1)
	v_rsq_f64_e32 v[18:19], v[8:9]
	v_fmaak_f64 v[12:13], s[6:7], v[6:7], 0xbc72fecc93812603
	s_delay_alu instid0(VALU_DEP_1) | instskip(NEXT) | instid1(TRANS32_DEP_1)
	v_fmaak_f64 v[16:17], v[6:7], v[12:13], 0xbc5871a5cf8c9ee1
	v_mul_f64_e32 v[20:21], v[8:9], v[18:19]
	v_mul_f64_e32 v[18:19], 0.5, v[18:19]
	s_delay_alu instid0(VALU_DEP_3) | instskip(NEXT) | instid1(VALU_DEP_2)
	v_add_f64_e32 v[16:17], 0x3c8e092e41a8cdf4, v[16:17]
	v_fma_f64 v[22:23], -v[18:19], v[20:21], 0.5
	s_delay_alu instid0(VALU_DEP_2) | instskip(NEXT) | instid1(VALU_DEP_2)
	v_fma_f64 v[12:13], v[6:7], v[16:17], -v[12:13]
	v_fmac_f64_e32 v[20:21], v[20:21], v[22:23]
	s_delay_alu instid0(VALU_DEP_2) | instskip(SKIP_1) | instid1(VALU_DEP_3)
	v_add_f64_e32 v[12:13], 0xbca82f9474d77641, v[12:13]
	v_fmac_f64_e32 v[18:19], v[18:19], v[22:23]
	v_fma_f64 v[22:23], -v[20:21], v[20:21], v[8:9]
	s_delay_alu instid0(VALU_DEP_3) | instskip(NEXT) | instid1(VALU_DEP_2)
	v_fma_f64 v[16:17], v[6:7], v[12:13], -v[16:17]
	v_fmac_f64_e32 v[20:21], v[22:23], v[18:19]
	s_delay_alu instid0(VALU_DEP_2) | instskip(NEXT) | instid1(VALU_DEP_1)
	v_add_f64_e32 v[16:17], 0x3cc3dbf96b94785b, v[16:17]
	v_fma_f64 v[12:13], v[6:7], v[16:17], -v[12:13]
	s_delay_alu instid0(VALU_DEP_1) | instskip(NEXT) | instid1(VALU_DEP_1)
	v_add_f64_e32 v[12:13], 0xbce0a690ecfadd36, v[12:13]
	v_fma_f64 v[16:17], v[6:7], v[12:13], -v[16:17]
	s_delay_alu instid0(VALU_DEP_1) | instskip(NEXT) | instid1(VALU_DEP_1)
	;; [unrolled: 3-line block ×19, first 2 shown]
	v_add_f64_e32 v[12:13], 0xbfa019f72d4ff71e, v[12:13]
	v_fma_f64 v[6:7], v[6:7], v[12:13], -v[16:17]
	v_fma_f64 v[12:13], -v[20:21], v[20:21], v[8:9]
	s_delay_alu instid0(VALU_DEP_2) | instskip(NEXT) | instid1(VALU_DEP_2)
	v_add_f64_e32 v[6:7], 0x400385bd9f4e6907, v[6:7]
	v_fmac_f64_e32 v[20:21], v[12:13], v[18:19]
	v_cndmask_b32_e64 v12, 0, 0xffffff80, vcc_lo
	v_cmp_class_f64_e64 vcc_lo, v[8:9], 0x260
	s_delay_alu instid0(VALU_DEP_4) | instskip(NEXT) | instid1(VALU_DEP_3)
	v_add_f64_e64 v[6:7], v[6:7], -v[16:17]
	v_ldexp_f64 v[12:13], v[20:21], v12
	s_delay_alu instid0(VALU_DEP_1) | instskip(NEXT) | instid1(VALU_DEP_2)
	v_dual_mul_f64 v[6:7], 0.5, v[6:7] :: v_dual_cndmask_b32 v9, v13, v9, vcc_lo
	v_cndmask_b32_e32 v8, v12, v8, vcc_lo
	s_delay_alu instid0(VALU_DEP_1) | instskip(NEXT) | instid1(VALU_DEP_1)
	v_div_scale_f64 v[12:13], null, v[8:9], v[8:9], v[6:7]
	v_rcp_f64_e32 v[16:17], v[12:13]
	v_nop
	s_delay_alu instid0(TRANS32_DEP_1) | instskip(NEXT) | instid1(VALU_DEP_1)
	v_fma_f64 v[18:19], -v[12:13], v[16:17], 1.0
	v_fmac_f64_e32 v[16:17], v[16:17], v[18:19]
	s_delay_alu instid0(VALU_DEP_1) | instskip(NEXT) | instid1(VALU_DEP_1)
	v_fma_f64 v[18:19], -v[12:13], v[16:17], 1.0
	v_fmac_f64_e32 v[16:17], v[16:17], v[18:19]
	v_div_scale_f64 v[18:19], vcc_lo, v[6:7], v[8:9], v[6:7]
	s_delay_alu instid0(VALU_DEP_1) | instskip(NEXT) | instid1(VALU_DEP_1)
	v_mul_f64_e32 v[20:21], v[18:19], v[16:17]
	v_fma_f64 v[12:13], -v[12:13], v[20:21], v[18:19]
	s_delay_alu instid0(VALU_DEP_1) | instskip(NEXT) | instid1(VALU_DEP_1)
	v_div_fmas_f64 v[12:13], v[12:13], v[16:17], v[20:21]
	v_div_fixup_f64 v[12:13], v[12:13], v[8:9], v[6:7]
.LBB1_30:
	s_or_b32 exec_lo, exec_lo, s0
.LBB1_31:
	s_delay_alu instid0(SALU_CYCLE_1)
	s_or_b32 exec_lo, exec_lo, s4
.LBB1_32:
	s_delay_alu instid0(SALU_CYCLE_1) | instskip(SKIP_2) | instid1(VALU_DEP_1)
	s_or_b32 exec_lo, exec_lo, s1
	v_lshl_add_u64 v[0:1], s[2:3], 3, v[0:1]
	v_mov_b32_e32 v15, 0
	v_add_nc_u64_e32 v[0:1], v[0:1], v[14:15]
	s_clause 0x1
	flat_store_b128 v[0:1], v[2:5]
	flat_store_b128 v[0:1], v[10:13] offset:16
	s_wait_dscnt 0x0
	s_set_pc_i64 s[30:31]
.Lfunc_end1:
	.size	_ZN2at6native25elementwise_kernel_helperILb0EZZZNS0_12_GLOBAL__N_137scaled_modified_bessel_k0_kernel_cudaERNS_18TensorIteratorBaseEENKUlvE_clEvENKUlvE_clEvEUldE_NS0_6memory8policies10vectorizedILi4ESt5arrayIPcLm2EELi4EEEEEvT0_T1_, .Lfunc_end1-_ZN2at6native25elementwise_kernel_helperILb0EZZZNS0_12_GLOBAL__N_137scaled_modified_bessel_k0_kernel_cudaERNS_18TensorIteratorBaseEENKUlvE_clEvENKUlvE_clEvEUldE_NS0_6memory8policies10vectorizedILi4ESt5arrayIPcLm2EELi4EEEEEvT0_T1_
                                        ; -- End function
	.set .L_ZN2at6native25elementwise_kernel_helperILb0EZZZNS0_12_GLOBAL__N_137scaled_modified_bessel_k0_kernel_cudaERNS_18TensorIteratorBaseEENKUlvE_clEvENKUlvE_clEvEUldE_NS0_6memory8policies10vectorizedILi4ESt5arrayIPcLm2EELi4EEEEEvT0_T1_.num_vgpr, 56
	.set .L_ZN2at6native25elementwise_kernel_helperILb0EZZZNS0_12_GLOBAL__N_137scaled_modified_bessel_k0_kernel_cudaERNS_18TensorIteratorBaseEENKUlvE_clEvENKUlvE_clEvEUldE_NS0_6memory8policies10vectorizedILi4ESt5arrayIPcLm2EELi4EEEEEvT0_T1_.num_agpr, 0
	.set .L_ZN2at6native25elementwise_kernel_helperILb0EZZZNS0_12_GLOBAL__N_137scaled_modified_bessel_k0_kernel_cudaERNS_18TensorIteratorBaseEENKUlvE_clEvENKUlvE_clEvEUldE_NS0_6memory8policies10vectorizedILi4ESt5arrayIPcLm2EELi4EEEEEvT0_T1_.numbered_sgpr, 32
	.set .L_ZN2at6native25elementwise_kernel_helperILb0EZZZNS0_12_GLOBAL__N_137scaled_modified_bessel_k0_kernel_cudaERNS_18TensorIteratorBaseEENKUlvE_clEvENKUlvE_clEvEUldE_NS0_6memory8policies10vectorizedILi4ESt5arrayIPcLm2EELi4EEEEEvT0_T1_.num_named_barrier, 0
	.set .L_ZN2at6native25elementwise_kernel_helperILb0EZZZNS0_12_GLOBAL__N_137scaled_modified_bessel_k0_kernel_cudaERNS_18TensorIteratorBaseEENKUlvE_clEvENKUlvE_clEvEUldE_NS0_6memory8policies10vectorizedILi4ESt5arrayIPcLm2EELi4EEEEEvT0_T1_.private_seg_size, 0
	.set .L_ZN2at6native25elementwise_kernel_helperILb0EZZZNS0_12_GLOBAL__N_137scaled_modified_bessel_k0_kernel_cudaERNS_18TensorIteratorBaseEENKUlvE_clEvENKUlvE_clEvEUldE_NS0_6memory8policies10vectorizedILi4ESt5arrayIPcLm2EELi4EEEEEvT0_T1_.uses_vcc, 1
	.set .L_ZN2at6native25elementwise_kernel_helperILb0EZZZNS0_12_GLOBAL__N_137scaled_modified_bessel_k0_kernel_cudaERNS_18TensorIteratorBaseEENKUlvE_clEvENKUlvE_clEvEUldE_NS0_6memory8policies10vectorizedILi4ESt5arrayIPcLm2EELi4EEEEEvT0_T1_.uses_flat_scratch, 1
	.set .L_ZN2at6native25elementwise_kernel_helperILb0EZZZNS0_12_GLOBAL__N_137scaled_modified_bessel_k0_kernel_cudaERNS_18TensorIteratorBaseEENKUlvE_clEvENKUlvE_clEvEUldE_NS0_6memory8policies10vectorizedILi4ESt5arrayIPcLm2EELi4EEEEEvT0_T1_.has_dyn_sized_stack, 0
	.set .L_ZN2at6native25elementwise_kernel_helperILb0EZZZNS0_12_GLOBAL__N_137scaled_modified_bessel_k0_kernel_cudaERNS_18TensorIteratorBaseEENKUlvE_clEvENKUlvE_clEvEUldE_NS0_6memory8policies10vectorizedILi4ESt5arrayIPcLm2EELi4EEEEEvT0_T1_.has_recursion, 0
	.set .L_ZN2at6native25elementwise_kernel_helperILb0EZZZNS0_12_GLOBAL__N_137scaled_modified_bessel_k0_kernel_cudaERNS_18TensorIteratorBaseEENKUlvE_clEvENKUlvE_clEvEUldE_NS0_6memory8policies10vectorizedILi4ESt5arrayIPcLm2EELi4EEEEEvT0_T1_.has_indirect_call, 0
	.section	.AMDGPU.csdata,"",@progbits
; Function info:
; codeLenInByte = 11716
; TotalNumSgprs: 34
; NumVgprs: 56
; ScratchSize: 0
; MemoryBound: 0
	.section	.text._ZN2at6native29vectorized_elementwise_kernelILi16EZZZNS0_12_GLOBAL__N_137scaled_modified_bessel_k0_kernel_cudaERNS_18TensorIteratorBaseEENKUlvE_clEvENKUlvE_clEvEUldE_St5arrayIPcLm2EEEEviT0_T1_,"axG",@progbits,_ZN2at6native29vectorized_elementwise_kernelILi16EZZZNS0_12_GLOBAL__N_137scaled_modified_bessel_k0_kernel_cudaERNS_18TensorIteratorBaseEENKUlvE_clEvENKUlvE_clEvEUldE_St5arrayIPcLm2EEEEviT0_T1_,comdat
	.globl	_ZN2at6native29vectorized_elementwise_kernelILi16EZZZNS0_12_GLOBAL__N_137scaled_modified_bessel_k0_kernel_cudaERNS_18TensorIteratorBaseEENKUlvE_clEvENKUlvE_clEvEUldE_St5arrayIPcLm2EEEEviT0_T1_ ; -- Begin function _ZN2at6native29vectorized_elementwise_kernelILi16EZZZNS0_12_GLOBAL__N_137scaled_modified_bessel_k0_kernel_cudaERNS_18TensorIteratorBaseEENKUlvE_clEvENKUlvE_clEvEUldE_St5arrayIPcLm2EEEEviT0_T1_
	.p2align	8
	.type	_ZN2at6native29vectorized_elementwise_kernelILi16EZZZNS0_12_GLOBAL__N_137scaled_modified_bessel_k0_kernel_cudaERNS_18TensorIteratorBaseEENKUlvE_clEvENKUlvE_clEvEUldE_St5arrayIPcLm2EEEEviT0_T1_,@function
_ZN2at6native29vectorized_elementwise_kernelILi16EZZZNS0_12_GLOBAL__N_137scaled_modified_bessel_k0_kernel_cudaERNS_18TensorIteratorBaseEENKUlvE_clEvENKUlvE_clEvEUldE_St5arrayIPcLm2EEEEviT0_T1_: ; @_ZN2at6native29vectorized_elementwise_kernelILi16EZZZNS0_12_GLOBAL__N_137scaled_modified_bessel_k0_kernel_cudaERNS_18TensorIteratorBaseEENKUlvE_clEvENKUlvE_clEvEUldE_St5arrayIPcLm2EEEEviT0_T1_
; %bb.0:
	s_clause 0x1
	s_load_b32 s2, s[0:1], 0x0
	s_load_b128 s[8:11], s[0:1], 0x8
	s_wait_xcnt 0x0
	s_bfe_u32 s0, ttmp6, 0x4000c
	s_and_b32 s1, ttmp6, 15
	s_add_co_i32 s0, s0, 1
	s_getreg_b32 s3, hwreg(HW_REG_IB_STS2, 6, 4)
	s_mul_i32 s0, ttmp9, s0
	v_mov_b32_e32 v40, v0
	s_add_co_i32 s1, s1, s0
	s_cmp_eq_u32 s3, 0
	s_mov_b32 s32, 0
	s_cselect_b32 s0, ttmp9, s1
	s_delay_alu instid0(SALU_CYCLE_1)
	s_lshl_b32 s0, s0, 10
	s_wait_kmcnt 0x0
	s_sub_co_i32 s12, s2, s0
	s_mov_b32 s0, -1
	s_cmp_gt_i32 s12, 0x3ff
	s_cbranch_scc1 .LBB2_3
; %bb.1:
	s_and_not1_b32 vcc_lo, exec_lo, s0
	s_cbranch_vccz .LBB2_4
.LBB2_2:
	s_endpgm
.LBB2_3:
	v_dual_mov_b32 v31, v40 :: v_dual_mov_b32 v0, s8
	v_dual_mov_b32 v1, s9 :: v_dual_mov_b32 v2, s10
	v_mov_b32_e32 v3, s11
	s_get_pc_i64 s[0:1]
	s_add_nc_u64 s[0:1], s[0:1], _ZN2at6native25elementwise_kernel_helperILb0EZZZNS0_12_GLOBAL__N_137scaled_modified_bessel_k0_kernel_cudaERNS_18TensorIteratorBaseEENKUlvE_clEvENKUlvE_clEvEUldE_NS0_6memory8policies10vectorizedILi4ESt5arrayIPcLm2EELi4EEEEEvT0_T1_@rel64+4
	s_delay_alu instid0(SALU_CYCLE_1)
	s_swap_pc_i64 s[30:31], s[0:1]
	s_cbranch_execnz .LBB2_2
.LBB2_4:
	v_dual_mov_b32 v31, v40 :: v_dual_mov_b32 v0, s8
	v_dual_mov_b32 v1, s9 :: v_dual_mov_b32 v2, s10
	;; [unrolled: 1-line block ×3, first 2 shown]
	s_get_pc_i64 s[0:1]
	s_add_nc_u64 s[0:1], s[0:1], _ZN2at6native25elementwise_kernel_helperILb0EZZZNS0_12_GLOBAL__N_137scaled_modified_bessel_k0_kernel_cudaERNS_18TensorIteratorBaseEENKUlvE_clEvENKUlvE_clEvEUldE_NS0_6memory8policies11unroll_baseILi256ESt5arrayIPcLm2EE23TrivialOffsetCalculatorILi1EjESF_NS8_15LoadWithoutCastENS8_16StoreWithoutCastELi4ELi1EEEEEvT0_T1_@rel64+4
	s_delay_alu instid0(SALU_CYCLE_1)
	s_swap_pc_i64 s[30:31], s[0:1]
	s_endpgm
	.section	.rodata,"a",@progbits
	.p2align	6, 0x0
	.amdhsa_kernel _ZN2at6native29vectorized_elementwise_kernelILi16EZZZNS0_12_GLOBAL__N_137scaled_modified_bessel_k0_kernel_cudaERNS_18TensorIteratorBaseEENKUlvE_clEvENKUlvE_clEvEUldE_St5arrayIPcLm2EEEEviT0_T1_
		.amdhsa_group_segment_fixed_size 0
		.amdhsa_private_segment_fixed_size 0
		.amdhsa_kernarg_size 24
		.amdhsa_user_sgpr_count 2
		.amdhsa_user_sgpr_dispatch_ptr 0
		.amdhsa_user_sgpr_queue_ptr 0
		.amdhsa_user_sgpr_kernarg_segment_ptr 1
		.amdhsa_user_sgpr_dispatch_id 0
		.amdhsa_user_sgpr_kernarg_preload_length 0
		.amdhsa_user_sgpr_kernarg_preload_offset 0
		.amdhsa_user_sgpr_private_segment_size 0
		.amdhsa_wavefront_size32 1
		.amdhsa_uses_dynamic_stack 0
		.amdhsa_enable_private_segment 0
		.amdhsa_system_sgpr_workgroup_id_x 1
		.amdhsa_system_sgpr_workgroup_id_y 0
		.amdhsa_system_sgpr_workgroup_id_z 0
		.amdhsa_system_sgpr_workgroup_info 0
		.amdhsa_system_vgpr_workitem_id 0
		.amdhsa_next_free_vgpr 68
		.amdhsa_next_free_sgpr 33
		.amdhsa_named_barrier_count 0
		.amdhsa_reserve_vcc 1
		.amdhsa_float_round_mode_32 0
		.amdhsa_float_round_mode_16_64 0
		.amdhsa_float_denorm_mode_32 3
		.amdhsa_float_denorm_mode_16_64 3
		.amdhsa_fp16_overflow 0
		.amdhsa_memory_ordered 1
		.amdhsa_forward_progress 1
		.amdhsa_inst_pref_size 2
		.amdhsa_round_robin_scheduling 0
		.amdhsa_exception_fp_ieee_invalid_op 0
		.amdhsa_exception_fp_denorm_src 0
		.amdhsa_exception_fp_ieee_div_zero 0
		.amdhsa_exception_fp_ieee_overflow 0
		.amdhsa_exception_fp_ieee_underflow 0
		.amdhsa_exception_fp_ieee_inexact 0
		.amdhsa_exception_int_div_zero 0
	.end_amdhsa_kernel
	.section	.text._ZN2at6native29vectorized_elementwise_kernelILi16EZZZNS0_12_GLOBAL__N_137scaled_modified_bessel_k0_kernel_cudaERNS_18TensorIteratorBaseEENKUlvE_clEvENKUlvE_clEvEUldE_St5arrayIPcLm2EEEEviT0_T1_,"axG",@progbits,_ZN2at6native29vectorized_elementwise_kernelILi16EZZZNS0_12_GLOBAL__N_137scaled_modified_bessel_k0_kernel_cudaERNS_18TensorIteratorBaseEENKUlvE_clEvENKUlvE_clEvEUldE_St5arrayIPcLm2EEEEviT0_T1_,comdat
.Lfunc_end2:
	.size	_ZN2at6native29vectorized_elementwise_kernelILi16EZZZNS0_12_GLOBAL__N_137scaled_modified_bessel_k0_kernel_cudaERNS_18TensorIteratorBaseEENKUlvE_clEvENKUlvE_clEvEUldE_St5arrayIPcLm2EEEEviT0_T1_, .Lfunc_end2-_ZN2at6native29vectorized_elementwise_kernelILi16EZZZNS0_12_GLOBAL__N_137scaled_modified_bessel_k0_kernel_cudaERNS_18TensorIteratorBaseEENKUlvE_clEvENKUlvE_clEvEUldE_St5arrayIPcLm2EEEEviT0_T1_
                                        ; -- End function
	.set _ZN2at6native29vectorized_elementwise_kernelILi16EZZZNS0_12_GLOBAL__N_137scaled_modified_bessel_k0_kernel_cudaERNS_18TensorIteratorBaseEENKUlvE_clEvENKUlvE_clEvEUldE_St5arrayIPcLm2EEEEviT0_T1_.num_vgpr, max(41, .L_ZN2at6native25elementwise_kernel_helperILb0EZZZNS0_12_GLOBAL__N_137scaled_modified_bessel_k0_kernel_cudaERNS_18TensorIteratorBaseEENKUlvE_clEvENKUlvE_clEvEUldE_NS0_6memory8policies10vectorizedILi4ESt5arrayIPcLm2EELi4EEEEEvT0_T1_.num_vgpr, .L_ZN2at6native25elementwise_kernel_helperILb0EZZZNS0_12_GLOBAL__N_137scaled_modified_bessel_k0_kernel_cudaERNS_18TensorIteratorBaseEENKUlvE_clEvENKUlvE_clEvEUldE_NS0_6memory8policies11unroll_baseILi256ESt5arrayIPcLm2EE23TrivialOffsetCalculatorILi1EjESF_NS8_15LoadWithoutCastENS8_16StoreWithoutCastELi4ELi1EEEEEvT0_T1_.num_vgpr)
	.set _ZN2at6native29vectorized_elementwise_kernelILi16EZZZNS0_12_GLOBAL__N_137scaled_modified_bessel_k0_kernel_cudaERNS_18TensorIteratorBaseEENKUlvE_clEvENKUlvE_clEvEUldE_St5arrayIPcLm2EEEEviT0_T1_.num_agpr, max(0, .L_ZN2at6native25elementwise_kernel_helperILb0EZZZNS0_12_GLOBAL__N_137scaled_modified_bessel_k0_kernel_cudaERNS_18TensorIteratorBaseEENKUlvE_clEvENKUlvE_clEvEUldE_NS0_6memory8policies10vectorizedILi4ESt5arrayIPcLm2EELi4EEEEEvT0_T1_.num_agpr, .L_ZN2at6native25elementwise_kernel_helperILb0EZZZNS0_12_GLOBAL__N_137scaled_modified_bessel_k0_kernel_cudaERNS_18TensorIteratorBaseEENKUlvE_clEvENKUlvE_clEvEUldE_NS0_6memory8policies11unroll_baseILi256ESt5arrayIPcLm2EE23TrivialOffsetCalculatorILi1EjESF_NS8_15LoadWithoutCastENS8_16StoreWithoutCastELi4ELi1EEEEEvT0_T1_.num_agpr)
	.set _ZN2at6native29vectorized_elementwise_kernelILi16EZZZNS0_12_GLOBAL__N_137scaled_modified_bessel_k0_kernel_cudaERNS_18TensorIteratorBaseEENKUlvE_clEvENKUlvE_clEvEUldE_St5arrayIPcLm2EEEEviT0_T1_.numbered_sgpr, max(33, .L_ZN2at6native25elementwise_kernel_helperILb0EZZZNS0_12_GLOBAL__N_137scaled_modified_bessel_k0_kernel_cudaERNS_18TensorIteratorBaseEENKUlvE_clEvENKUlvE_clEvEUldE_NS0_6memory8policies10vectorizedILi4ESt5arrayIPcLm2EELi4EEEEEvT0_T1_.numbered_sgpr, .L_ZN2at6native25elementwise_kernel_helperILb0EZZZNS0_12_GLOBAL__N_137scaled_modified_bessel_k0_kernel_cudaERNS_18TensorIteratorBaseEENKUlvE_clEvENKUlvE_clEvEUldE_NS0_6memory8policies11unroll_baseILi256ESt5arrayIPcLm2EE23TrivialOffsetCalculatorILi1EjESF_NS8_15LoadWithoutCastENS8_16StoreWithoutCastELi4ELi1EEEEEvT0_T1_.numbered_sgpr)
	.set _ZN2at6native29vectorized_elementwise_kernelILi16EZZZNS0_12_GLOBAL__N_137scaled_modified_bessel_k0_kernel_cudaERNS_18TensorIteratorBaseEENKUlvE_clEvENKUlvE_clEvEUldE_St5arrayIPcLm2EEEEviT0_T1_.num_named_barrier, max(0, .L_ZN2at6native25elementwise_kernel_helperILb0EZZZNS0_12_GLOBAL__N_137scaled_modified_bessel_k0_kernel_cudaERNS_18TensorIteratorBaseEENKUlvE_clEvENKUlvE_clEvEUldE_NS0_6memory8policies10vectorizedILi4ESt5arrayIPcLm2EELi4EEEEEvT0_T1_.num_named_barrier, .L_ZN2at6native25elementwise_kernel_helperILb0EZZZNS0_12_GLOBAL__N_137scaled_modified_bessel_k0_kernel_cudaERNS_18TensorIteratorBaseEENKUlvE_clEvENKUlvE_clEvEUldE_NS0_6memory8policies11unroll_baseILi256ESt5arrayIPcLm2EE23TrivialOffsetCalculatorILi1EjESF_NS8_15LoadWithoutCastENS8_16StoreWithoutCastELi4ELi1EEEEEvT0_T1_.num_named_barrier)
	.set _ZN2at6native29vectorized_elementwise_kernelILi16EZZZNS0_12_GLOBAL__N_137scaled_modified_bessel_k0_kernel_cudaERNS_18TensorIteratorBaseEENKUlvE_clEvENKUlvE_clEvEUldE_St5arrayIPcLm2EEEEviT0_T1_.private_seg_size, 0+max(.L_ZN2at6native25elementwise_kernel_helperILb0EZZZNS0_12_GLOBAL__N_137scaled_modified_bessel_k0_kernel_cudaERNS_18TensorIteratorBaseEENKUlvE_clEvENKUlvE_clEvEUldE_NS0_6memory8policies10vectorizedILi4ESt5arrayIPcLm2EELi4EEEEEvT0_T1_.private_seg_size, .L_ZN2at6native25elementwise_kernel_helperILb0EZZZNS0_12_GLOBAL__N_137scaled_modified_bessel_k0_kernel_cudaERNS_18TensorIteratorBaseEENKUlvE_clEvENKUlvE_clEvEUldE_NS0_6memory8policies11unroll_baseILi256ESt5arrayIPcLm2EE23TrivialOffsetCalculatorILi1EjESF_NS8_15LoadWithoutCastENS8_16StoreWithoutCastELi4ELi1EEEEEvT0_T1_.private_seg_size)
	.set _ZN2at6native29vectorized_elementwise_kernelILi16EZZZNS0_12_GLOBAL__N_137scaled_modified_bessel_k0_kernel_cudaERNS_18TensorIteratorBaseEENKUlvE_clEvENKUlvE_clEvEUldE_St5arrayIPcLm2EEEEviT0_T1_.uses_vcc, or(1, .L_ZN2at6native25elementwise_kernel_helperILb0EZZZNS0_12_GLOBAL__N_137scaled_modified_bessel_k0_kernel_cudaERNS_18TensorIteratorBaseEENKUlvE_clEvENKUlvE_clEvEUldE_NS0_6memory8policies10vectorizedILi4ESt5arrayIPcLm2EELi4EEEEEvT0_T1_.uses_vcc, .L_ZN2at6native25elementwise_kernel_helperILb0EZZZNS0_12_GLOBAL__N_137scaled_modified_bessel_k0_kernel_cudaERNS_18TensorIteratorBaseEENKUlvE_clEvENKUlvE_clEvEUldE_NS0_6memory8policies11unroll_baseILi256ESt5arrayIPcLm2EE23TrivialOffsetCalculatorILi1EjESF_NS8_15LoadWithoutCastENS8_16StoreWithoutCastELi4ELi1EEEEEvT0_T1_.uses_vcc)
	.set _ZN2at6native29vectorized_elementwise_kernelILi16EZZZNS0_12_GLOBAL__N_137scaled_modified_bessel_k0_kernel_cudaERNS_18TensorIteratorBaseEENKUlvE_clEvENKUlvE_clEvEUldE_St5arrayIPcLm2EEEEviT0_T1_.uses_flat_scratch, or(0, .L_ZN2at6native25elementwise_kernel_helperILb0EZZZNS0_12_GLOBAL__N_137scaled_modified_bessel_k0_kernel_cudaERNS_18TensorIteratorBaseEENKUlvE_clEvENKUlvE_clEvEUldE_NS0_6memory8policies10vectorizedILi4ESt5arrayIPcLm2EELi4EEEEEvT0_T1_.uses_flat_scratch, .L_ZN2at6native25elementwise_kernel_helperILb0EZZZNS0_12_GLOBAL__N_137scaled_modified_bessel_k0_kernel_cudaERNS_18TensorIteratorBaseEENKUlvE_clEvENKUlvE_clEvEUldE_NS0_6memory8policies11unroll_baseILi256ESt5arrayIPcLm2EE23TrivialOffsetCalculatorILi1EjESF_NS8_15LoadWithoutCastENS8_16StoreWithoutCastELi4ELi1EEEEEvT0_T1_.uses_flat_scratch)
	.set _ZN2at6native29vectorized_elementwise_kernelILi16EZZZNS0_12_GLOBAL__N_137scaled_modified_bessel_k0_kernel_cudaERNS_18TensorIteratorBaseEENKUlvE_clEvENKUlvE_clEvEUldE_St5arrayIPcLm2EEEEviT0_T1_.has_dyn_sized_stack, or(0, .L_ZN2at6native25elementwise_kernel_helperILb0EZZZNS0_12_GLOBAL__N_137scaled_modified_bessel_k0_kernel_cudaERNS_18TensorIteratorBaseEENKUlvE_clEvENKUlvE_clEvEUldE_NS0_6memory8policies10vectorizedILi4ESt5arrayIPcLm2EELi4EEEEEvT0_T1_.has_dyn_sized_stack, .L_ZN2at6native25elementwise_kernel_helperILb0EZZZNS0_12_GLOBAL__N_137scaled_modified_bessel_k0_kernel_cudaERNS_18TensorIteratorBaseEENKUlvE_clEvENKUlvE_clEvEUldE_NS0_6memory8policies11unroll_baseILi256ESt5arrayIPcLm2EE23TrivialOffsetCalculatorILi1EjESF_NS8_15LoadWithoutCastENS8_16StoreWithoutCastELi4ELi1EEEEEvT0_T1_.has_dyn_sized_stack)
	.set _ZN2at6native29vectorized_elementwise_kernelILi16EZZZNS0_12_GLOBAL__N_137scaled_modified_bessel_k0_kernel_cudaERNS_18TensorIteratorBaseEENKUlvE_clEvENKUlvE_clEvEUldE_St5arrayIPcLm2EEEEviT0_T1_.has_recursion, or(0, .L_ZN2at6native25elementwise_kernel_helperILb0EZZZNS0_12_GLOBAL__N_137scaled_modified_bessel_k0_kernel_cudaERNS_18TensorIteratorBaseEENKUlvE_clEvENKUlvE_clEvEUldE_NS0_6memory8policies10vectorizedILi4ESt5arrayIPcLm2EELi4EEEEEvT0_T1_.has_recursion, .L_ZN2at6native25elementwise_kernel_helperILb0EZZZNS0_12_GLOBAL__N_137scaled_modified_bessel_k0_kernel_cudaERNS_18TensorIteratorBaseEENKUlvE_clEvENKUlvE_clEvEUldE_NS0_6memory8policies11unroll_baseILi256ESt5arrayIPcLm2EE23TrivialOffsetCalculatorILi1EjESF_NS8_15LoadWithoutCastENS8_16StoreWithoutCastELi4ELi1EEEEEvT0_T1_.has_recursion)
	.set _ZN2at6native29vectorized_elementwise_kernelILi16EZZZNS0_12_GLOBAL__N_137scaled_modified_bessel_k0_kernel_cudaERNS_18TensorIteratorBaseEENKUlvE_clEvENKUlvE_clEvEUldE_St5arrayIPcLm2EEEEviT0_T1_.has_indirect_call, or(0, .L_ZN2at6native25elementwise_kernel_helperILb0EZZZNS0_12_GLOBAL__N_137scaled_modified_bessel_k0_kernel_cudaERNS_18TensorIteratorBaseEENKUlvE_clEvENKUlvE_clEvEUldE_NS0_6memory8policies10vectorizedILi4ESt5arrayIPcLm2EELi4EEEEEvT0_T1_.has_indirect_call, .L_ZN2at6native25elementwise_kernel_helperILb0EZZZNS0_12_GLOBAL__N_137scaled_modified_bessel_k0_kernel_cudaERNS_18TensorIteratorBaseEENKUlvE_clEvENKUlvE_clEvEUldE_NS0_6memory8policies11unroll_baseILi256ESt5arrayIPcLm2EE23TrivialOffsetCalculatorILi1EjESF_NS8_15LoadWithoutCastENS8_16StoreWithoutCastELi4ELi1EEEEEvT0_T1_.has_indirect_call)
	.section	.AMDGPU.csdata,"",@progbits
; Kernel info:
; codeLenInByte = 212
; TotalNumSgprs: 35
; NumVgprs: 68
; ScratchSize: 0
; MemoryBound: 0
; FloatMode: 240
; IeeeMode: 1
; LDSByteSize: 0 bytes/workgroup (compile time only)
; SGPRBlocks: 0
; VGPRBlocks: 4
; NumSGPRsForWavesPerEU: 35
; NumVGPRsForWavesPerEU: 68
; NamedBarCnt: 0
; Occupancy: 12
; WaveLimiterHint : 0
; COMPUTE_PGM_RSRC2:SCRATCH_EN: 0
; COMPUTE_PGM_RSRC2:USER_SGPR: 2
; COMPUTE_PGM_RSRC2:TRAP_HANDLER: 0
; COMPUTE_PGM_RSRC2:TGID_X_EN: 1
; COMPUTE_PGM_RSRC2:TGID_Y_EN: 0
; COMPUTE_PGM_RSRC2:TGID_Z_EN: 0
; COMPUTE_PGM_RSRC2:TIDIG_COMP_CNT: 0
	.section	.text._ZN2at6native29vectorized_elementwise_kernelILi8EZZZNS0_12_GLOBAL__N_137scaled_modified_bessel_k0_kernel_cudaERNS_18TensorIteratorBaseEENKUlvE_clEvENKUlvE_clEvEUldE_St5arrayIPcLm2EEEEviT0_T1_,"axG",@progbits,_ZN2at6native29vectorized_elementwise_kernelILi8EZZZNS0_12_GLOBAL__N_137scaled_modified_bessel_k0_kernel_cudaERNS_18TensorIteratorBaseEENKUlvE_clEvENKUlvE_clEvEUldE_St5arrayIPcLm2EEEEviT0_T1_,comdat
	.globl	_ZN2at6native29vectorized_elementwise_kernelILi8EZZZNS0_12_GLOBAL__N_137scaled_modified_bessel_k0_kernel_cudaERNS_18TensorIteratorBaseEENKUlvE_clEvENKUlvE_clEvEUldE_St5arrayIPcLm2EEEEviT0_T1_ ; -- Begin function _ZN2at6native29vectorized_elementwise_kernelILi8EZZZNS0_12_GLOBAL__N_137scaled_modified_bessel_k0_kernel_cudaERNS_18TensorIteratorBaseEENKUlvE_clEvENKUlvE_clEvEUldE_St5arrayIPcLm2EEEEviT0_T1_
	.p2align	8
	.type	_ZN2at6native29vectorized_elementwise_kernelILi8EZZZNS0_12_GLOBAL__N_137scaled_modified_bessel_k0_kernel_cudaERNS_18TensorIteratorBaseEENKUlvE_clEvENKUlvE_clEvEUldE_St5arrayIPcLm2EEEEviT0_T1_,@function
_ZN2at6native29vectorized_elementwise_kernelILi8EZZZNS0_12_GLOBAL__N_137scaled_modified_bessel_k0_kernel_cudaERNS_18TensorIteratorBaseEENKUlvE_clEvENKUlvE_clEvEUldE_St5arrayIPcLm2EEEEviT0_T1_: ; @_ZN2at6native29vectorized_elementwise_kernelILi8EZZZNS0_12_GLOBAL__N_137scaled_modified_bessel_k0_kernel_cudaERNS_18TensorIteratorBaseEENKUlvE_clEvENKUlvE_clEvEUldE_St5arrayIPcLm2EEEEviT0_T1_
; %bb.0:
	s_clause 0x1
	s_load_b32 s2, s[0:1], 0x0
	s_load_b128 s[8:11], s[0:1], 0x8
	s_wait_xcnt 0x0
	s_bfe_u32 s0, ttmp6, 0x4000c
	s_and_b32 s1, ttmp6, 15
	s_add_co_i32 s0, s0, 1
	s_getreg_b32 s3, hwreg(HW_REG_IB_STS2, 6, 4)
	s_mul_i32 s0, ttmp9, s0
	v_mov_b32_e32 v40, v0
	s_add_co_i32 s1, s1, s0
	s_cmp_eq_u32 s3, 0
	s_mov_b32 s32, 0
	s_cselect_b32 s0, ttmp9, s1
	s_delay_alu instid0(SALU_CYCLE_1)
	s_lshl_b32 s0, s0, 10
	s_wait_kmcnt 0x0
	s_sub_co_i32 s12, s2, s0
	s_mov_b32 s0, -1
	s_cmp_gt_i32 s12, 0x3ff
	s_cbranch_scc1 .LBB3_3
; %bb.1:
	s_and_not1_b32 vcc_lo, exec_lo, s0
	s_cbranch_vccz .LBB3_4
.LBB3_2:
	s_endpgm
.LBB3_3:
	v_dual_mov_b32 v31, v40 :: v_dual_mov_b32 v0, s8
	v_dual_mov_b32 v1, s9 :: v_dual_mov_b32 v2, s10
	v_mov_b32_e32 v3, s11
	s_get_pc_i64 s[0:1]
	s_add_nc_u64 s[0:1], s[0:1], _ZN2at6native25elementwise_kernel_helperILb0EZZZNS0_12_GLOBAL__N_137scaled_modified_bessel_k0_kernel_cudaERNS_18TensorIteratorBaseEENKUlvE_clEvENKUlvE_clEvEUldE_NS0_6memory8policies10vectorizedILi4ESt5arrayIPcLm2EELi4EEEEEvT0_T1_@rel64+4
	s_delay_alu instid0(SALU_CYCLE_1)
	s_swap_pc_i64 s[30:31], s[0:1]
	s_cbranch_execnz .LBB3_2
.LBB3_4:
	v_dual_mov_b32 v31, v40 :: v_dual_mov_b32 v0, s8
	v_dual_mov_b32 v1, s9 :: v_dual_mov_b32 v2, s10
	;; [unrolled: 1-line block ×3, first 2 shown]
	s_get_pc_i64 s[0:1]
	s_add_nc_u64 s[0:1], s[0:1], _ZN2at6native25elementwise_kernel_helperILb0EZZZNS0_12_GLOBAL__N_137scaled_modified_bessel_k0_kernel_cudaERNS_18TensorIteratorBaseEENKUlvE_clEvENKUlvE_clEvEUldE_NS0_6memory8policies11unroll_baseILi256ESt5arrayIPcLm2EE23TrivialOffsetCalculatorILi1EjESF_NS8_15LoadWithoutCastENS8_16StoreWithoutCastELi4ELi1EEEEEvT0_T1_@rel64+4
	s_delay_alu instid0(SALU_CYCLE_1)
	s_swap_pc_i64 s[30:31], s[0:1]
	s_endpgm
	.section	.rodata,"a",@progbits
	.p2align	6, 0x0
	.amdhsa_kernel _ZN2at6native29vectorized_elementwise_kernelILi8EZZZNS0_12_GLOBAL__N_137scaled_modified_bessel_k0_kernel_cudaERNS_18TensorIteratorBaseEENKUlvE_clEvENKUlvE_clEvEUldE_St5arrayIPcLm2EEEEviT0_T1_
		.amdhsa_group_segment_fixed_size 0
		.amdhsa_private_segment_fixed_size 0
		.amdhsa_kernarg_size 24
		.amdhsa_user_sgpr_count 2
		.amdhsa_user_sgpr_dispatch_ptr 0
		.amdhsa_user_sgpr_queue_ptr 0
		.amdhsa_user_sgpr_kernarg_segment_ptr 1
		.amdhsa_user_sgpr_dispatch_id 0
		.amdhsa_user_sgpr_kernarg_preload_length 0
		.amdhsa_user_sgpr_kernarg_preload_offset 0
		.amdhsa_user_sgpr_private_segment_size 0
		.amdhsa_wavefront_size32 1
		.amdhsa_uses_dynamic_stack 0
		.amdhsa_enable_private_segment 0
		.amdhsa_system_sgpr_workgroup_id_x 1
		.amdhsa_system_sgpr_workgroup_id_y 0
		.amdhsa_system_sgpr_workgroup_id_z 0
		.amdhsa_system_sgpr_workgroup_info 0
		.amdhsa_system_vgpr_workitem_id 0
		.amdhsa_next_free_vgpr 68
		.amdhsa_next_free_sgpr 33
		.amdhsa_named_barrier_count 0
		.amdhsa_reserve_vcc 1
		.amdhsa_float_round_mode_32 0
		.amdhsa_float_round_mode_16_64 0
		.amdhsa_float_denorm_mode_32 3
		.amdhsa_float_denorm_mode_16_64 3
		.amdhsa_fp16_overflow 0
		.amdhsa_memory_ordered 1
		.amdhsa_forward_progress 1
		.amdhsa_inst_pref_size 2
		.amdhsa_round_robin_scheduling 0
		.amdhsa_exception_fp_ieee_invalid_op 0
		.amdhsa_exception_fp_denorm_src 0
		.amdhsa_exception_fp_ieee_div_zero 0
		.amdhsa_exception_fp_ieee_overflow 0
		.amdhsa_exception_fp_ieee_underflow 0
		.amdhsa_exception_fp_ieee_inexact 0
		.amdhsa_exception_int_div_zero 0
	.end_amdhsa_kernel
	.section	.text._ZN2at6native29vectorized_elementwise_kernelILi8EZZZNS0_12_GLOBAL__N_137scaled_modified_bessel_k0_kernel_cudaERNS_18TensorIteratorBaseEENKUlvE_clEvENKUlvE_clEvEUldE_St5arrayIPcLm2EEEEviT0_T1_,"axG",@progbits,_ZN2at6native29vectorized_elementwise_kernelILi8EZZZNS0_12_GLOBAL__N_137scaled_modified_bessel_k0_kernel_cudaERNS_18TensorIteratorBaseEENKUlvE_clEvENKUlvE_clEvEUldE_St5arrayIPcLm2EEEEviT0_T1_,comdat
.Lfunc_end3:
	.size	_ZN2at6native29vectorized_elementwise_kernelILi8EZZZNS0_12_GLOBAL__N_137scaled_modified_bessel_k0_kernel_cudaERNS_18TensorIteratorBaseEENKUlvE_clEvENKUlvE_clEvEUldE_St5arrayIPcLm2EEEEviT0_T1_, .Lfunc_end3-_ZN2at6native29vectorized_elementwise_kernelILi8EZZZNS0_12_GLOBAL__N_137scaled_modified_bessel_k0_kernel_cudaERNS_18TensorIteratorBaseEENKUlvE_clEvENKUlvE_clEvEUldE_St5arrayIPcLm2EEEEviT0_T1_
                                        ; -- End function
	.set _ZN2at6native29vectorized_elementwise_kernelILi8EZZZNS0_12_GLOBAL__N_137scaled_modified_bessel_k0_kernel_cudaERNS_18TensorIteratorBaseEENKUlvE_clEvENKUlvE_clEvEUldE_St5arrayIPcLm2EEEEviT0_T1_.num_vgpr, max(41, .L_ZN2at6native25elementwise_kernel_helperILb0EZZZNS0_12_GLOBAL__N_137scaled_modified_bessel_k0_kernel_cudaERNS_18TensorIteratorBaseEENKUlvE_clEvENKUlvE_clEvEUldE_NS0_6memory8policies10vectorizedILi4ESt5arrayIPcLm2EELi4EEEEEvT0_T1_.num_vgpr, .L_ZN2at6native25elementwise_kernel_helperILb0EZZZNS0_12_GLOBAL__N_137scaled_modified_bessel_k0_kernel_cudaERNS_18TensorIteratorBaseEENKUlvE_clEvENKUlvE_clEvEUldE_NS0_6memory8policies11unroll_baseILi256ESt5arrayIPcLm2EE23TrivialOffsetCalculatorILi1EjESF_NS8_15LoadWithoutCastENS8_16StoreWithoutCastELi4ELi1EEEEEvT0_T1_.num_vgpr)
	.set _ZN2at6native29vectorized_elementwise_kernelILi8EZZZNS0_12_GLOBAL__N_137scaled_modified_bessel_k0_kernel_cudaERNS_18TensorIteratorBaseEENKUlvE_clEvENKUlvE_clEvEUldE_St5arrayIPcLm2EEEEviT0_T1_.num_agpr, max(0, .L_ZN2at6native25elementwise_kernel_helperILb0EZZZNS0_12_GLOBAL__N_137scaled_modified_bessel_k0_kernel_cudaERNS_18TensorIteratorBaseEENKUlvE_clEvENKUlvE_clEvEUldE_NS0_6memory8policies10vectorizedILi4ESt5arrayIPcLm2EELi4EEEEEvT0_T1_.num_agpr, .L_ZN2at6native25elementwise_kernel_helperILb0EZZZNS0_12_GLOBAL__N_137scaled_modified_bessel_k0_kernel_cudaERNS_18TensorIteratorBaseEENKUlvE_clEvENKUlvE_clEvEUldE_NS0_6memory8policies11unroll_baseILi256ESt5arrayIPcLm2EE23TrivialOffsetCalculatorILi1EjESF_NS8_15LoadWithoutCastENS8_16StoreWithoutCastELi4ELi1EEEEEvT0_T1_.num_agpr)
	.set _ZN2at6native29vectorized_elementwise_kernelILi8EZZZNS0_12_GLOBAL__N_137scaled_modified_bessel_k0_kernel_cudaERNS_18TensorIteratorBaseEENKUlvE_clEvENKUlvE_clEvEUldE_St5arrayIPcLm2EEEEviT0_T1_.numbered_sgpr, max(33, .L_ZN2at6native25elementwise_kernel_helperILb0EZZZNS0_12_GLOBAL__N_137scaled_modified_bessel_k0_kernel_cudaERNS_18TensorIteratorBaseEENKUlvE_clEvENKUlvE_clEvEUldE_NS0_6memory8policies10vectorizedILi4ESt5arrayIPcLm2EELi4EEEEEvT0_T1_.numbered_sgpr, .L_ZN2at6native25elementwise_kernel_helperILb0EZZZNS0_12_GLOBAL__N_137scaled_modified_bessel_k0_kernel_cudaERNS_18TensorIteratorBaseEENKUlvE_clEvENKUlvE_clEvEUldE_NS0_6memory8policies11unroll_baseILi256ESt5arrayIPcLm2EE23TrivialOffsetCalculatorILi1EjESF_NS8_15LoadWithoutCastENS8_16StoreWithoutCastELi4ELi1EEEEEvT0_T1_.numbered_sgpr)
	.set _ZN2at6native29vectorized_elementwise_kernelILi8EZZZNS0_12_GLOBAL__N_137scaled_modified_bessel_k0_kernel_cudaERNS_18TensorIteratorBaseEENKUlvE_clEvENKUlvE_clEvEUldE_St5arrayIPcLm2EEEEviT0_T1_.num_named_barrier, max(0, .L_ZN2at6native25elementwise_kernel_helperILb0EZZZNS0_12_GLOBAL__N_137scaled_modified_bessel_k0_kernel_cudaERNS_18TensorIteratorBaseEENKUlvE_clEvENKUlvE_clEvEUldE_NS0_6memory8policies10vectorizedILi4ESt5arrayIPcLm2EELi4EEEEEvT0_T1_.num_named_barrier, .L_ZN2at6native25elementwise_kernel_helperILb0EZZZNS0_12_GLOBAL__N_137scaled_modified_bessel_k0_kernel_cudaERNS_18TensorIteratorBaseEENKUlvE_clEvENKUlvE_clEvEUldE_NS0_6memory8policies11unroll_baseILi256ESt5arrayIPcLm2EE23TrivialOffsetCalculatorILi1EjESF_NS8_15LoadWithoutCastENS8_16StoreWithoutCastELi4ELi1EEEEEvT0_T1_.num_named_barrier)
	.set _ZN2at6native29vectorized_elementwise_kernelILi8EZZZNS0_12_GLOBAL__N_137scaled_modified_bessel_k0_kernel_cudaERNS_18TensorIteratorBaseEENKUlvE_clEvENKUlvE_clEvEUldE_St5arrayIPcLm2EEEEviT0_T1_.private_seg_size, 0+max(.L_ZN2at6native25elementwise_kernel_helperILb0EZZZNS0_12_GLOBAL__N_137scaled_modified_bessel_k0_kernel_cudaERNS_18TensorIteratorBaseEENKUlvE_clEvENKUlvE_clEvEUldE_NS0_6memory8policies10vectorizedILi4ESt5arrayIPcLm2EELi4EEEEEvT0_T1_.private_seg_size, .L_ZN2at6native25elementwise_kernel_helperILb0EZZZNS0_12_GLOBAL__N_137scaled_modified_bessel_k0_kernel_cudaERNS_18TensorIteratorBaseEENKUlvE_clEvENKUlvE_clEvEUldE_NS0_6memory8policies11unroll_baseILi256ESt5arrayIPcLm2EE23TrivialOffsetCalculatorILi1EjESF_NS8_15LoadWithoutCastENS8_16StoreWithoutCastELi4ELi1EEEEEvT0_T1_.private_seg_size)
	.set _ZN2at6native29vectorized_elementwise_kernelILi8EZZZNS0_12_GLOBAL__N_137scaled_modified_bessel_k0_kernel_cudaERNS_18TensorIteratorBaseEENKUlvE_clEvENKUlvE_clEvEUldE_St5arrayIPcLm2EEEEviT0_T1_.uses_vcc, or(1, .L_ZN2at6native25elementwise_kernel_helperILb0EZZZNS0_12_GLOBAL__N_137scaled_modified_bessel_k0_kernel_cudaERNS_18TensorIteratorBaseEENKUlvE_clEvENKUlvE_clEvEUldE_NS0_6memory8policies10vectorizedILi4ESt5arrayIPcLm2EELi4EEEEEvT0_T1_.uses_vcc, .L_ZN2at6native25elementwise_kernel_helperILb0EZZZNS0_12_GLOBAL__N_137scaled_modified_bessel_k0_kernel_cudaERNS_18TensorIteratorBaseEENKUlvE_clEvENKUlvE_clEvEUldE_NS0_6memory8policies11unroll_baseILi256ESt5arrayIPcLm2EE23TrivialOffsetCalculatorILi1EjESF_NS8_15LoadWithoutCastENS8_16StoreWithoutCastELi4ELi1EEEEEvT0_T1_.uses_vcc)
	.set _ZN2at6native29vectorized_elementwise_kernelILi8EZZZNS0_12_GLOBAL__N_137scaled_modified_bessel_k0_kernel_cudaERNS_18TensorIteratorBaseEENKUlvE_clEvENKUlvE_clEvEUldE_St5arrayIPcLm2EEEEviT0_T1_.uses_flat_scratch, or(0, .L_ZN2at6native25elementwise_kernel_helperILb0EZZZNS0_12_GLOBAL__N_137scaled_modified_bessel_k0_kernel_cudaERNS_18TensorIteratorBaseEENKUlvE_clEvENKUlvE_clEvEUldE_NS0_6memory8policies10vectorizedILi4ESt5arrayIPcLm2EELi4EEEEEvT0_T1_.uses_flat_scratch, .L_ZN2at6native25elementwise_kernel_helperILb0EZZZNS0_12_GLOBAL__N_137scaled_modified_bessel_k0_kernel_cudaERNS_18TensorIteratorBaseEENKUlvE_clEvENKUlvE_clEvEUldE_NS0_6memory8policies11unroll_baseILi256ESt5arrayIPcLm2EE23TrivialOffsetCalculatorILi1EjESF_NS8_15LoadWithoutCastENS8_16StoreWithoutCastELi4ELi1EEEEEvT0_T1_.uses_flat_scratch)
	.set _ZN2at6native29vectorized_elementwise_kernelILi8EZZZNS0_12_GLOBAL__N_137scaled_modified_bessel_k0_kernel_cudaERNS_18TensorIteratorBaseEENKUlvE_clEvENKUlvE_clEvEUldE_St5arrayIPcLm2EEEEviT0_T1_.has_dyn_sized_stack, or(0, .L_ZN2at6native25elementwise_kernel_helperILb0EZZZNS0_12_GLOBAL__N_137scaled_modified_bessel_k0_kernel_cudaERNS_18TensorIteratorBaseEENKUlvE_clEvENKUlvE_clEvEUldE_NS0_6memory8policies10vectorizedILi4ESt5arrayIPcLm2EELi4EEEEEvT0_T1_.has_dyn_sized_stack, .L_ZN2at6native25elementwise_kernel_helperILb0EZZZNS0_12_GLOBAL__N_137scaled_modified_bessel_k0_kernel_cudaERNS_18TensorIteratorBaseEENKUlvE_clEvENKUlvE_clEvEUldE_NS0_6memory8policies11unroll_baseILi256ESt5arrayIPcLm2EE23TrivialOffsetCalculatorILi1EjESF_NS8_15LoadWithoutCastENS8_16StoreWithoutCastELi4ELi1EEEEEvT0_T1_.has_dyn_sized_stack)
	.set _ZN2at6native29vectorized_elementwise_kernelILi8EZZZNS0_12_GLOBAL__N_137scaled_modified_bessel_k0_kernel_cudaERNS_18TensorIteratorBaseEENKUlvE_clEvENKUlvE_clEvEUldE_St5arrayIPcLm2EEEEviT0_T1_.has_recursion, or(0, .L_ZN2at6native25elementwise_kernel_helperILb0EZZZNS0_12_GLOBAL__N_137scaled_modified_bessel_k0_kernel_cudaERNS_18TensorIteratorBaseEENKUlvE_clEvENKUlvE_clEvEUldE_NS0_6memory8policies10vectorizedILi4ESt5arrayIPcLm2EELi4EEEEEvT0_T1_.has_recursion, .L_ZN2at6native25elementwise_kernel_helperILb0EZZZNS0_12_GLOBAL__N_137scaled_modified_bessel_k0_kernel_cudaERNS_18TensorIteratorBaseEENKUlvE_clEvENKUlvE_clEvEUldE_NS0_6memory8policies11unroll_baseILi256ESt5arrayIPcLm2EE23TrivialOffsetCalculatorILi1EjESF_NS8_15LoadWithoutCastENS8_16StoreWithoutCastELi4ELi1EEEEEvT0_T1_.has_recursion)
	.set _ZN2at6native29vectorized_elementwise_kernelILi8EZZZNS0_12_GLOBAL__N_137scaled_modified_bessel_k0_kernel_cudaERNS_18TensorIteratorBaseEENKUlvE_clEvENKUlvE_clEvEUldE_St5arrayIPcLm2EEEEviT0_T1_.has_indirect_call, or(0, .L_ZN2at6native25elementwise_kernel_helperILb0EZZZNS0_12_GLOBAL__N_137scaled_modified_bessel_k0_kernel_cudaERNS_18TensorIteratorBaseEENKUlvE_clEvENKUlvE_clEvEUldE_NS0_6memory8policies10vectorizedILi4ESt5arrayIPcLm2EELi4EEEEEvT0_T1_.has_indirect_call, .L_ZN2at6native25elementwise_kernel_helperILb0EZZZNS0_12_GLOBAL__N_137scaled_modified_bessel_k0_kernel_cudaERNS_18TensorIteratorBaseEENKUlvE_clEvENKUlvE_clEvEUldE_NS0_6memory8policies11unroll_baseILi256ESt5arrayIPcLm2EE23TrivialOffsetCalculatorILi1EjESF_NS8_15LoadWithoutCastENS8_16StoreWithoutCastELi4ELi1EEEEEvT0_T1_.has_indirect_call)
	.section	.AMDGPU.csdata,"",@progbits
; Kernel info:
; codeLenInByte = 212
; TotalNumSgprs: 35
; NumVgprs: 68
; ScratchSize: 0
; MemoryBound: 0
; FloatMode: 240
; IeeeMode: 1
; LDSByteSize: 0 bytes/workgroup (compile time only)
; SGPRBlocks: 0
; VGPRBlocks: 4
; NumSGPRsForWavesPerEU: 35
; NumVGPRsForWavesPerEU: 68
; NamedBarCnt: 0
; Occupancy: 12
; WaveLimiterHint : 0
; COMPUTE_PGM_RSRC2:SCRATCH_EN: 0
; COMPUTE_PGM_RSRC2:USER_SGPR: 2
; COMPUTE_PGM_RSRC2:TRAP_HANDLER: 0
; COMPUTE_PGM_RSRC2:TGID_X_EN: 1
; COMPUTE_PGM_RSRC2:TGID_Y_EN: 0
; COMPUTE_PGM_RSRC2:TGID_Z_EN: 0
; COMPUTE_PGM_RSRC2:TIDIG_COMP_CNT: 0
	.section	.text._ZN2at6native29vectorized_elementwise_kernelILi4EZZZNS0_12_GLOBAL__N_137scaled_modified_bessel_k0_kernel_cudaERNS_18TensorIteratorBaseEENKUlvE_clEvENKUlvE_clEvEUldE_St5arrayIPcLm2EEEEviT0_T1_,"axG",@progbits,_ZN2at6native29vectorized_elementwise_kernelILi4EZZZNS0_12_GLOBAL__N_137scaled_modified_bessel_k0_kernel_cudaERNS_18TensorIteratorBaseEENKUlvE_clEvENKUlvE_clEvEUldE_St5arrayIPcLm2EEEEviT0_T1_,comdat
	.globl	_ZN2at6native29vectorized_elementwise_kernelILi4EZZZNS0_12_GLOBAL__N_137scaled_modified_bessel_k0_kernel_cudaERNS_18TensorIteratorBaseEENKUlvE_clEvENKUlvE_clEvEUldE_St5arrayIPcLm2EEEEviT0_T1_ ; -- Begin function _ZN2at6native29vectorized_elementwise_kernelILi4EZZZNS0_12_GLOBAL__N_137scaled_modified_bessel_k0_kernel_cudaERNS_18TensorIteratorBaseEENKUlvE_clEvENKUlvE_clEvEUldE_St5arrayIPcLm2EEEEviT0_T1_
	.p2align	8
	.type	_ZN2at6native29vectorized_elementwise_kernelILi4EZZZNS0_12_GLOBAL__N_137scaled_modified_bessel_k0_kernel_cudaERNS_18TensorIteratorBaseEENKUlvE_clEvENKUlvE_clEvEUldE_St5arrayIPcLm2EEEEviT0_T1_,@function
_ZN2at6native29vectorized_elementwise_kernelILi4EZZZNS0_12_GLOBAL__N_137scaled_modified_bessel_k0_kernel_cudaERNS_18TensorIteratorBaseEENKUlvE_clEvENKUlvE_clEvEUldE_St5arrayIPcLm2EEEEviT0_T1_: ; @_ZN2at6native29vectorized_elementwise_kernelILi4EZZZNS0_12_GLOBAL__N_137scaled_modified_bessel_k0_kernel_cudaERNS_18TensorIteratorBaseEENKUlvE_clEvENKUlvE_clEvEUldE_St5arrayIPcLm2EEEEviT0_T1_
; %bb.0:
	s_clause 0x1
	s_load_b32 s2, s[0:1], 0x0
	s_load_b128 s[8:11], s[0:1], 0x8
	s_wait_xcnt 0x0
	s_bfe_u32 s0, ttmp6, 0x4000c
	s_and_b32 s1, ttmp6, 15
	s_add_co_i32 s0, s0, 1
	s_getreg_b32 s3, hwreg(HW_REG_IB_STS2, 6, 4)
	s_mul_i32 s0, ttmp9, s0
	v_mov_b32_e32 v40, v0
	s_add_co_i32 s1, s1, s0
	s_cmp_eq_u32 s3, 0
	s_mov_b32 s32, 0
	s_cselect_b32 s0, ttmp9, s1
	s_delay_alu instid0(SALU_CYCLE_1)
	s_lshl_b32 s0, s0, 10
	s_wait_kmcnt 0x0
	s_sub_co_i32 s12, s2, s0
	s_mov_b32 s0, -1
	s_cmp_gt_i32 s12, 0x3ff
	s_cbranch_scc1 .LBB4_3
; %bb.1:
	s_and_not1_b32 vcc_lo, exec_lo, s0
	s_cbranch_vccz .LBB4_4
.LBB4_2:
	s_endpgm
.LBB4_3:
	v_dual_mov_b32 v31, v40 :: v_dual_mov_b32 v0, s8
	v_dual_mov_b32 v1, s9 :: v_dual_mov_b32 v2, s10
	v_mov_b32_e32 v3, s11
	s_get_pc_i64 s[0:1]
	s_add_nc_u64 s[0:1], s[0:1], _ZN2at6native25elementwise_kernel_helperILb0EZZZNS0_12_GLOBAL__N_137scaled_modified_bessel_k0_kernel_cudaERNS_18TensorIteratorBaseEENKUlvE_clEvENKUlvE_clEvEUldE_NS0_6memory8policies10vectorizedILi4ESt5arrayIPcLm2EELi4EEEEEvT0_T1_@rel64+4
	s_delay_alu instid0(SALU_CYCLE_1)
	s_swap_pc_i64 s[30:31], s[0:1]
	s_cbranch_execnz .LBB4_2
.LBB4_4:
	v_dual_mov_b32 v31, v40 :: v_dual_mov_b32 v0, s8
	v_dual_mov_b32 v1, s9 :: v_dual_mov_b32 v2, s10
	v_dual_mov_b32 v3, s11 :: v_dual_mov_b32 v4, s12
	s_get_pc_i64 s[0:1]
	s_add_nc_u64 s[0:1], s[0:1], _ZN2at6native25elementwise_kernel_helperILb0EZZZNS0_12_GLOBAL__N_137scaled_modified_bessel_k0_kernel_cudaERNS_18TensorIteratorBaseEENKUlvE_clEvENKUlvE_clEvEUldE_NS0_6memory8policies11unroll_baseILi256ESt5arrayIPcLm2EE23TrivialOffsetCalculatorILi1EjESF_NS8_15LoadWithoutCastENS8_16StoreWithoutCastELi4ELi1EEEEEvT0_T1_@rel64+4
	s_delay_alu instid0(SALU_CYCLE_1)
	s_swap_pc_i64 s[30:31], s[0:1]
	s_endpgm
	.section	.rodata,"a",@progbits
	.p2align	6, 0x0
	.amdhsa_kernel _ZN2at6native29vectorized_elementwise_kernelILi4EZZZNS0_12_GLOBAL__N_137scaled_modified_bessel_k0_kernel_cudaERNS_18TensorIteratorBaseEENKUlvE_clEvENKUlvE_clEvEUldE_St5arrayIPcLm2EEEEviT0_T1_
		.amdhsa_group_segment_fixed_size 0
		.amdhsa_private_segment_fixed_size 0
		.amdhsa_kernarg_size 24
		.amdhsa_user_sgpr_count 2
		.amdhsa_user_sgpr_dispatch_ptr 0
		.amdhsa_user_sgpr_queue_ptr 0
		.amdhsa_user_sgpr_kernarg_segment_ptr 1
		.amdhsa_user_sgpr_dispatch_id 0
		.amdhsa_user_sgpr_kernarg_preload_length 0
		.amdhsa_user_sgpr_kernarg_preload_offset 0
		.amdhsa_user_sgpr_private_segment_size 0
		.amdhsa_wavefront_size32 1
		.amdhsa_uses_dynamic_stack 0
		.amdhsa_enable_private_segment 0
		.amdhsa_system_sgpr_workgroup_id_x 1
		.amdhsa_system_sgpr_workgroup_id_y 0
		.amdhsa_system_sgpr_workgroup_id_z 0
		.amdhsa_system_sgpr_workgroup_info 0
		.amdhsa_system_vgpr_workitem_id 0
		.amdhsa_next_free_vgpr 68
		.amdhsa_next_free_sgpr 33
		.amdhsa_named_barrier_count 0
		.amdhsa_reserve_vcc 1
		.amdhsa_float_round_mode_32 0
		.amdhsa_float_round_mode_16_64 0
		.amdhsa_float_denorm_mode_32 3
		.amdhsa_float_denorm_mode_16_64 3
		.amdhsa_fp16_overflow 0
		.amdhsa_memory_ordered 1
		.amdhsa_forward_progress 1
		.amdhsa_inst_pref_size 2
		.amdhsa_round_robin_scheduling 0
		.amdhsa_exception_fp_ieee_invalid_op 0
		.amdhsa_exception_fp_denorm_src 0
		.amdhsa_exception_fp_ieee_div_zero 0
		.amdhsa_exception_fp_ieee_overflow 0
		.amdhsa_exception_fp_ieee_underflow 0
		.amdhsa_exception_fp_ieee_inexact 0
		.amdhsa_exception_int_div_zero 0
	.end_amdhsa_kernel
	.section	.text._ZN2at6native29vectorized_elementwise_kernelILi4EZZZNS0_12_GLOBAL__N_137scaled_modified_bessel_k0_kernel_cudaERNS_18TensorIteratorBaseEENKUlvE_clEvENKUlvE_clEvEUldE_St5arrayIPcLm2EEEEviT0_T1_,"axG",@progbits,_ZN2at6native29vectorized_elementwise_kernelILi4EZZZNS0_12_GLOBAL__N_137scaled_modified_bessel_k0_kernel_cudaERNS_18TensorIteratorBaseEENKUlvE_clEvENKUlvE_clEvEUldE_St5arrayIPcLm2EEEEviT0_T1_,comdat
.Lfunc_end4:
	.size	_ZN2at6native29vectorized_elementwise_kernelILi4EZZZNS0_12_GLOBAL__N_137scaled_modified_bessel_k0_kernel_cudaERNS_18TensorIteratorBaseEENKUlvE_clEvENKUlvE_clEvEUldE_St5arrayIPcLm2EEEEviT0_T1_, .Lfunc_end4-_ZN2at6native29vectorized_elementwise_kernelILi4EZZZNS0_12_GLOBAL__N_137scaled_modified_bessel_k0_kernel_cudaERNS_18TensorIteratorBaseEENKUlvE_clEvENKUlvE_clEvEUldE_St5arrayIPcLm2EEEEviT0_T1_
                                        ; -- End function
	.set _ZN2at6native29vectorized_elementwise_kernelILi4EZZZNS0_12_GLOBAL__N_137scaled_modified_bessel_k0_kernel_cudaERNS_18TensorIteratorBaseEENKUlvE_clEvENKUlvE_clEvEUldE_St5arrayIPcLm2EEEEviT0_T1_.num_vgpr, max(41, .L_ZN2at6native25elementwise_kernel_helperILb0EZZZNS0_12_GLOBAL__N_137scaled_modified_bessel_k0_kernel_cudaERNS_18TensorIteratorBaseEENKUlvE_clEvENKUlvE_clEvEUldE_NS0_6memory8policies10vectorizedILi4ESt5arrayIPcLm2EELi4EEEEEvT0_T1_.num_vgpr, .L_ZN2at6native25elementwise_kernel_helperILb0EZZZNS0_12_GLOBAL__N_137scaled_modified_bessel_k0_kernel_cudaERNS_18TensorIteratorBaseEENKUlvE_clEvENKUlvE_clEvEUldE_NS0_6memory8policies11unroll_baseILi256ESt5arrayIPcLm2EE23TrivialOffsetCalculatorILi1EjESF_NS8_15LoadWithoutCastENS8_16StoreWithoutCastELi4ELi1EEEEEvT0_T1_.num_vgpr)
	.set _ZN2at6native29vectorized_elementwise_kernelILi4EZZZNS0_12_GLOBAL__N_137scaled_modified_bessel_k0_kernel_cudaERNS_18TensorIteratorBaseEENKUlvE_clEvENKUlvE_clEvEUldE_St5arrayIPcLm2EEEEviT0_T1_.num_agpr, max(0, .L_ZN2at6native25elementwise_kernel_helperILb0EZZZNS0_12_GLOBAL__N_137scaled_modified_bessel_k0_kernel_cudaERNS_18TensorIteratorBaseEENKUlvE_clEvENKUlvE_clEvEUldE_NS0_6memory8policies10vectorizedILi4ESt5arrayIPcLm2EELi4EEEEEvT0_T1_.num_agpr, .L_ZN2at6native25elementwise_kernel_helperILb0EZZZNS0_12_GLOBAL__N_137scaled_modified_bessel_k0_kernel_cudaERNS_18TensorIteratorBaseEENKUlvE_clEvENKUlvE_clEvEUldE_NS0_6memory8policies11unroll_baseILi256ESt5arrayIPcLm2EE23TrivialOffsetCalculatorILi1EjESF_NS8_15LoadWithoutCastENS8_16StoreWithoutCastELi4ELi1EEEEEvT0_T1_.num_agpr)
	.set _ZN2at6native29vectorized_elementwise_kernelILi4EZZZNS0_12_GLOBAL__N_137scaled_modified_bessel_k0_kernel_cudaERNS_18TensorIteratorBaseEENKUlvE_clEvENKUlvE_clEvEUldE_St5arrayIPcLm2EEEEviT0_T1_.numbered_sgpr, max(33, .L_ZN2at6native25elementwise_kernel_helperILb0EZZZNS0_12_GLOBAL__N_137scaled_modified_bessel_k0_kernel_cudaERNS_18TensorIteratorBaseEENKUlvE_clEvENKUlvE_clEvEUldE_NS0_6memory8policies10vectorizedILi4ESt5arrayIPcLm2EELi4EEEEEvT0_T1_.numbered_sgpr, .L_ZN2at6native25elementwise_kernel_helperILb0EZZZNS0_12_GLOBAL__N_137scaled_modified_bessel_k0_kernel_cudaERNS_18TensorIteratorBaseEENKUlvE_clEvENKUlvE_clEvEUldE_NS0_6memory8policies11unroll_baseILi256ESt5arrayIPcLm2EE23TrivialOffsetCalculatorILi1EjESF_NS8_15LoadWithoutCastENS8_16StoreWithoutCastELi4ELi1EEEEEvT0_T1_.numbered_sgpr)
	.set _ZN2at6native29vectorized_elementwise_kernelILi4EZZZNS0_12_GLOBAL__N_137scaled_modified_bessel_k0_kernel_cudaERNS_18TensorIteratorBaseEENKUlvE_clEvENKUlvE_clEvEUldE_St5arrayIPcLm2EEEEviT0_T1_.num_named_barrier, max(0, .L_ZN2at6native25elementwise_kernel_helperILb0EZZZNS0_12_GLOBAL__N_137scaled_modified_bessel_k0_kernel_cudaERNS_18TensorIteratorBaseEENKUlvE_clEvENKUlvE_clEvEUldE_NS0_6memory8policies10vectorizedILi4ESt5arrayIPcLm2EELi4EEEEEvT0_T1_.num_named_barrier, .L_ZN2at6native25elementwise_kernel_helperILb0EZZZNS0_12_GLOBAL__N_137scaled_modified_bessel_k0_kernel_cudaERNS_18TensorIteratorBaseEENKUlvE_clEvENKUlvE_clEvEUldE_NS0_6memory8policies11unroll_baseILi256ESt5arrayIPcLm2EE23TrivialOffsetCalculatorILi1EjESF_NS8_15LoadWithoutCastENS8_16StoreWithoutCastELi4ELi1EEEEEvT0_T1_.num_named_barrier)
	.set _ZN2at6native29vectorized_elementwise_kernelILi4EZZZNS0_12_GLOBAL__N_137scaled_modified_bessel_k0_kernel_cudaERNS_18TensorIteratorBaseEENKUlvE_clEvENKUlvE_clEvEUldE_St5arrayIPcLm2EEEEviT0_T1_.private_seg_size, 0+max(.L_ZN2at6native25elementwise_kernel_helperILb0EZZZNS0_12_GLOBAL__N_137scaled_modified_bessel_k0_kernel_cudaERNS_18TensorIteratorBaseEENKUlvE_clEvENKUlvE_clEvEUldE_NS0_6memory8policies10vectorizedILi4ESt5arrayIPcLm2EELi4EEEEEvT0_T1_.private_seg_size, .L_ZN2at6native25elementwise_kernel_helperILb0EZZZNS0_12_GLOBAL__N_137scaled_modified_bessel_k0_kernel_cudaERNS_18TensorIteratorBaseEENKUlvE_clEvENKUlvE_clEvEUldE_NS0_6memory8policies11unroll_baseILi256ESt5arrayIPcLm2EE23TrivialOffsetCalculatorILi1EjESF_NS8_15LoadWithoutCastENS8_16StoreWithoutCastELi4ELi1EEEEEvT0_T1_.private_seg_size)
	.set _ZN2at6native29vectorized_elementwise_kernelILi4EZZZNS0_12_GLOBAL__N_137scaled_modified_bessel_k0_kernel_cudaERNS_18TensorIteratorBaseEENKUlvE_clEvENKUlvE_clEvEUldE_St5arrayIPcLm2EEEEviT0_T1_.uses_vcc, or(1, .L_ZN2at6native25elementwise_kernel_helperILb0EZZZNS0_12_GLOBAL__N_137scaled_modified_bessel_k0_kernel_cudaERNS_18TensorIteratorBaseEENKUlvE_clEvENKUlvE_clEvEUldE_NS0_6memory8policies10vectorizedILi4ESt5arrayIPcLm2EELi4EEEEEvT0_T1_.uses_vcc, .L_ZN2at6native25elementwise_kernel_helperILb0EZZZNS0_12_GLOBAL__N_137scaled_modified_bessel_k0_kernel_cudaERNS_18TensorIteratorBaseEENKUlvE_clEvENKUlvE_clEvEUldE_NS0_6memory8policies11unroll_baseILi256ESt5arrayIPcLm2EE23TrivialOffsetCalculatorILi1EjESF_NS8_15LoadWithoutCastENS8_16StoreWithoutCastELi4ELi1EEEEEvT0_T1_.uses_vcc)
	.set _ZN2at6native29vectorized_elementwise_kernelILi4EZZZNS0_12_GLOBAL__N_137scaled_modified_bessel_k0_kernel_cudaERNS_18TensorIteratorBaseEENKUlvE_clEvENKUlvE_clEvEUldE_St5arrayIPcLm2EEEEviT0_T1_.uses_flat_scratch, or(0, .L_ZN2at6native25elementwise_kernel_helperILb0EZZZNS0_12_GLOBAL__N_137scaled_modified_bessel_k0_kernel_cudaERNS_18TensorIteratorBaseEENKUlvE_clEvENKUlvE_clEvEUldE_NS0_6memory8policies10vectorizedILi4ESt5arrayIPcLm2EELi4EEEEEvT0_T1_.uses_flat_scratch, .L_ZN2at6native25elementwise_kernel_helperILb0EZZZNS0_12_GLOBAL__N_137scaled_modified_bessel_k0_kernel_cudaERNS_18TensorIteratorBaseEENKUlvE_clEvENKUlvE_clEvEUldE_NS0_6memory8policies11unroll_baseILi256ESt5arrayIPcLm2EE23TrivialOffsetCalculatorILi1EjESF_NS8_15LoadWithoutCastENS8_16StoreWithoutCastELi4ELi1EEEEEvT0_T1_.uses_flat_scratch)
	.set _ZN2at6native29vectorized_elementwise_kernelILi4EZZZNS0_12_GLOBAL__N_137scaled_modified_bessel_k0_kernel_cudaERNS_18TensorIteratorBaseEENKUlvE_clEvENKUlvE_clEvEUldE_St5arrayIPcLm2EEEEviT0_T1_.has_dyn_sized_stack, or(0, .L_ZN2at6native25elementwise_kernel_helperILb0EZZZNS0_12_GLOBAL__N_137scaled_modified_bessel_k0_kernel_cudaERNS_18TensorIteratorBaseEENKUlvE_clEvENKUlvE_clEvEUldE_NS0_6memory8policies10vectorizedILi4ESt5arrayIPcLm2EELi4EEEEEvT0_T1_.has_dyn_sized_stack, .L_ZN2at6native25elementwise_kernel_helperILb0EZZZNS0_12_GLOBAL__N_137scaled_modified_bessel_k0_kernel_cudaERNS_18TensorIteratorBaseEENKUlvE_clEvENKUlvE_clEvEUldE_NS0_6memory8policies11unroll_baseILi256ESt5arrayIPcLm2EE23TrivialOffsetCalculatorILi1EjESF_NS8_15LoadWithoutCastENS8_16StoreWithoutCastELi4ELi1EEEEEvT0_T1_.has_dyn_sized_stack)
	.set _ZN2at6native29vectorized_elementwise_kernelILi4EZZZNS0_12_GLOBAL__N_137scaled_modified_bessel_k0_kernel_cudaERNS_18TensorIteratorBaseEENKUlvE_clEvENKUlvE_clEvEUldE_St5arrayIPcLm2EEEEviT0_T1_.has_recursion, or(0, .L_ZN2at6native25elementwise_kernel_helperILb0EZZZNS0_12_GLOBAL__N_137scaled_modified_bessel_k0_kernel_cudaERNS_18TensorIteratorBaseEENKUlvE_clEvENKUlvE_clEvEUldE_NS0_6memory8policies10vectorizedILi4ESt5arrayIPcLm2EELi4EEEEEvT0_T1_.has_recursion, .L_ZN2at6native25elementwise_kernel_helperILb0EZZZNS0_12_GLOBAL__N_137scaled_modified_bessel_k0_kernel_cudaERNS_18TensorIteratorBaseEENKUlvE_clEvENKUlvE_clEvEUldE_NS0_6memory8policies11unroll_baseILi256ESt5arrayIPcLm2EE23TrivialOffsetCalculatorILi1EjESF_NS8_15LoadWithoutCastENS8_16StoreWithoutCastELi4ELi1EEEEEvT0_T1_.has_recursion)
	.set _ZN2at6native29vectorized_elementwise_kernelILi4EZZZNS0_12_GLOBAL__N_137scaled_modified_bessel_k0_kernel_cudaERNS_18TensorIteratorBaseEENKUlvE_clEvENKUlvE_clEvEUldE_St5arrayIPcLm2EEEEviT0_T1_.has_indirect_call, or(0, .L_ZN2at6native25elementwise_kernel_helperILb0EZZZNS0_12_GLOBAL__N_137scaled_modified_bessel_k0_kernel_cudaERNS_18TensorIteratorBaseEENKUlvE_clEvENKUlvE_clEvEUldE_NS0_6memory8policies10vectorizedILi4ESt5arrayIPcLm2EELi4EEEEEvT0_T1_.has_indirect_call, .L_ZN2at6native25elementwise_kernel_helperILb0EZZZNS0_12_GLOBAL__N_137scaled_modified_bessel_k0_kernel_cudaERNS_18TensorIteratorBaseEENKUlvE_clEvENKUlvE_clEvEUldE_NS0_6memory8policies11unroll_baseILi256ESt5arrayIPcLm2EE23TrivialOffsetCalculatorILi1EjESF_NS8_15LoadWithoutCastENS8_16StoreWithoutCastELi4ELi1EEEEEvT0_T1_.has_indirect_call)
	.section	.AMDGPU.csdata,"",@progbits
; Kernel info:
; codeLenInByte = 212
; TotalNumSgprs: 35
; NumVgprs: 68
; ScratchSize: 0
; MemoryBound: 0
; FloatMode: 240
; IeeeMode: 1
; LDSByteSize: 0 bytes/workgroup (compile time only)
; SGPRBlocks: 0
; VGPRBlocks: 4
; NumSGPRsForWavesPerEU: 35
; NumVGPRsForWavesPerEU: 68
; NamedBarCnt: 0
; Occupancy: 12
; WaveLimiterHint : 0
; COMPUTE_PGM_RSRC2:SCRATCH_EN: 0
; COMPUTE_PGM_RSRC2:USER_SGPR: 2
; COMPUTE_PGM_RSRC2:TRAP_HANDLER: 0
; COMPUTE_PGM_RSRC2:TGID_X_EN: 1
; COMPUTE_PGM_RSRC2:TGID_Y_EN: 0
; COMPUTE_PGM_RSRC2:TGID_Z_EN: 0
; COMPUTE_PGM_RSRC2:TIDIG_COMP_CNT: 0
	.section	.text._ZN2at6native29vectorized_elementwise_kernelILi2EZZZNS0_12_GLOBAL__N_137scaled_modified_bessel_k0_kernel_cudaERNS_18TensorIteratorBaseEENKUlvE_clEvENKUlvE_clEvEUldE_St5arrayIPcLm2EEEEviT0_T1_,"axG",@progbits,_ZN2at6native29vectorized_elementwise_kernelILi2EZZZNS0_12_GLOBAL__N_137scaled_modified_bessel_k0_kernel_cudaERNS_18TensorIteratorBaseEENKUlvE_clEvENKUlvE_clEvEUldE_St5arrayIPcLm2EEEEviT0_T1_,comdat
	.globl	_ZN2at6native29vectorized_elementwise_kernelILi2EZZZNS0_12_GLOBAL__N_137scaled_modified_bessel_k0_kernel_cudaERNS_18TensorIteratorBaseEENKUlvE_clEvENKUlvE_clEvEUldE_St5arrayIPcLm2EEEEviT0_T1_ ; -- Begin function _ZN2at6native29vectorized_elementwise_kernelILi2EZZZNS0_12_GLOBAL__N_137scaled_modified_bessel_k0_kernel_cudaERNS_18TensorIteratorBaseEENKUlvE_clEvENKUlvE_clEvEUldE_St5arrayIPcLm2EEEEviT0_T1_
	.p2align	8
	.type	_ZN2at6native29vectorized_elementwise_kernelILi2EZZZNS0_12_GLOBAL__N_137scaled_modified_bessel_k0_kernel_cudaERNS_18TensorIteratorBaseEENKUlvE_clEvENKUlvE_clEvEUldE_St5arrayIPcLm2EEEEviT0_T1_,@function
_ZN2at6native29vectorized_elementwise_kernelILi2EZZZNS0_12_GLOBAL__N_137scaled_modified_bessel_k0_kernel_cudaERNS_18TensorIteratorBaseEENKUlvE_clEvENKUlvE_clEvEUldE_St5arrayIPcLm2EEEEviT0_T1_: ; @_ZN2at6native29vectorized_elementwise_kernelILi2EZZZNS0_12_GLOBAL__N_137scaled_modified_bessel_k0_kernel_cudaERNS_18TensorIteratorBaseEENKUlvE_clEvENKUlvE_clEvEUldE_St5arrayIPcLm2EEEEviT0_T1_
; %bb.0:
	s_clause 0x1
	s_load_b32 s2, s[0:1], 0x0
	s_load_b128 s[4:7], s[0:1], 0x8
	s_wait_xcnt 0x0
	s_bfe_u32 s0, ttmp6, 0x4000c
	s_and_b32 s1, ttmp6, 15
	s_add_co_i32 s0, s0, 1
	s_getreg_b32 s3, hwreg(HW_REG_IB_STS2, 6, 4)
	s_mul_i32 s0, ttmp9, s0
	s_mov_b32 s32, 0
	s_add_co_i32 s1, s1, s0
	s_cmp_eq_u32 s3, 0
	s_cselect_b32 s0, ttmp9, s1
	s_mov_b32 s1, -1
	s_lshl_b32 s0, s0, 10
	s_wait_kmcnt 0x0
	s_sub_co_i32 s8, s2, s0
	s_delay_alu instid0(SALU_CYCLE_1)
	s_cmp_gt_i32 s8, 0x3ff
	s_cbranch_scc1 .LBB5_3
; %bb.1:
	s_and_b32 vcc_lo, exec_lo, s1
	s_cbranch_vccnz .LBB5_36
.LBB5_2:
	s_sendmsg sendmsg(MSG_DEALLOC_VGPRS)
	s_endpgm
.LBB5_3:
	s_ashr_i32 s1, s0, 31
	v_mov_b64_e32 v[4:5], 0x7ff0000000000000
	s_lshl_b64 s[2:3], s[0:1], 3
	v_mov_b64_e32 v[2:3], 0x7ff0000000000000
	s_add_nc_u64 s[0:1], s[6:7], s[2:3]
	s_clause 0x1
	global_load_b128 v[10:13], v0, s[0:1] scale_offset
	global_load_b128 v[6:9], v0, s[0:1] offset:4096 scale_offset
	s_wait_xcnt 0x0
	s_mov_b32 s1, exec_lo
	s_wait_loadcnt 0x1
	v_cmpx_neq_f64_e32 0, v[10:11]
	s_cbranch_execz .LBB5_11
; %bb.4:
	v_mov_b64_e32 v[2:3], 0x7ff8000000000000
	s_mov_b32 s9, exec_lo
	v_cmpx_ngt_f64_e32 0, v[10:11]
	s_cbranch_execz .LBB5_10
; %bb.5:
	s_mov_b32 s0, exec_lo
	v_cmpx_ge_f64_e32 2.0, v[10:11]
	s_xor_b32 s10, exec_lo, s0
	s_cbranch_execz .LBB5_7
; %bb.6:
	v_fma_f64 v[2:3], v[10:11], 0.5, -2.0
	s_mov_b64 s[12:13], 0xbc545cb72134d0ef
	v_mul_f64_e32 v[18:19], 0.5, v[10:11]
	s_delay_alu instid0(VALU_DEP_2) | instskip(SKIP_1) | instid1(VALU_DEP_2)
	v_fmaak_f64 v[14:15], s[12:13], v[2:3], 0x3c833362977da589
	s_mov_b64 s[12:13], 0x3fe5555555555555
	v_frexp_mant_f64_e32 v[20:21], v[18:19]
	v_cmp_neq_f64_e64 s0, 0, v[18:19]
	s_delay_alu instid0(VALU_DEP_3) | instskip(NEXT) | instid1(VALU_DEP_1)
	v_fmaak_f64 v[16:17], v[2:3], v[14:15], 0x3c545cb72134d0ef
	v_add_f64_e32 v[16:17], 0xbcb184eb721ebbb4, v[16:17]
	s_delay_alu instid0(VALU_DEP_4) | instskip(SKIP_1) | instid1(VALU_DEP_2)
	v_cmp_gt_f64_e32 vcc_lo, s[12:13], v[20:21]
	s_mov_b64 s[12:13], 0x3fc3ab76bf559e2b
	v_fma_f64 v[14:15], v[2:3], v[16:17], -v[14:15]
	v_cndmask_b32_e64 v1, 0, 1, vcc_lo
	s_delay_alu instid0(VALU_DEP_1) | instskip(SKIP_1) | instid1(VALU_DEP_4)
	v_ldexp_f64 v[20:21], v[20:21], v1
	v_frexp_exp_i32_f64_e32 v1, v[18:19]
	v_add_f64_e32 v[14:15], 0x3cdee6d893f65eba, v[14:15]
	s_delay_alu instid0(VALU_DEP_3) | instskip(SKIP_1) | instid1(VALU_DEP_4)
	v_add_f64_e32 v[22:23], 1.0, v[20:21]
	v_add_f64_e32 v[28:29], -1.0, v[20:21]
	v_subrev_co_ci_u32_e64 v1, null, 0, v1, vcc_lo
	v_cmp_neq_f64_e32 vcc_lo, 0x7ff00000, v[18:19]
	v_fma_f64 v[16:17], v[2:3], v[14:15], -v[16:17]
	v_rcp_f64_e32 v[24:25], v[22:23]
	v_add_f64_e32 v[30:31], -1.0, v[22:23]
	s_delay_alu instid0(VALU_DEP_2) | instskip(NEXT) | instid1(VALU_DEP_2)
	v_add_f64_e32 v[16:17], 0xbd0a5022c297fbeb, v[16:17]
	v_add_f64_e64 v[20:21], v[20:21], -v[30:31]
	s_delay_alu instid0(TRANS32_DEP_1) | instskip(NEXT) | instid1(VALU_DEP_3)
	v_fma_f64 v[26:27], -v[22:23], v[24:25], 1.0
	v_fma_f64 v[14:15], v[2:3], v[16:17], -v[14:15]
	s_delay_alu instid0(VALU_DEP_2) | instskip(NEXT) | instid1(VALU_DEP_2)
	v_fmac_f64_e32 v[24:25], v[26:27], v[24:25]
	v_add_f64_e32 v[14:15], 0x3d359b464b262627, v[14:15]
	s_delay_alu instid0(VALU_DEP_2) | instskip(NEXT) | instid1(VALU_DEP_2)
	v_fma_f64 v[26:27], -v[22:23], v[24:25], 1.0
	v_fma_f64 v[16:17], v[2:3], v[14:15], -v[16:17]
	s_delay_alu instid0(VALU_DEP_2) | instskip(NEXT) | instid1(VALU_DEP_2)
	v_fmac_f64_e32 v[24:25], v[26:27], v[24:25]
	v_add_f64_e32 v[16:17], 0xbd61164c62ee1af0, v[16:17]
	s_delay_alu instid0(VALU_DEP_2) | instskip(NEXT) | instid1(VALU_DEP_2)
	v_mul_f64_e32 v[26:27], v[28:29], v[24:25]
	v_fma_f64 v[14:15], v[2:3], v[16:17], -v[14:15]
	s_delay_alu instid0(VALU_DEP_2) | instskip(NEXT) | instid1(VALU_DEP_2)
	v_mul_f64_e32 v[32:33], v[22:23], v[26:27]
	v_add_f64_e32 v[14:15], 0x3d89fe2fe19bd324, v[14:15]
	s_delay_alu instid0(VALU_DEP_2) | instskip(NEXT) | instid1(VALU_DEP_2)
	v_fma_f64 v[22:23], v[26:27], v[22:23], -v[32:33]
	v_fma_f64 v[16:17], v[2:3], v[14:15], -v[16:17]
	s_delay_alu instid0(VALU_DEP_2) | instskip(NEXT) | instid1(VALU_DEP_2)
	v_fmac_f64_e32 v[22:23], v[26:27], v[20:21]
	v_add_f64_e32 v[16:17], 0xbdb2fc957a946abc, v[16:17]
	s_delay_alu instid0(VALU_DEP_2) | instskip(NEXT) | instid1(VALU_DEP_2)
	v_add_f64_e32 v[20:21], v[32:33], v[22:23]
	v_fma_f64 v[14:15], v[2:3], v[16:17], -v[14:15]
	s_delay_alu instid0(VALU_DEP_2) | instskip(NEXT) | instid1(VALU_DEP_2)
	v_add_f64_e64 v[30:31], v[28:29], -v[20:21]
	v_add_f64_e32 v[14:15], 0x3dda98becc743c10, v[14:15]
	v_add_f64_e64 v[32:33], v[20:21], -v[32:33]
	s_delay_alu instid0(VALU_DEP_3) | instskip(NEXT) | instid1(VALU_DEP_3)
	v_add_f64_e64 v[28:29], v[28:29], -v[30:31]
	v_fma_f64 v[16:17], v[2:3], v[14:15], -v[16:17]
	s_delay_alu instid0(VALU_DEP_3) | instskip(SKIP_1) | instid1(VALU_DEP_4)
	v_add_f64_e64 v[22:23], v[32:33], -v[22:23]
	v_cvt_f64_i32_e32 v[32:33], v1
	v_add_f64_e64 v[20:21], v[28:29], -v[20:21]
	s_delay_alu instid0(VALU_DEP_4) | instskip(NEXT) | instid1(VALU_DEP_3)
	v_add_f64_e32 v[16:17], 0xbe01d4fe13ae9556, v[16:17]
	v_mul_f64_e32 v[34:35], 0x3fe62e42fefa39ef, v[32:33]
	s_delay_alu instid0(VALU_DEP_3) | instskip(NEXT) | instid1(VALU_DEP_3)
	v_add_f64_e32 v[20:21], v[22:23], v[20:21]
	v_fma_f64 v[14:15], v[2:3], v[16:17], -v[14:15]
	s_delay_alu instid0(VALU_DEP_2) | instskip(NEXT) | instid1(VALU_DEP_2)
	v_add_f64_e32 v[20:21], v[30:31], v[20:21]
	v_add_f64_e32 v[14:15], 0x3e26d903a454cb34, v[14:15]
	s_delay_alu instid0(VALU_DEP_2) | instskip(NEXT) | instid1(VALU_DEP_2)
	v_mul_f64_e32 v[20:21], v[24:25], v[20:21]
	v_fma_f64 v[16:17], v[2:3], v[14:15], -v[16:17]
	s_delay_alu instid0(VALU_DEP_2) | instskip(NEXT) | instid1(VALU_DEP_2)
	v_add_f64_e32 v[22:23], v[26:27], v[20:21]
	v_add_f64_e32 v[16:17], 0xbe4beaf68c0b30ab, v[16:17]
	s_delay_alu instid0(VALU_DEP_2) | instskip(NEXT) | instid1(VALU_DEP_2)
	v_mul_f64_e32 v[24:25], v[22:23], v[22:23]
	v_fma_f64 v[14:15], v[2:3], v[16:17], -v[14:15]
	s_delay_alu instid0(VALU_DEP_2) | instskip(NEXT) | instid1(VALU_DEP_2)
	v_fmaak_f64 v[28:29], s[12:13], v[24:25], 0x3fc385386b47b09a
	v_add_f64_e32 v[14:15], 0x3e703b769d4d6435, v[14:15]
	v_mul_f64_e32 v[30:31], v[22:23], v[24:25]
	s_mov_b64 s[12:13], 0x3ca3cee1e6a7fd77
	s_delay_alu instid0(VALU_DEP_3) | instskip(NEXT) | instid1(VALU_DEP_1)
	v_fmaak_f64 v[28:29], v[24:25], v[28:29], 0x3fc7474dd7f4df2e
	v_fmaak_f64 v[28:29], v[24:25], v[28:29], 0x3fcc71c016291751
	s_delay_alu instid0(VALU_DEP_1) | instskip(NEXT) | instid1(VALU_DEP_1)
	v_fmaak_f64 v[28:29], v[24:25], v[28:29], 0x3fd249249b27acf1
	v_fmaak_f64 v[28:29], v[24:25], v[28:29], 0x3fd99999998ef7b6
	v_fma_f64 v[16:17], v[2:3], v[14:15], -v[16:17]
	s_delay_alu instid0(VALU_DEP_2) | instskip(SKIP_2) | instid1(VALU_DEP_3)
	v_fmaak_f64 v[24:25], v[24:25], v[28:29], 0x3fe5555555555780
	v_ldexp_f64 v[28:29], v[22:23], 1
	v_add_f64_e64 v[22:23], v[22:23], -v[26:27]
	v_mul_f64_e32 v[24:25], v[30:31], v[24:25]
	v_fma_f64 v[30:31], v[10:11], v[10:11], -2.0
	v_add_f64_e32 v[16:17], 0xbe91ec638f227f8d, v[16:17]
	s_delay_alu instid0(VALU_DEP_4) | instskip(NEXT) | instid1(VALU_DEP_4)
	v_add_f64_e64 v[20:21], v[20:21], -v[22:23]
	v_add_f64_e32 v[26:27], v[28:29], v[24:25]
	s_delay_alu instid0(VALU_DEP_3) | instskip(NEXT) | instid1(VALU_DEP_3)
	v_fma_f64 v[14:15], v[2:3], v[16:17], -v[14:15]
	v_ldexp_f64 v[20:21], v[20:21], 1
	s_delay_alu instid0(VALU_DEP_3) | instskip(SKIP_2) | instid1(VALU_DEP_1)
	v_add_f64_e64 v[22:23], v[26:27], -v[28:29]
	v_fmaak_f64 v[28:29], s[12:13], v[30:31], 0x3d27fb0ac384c2aa
	s_mov_b64 s[12:13], 0x3fe62e42fefa39ef
	v_fmaak_f64 v[36:37], v[30:31], v[28:29], 0xbca3cee1e6a7fd77
	v_add_f64_e32 v[14:15], 0x3eb2bf24978cf4ac, v[14:15]
	s_delay_alu instid0(VALU_DEP_4) | instskip(NEXT) | instid1(VALU_DEP_3)
	v_add_f64_e64 v[22:23], v[24:25], -v[22:23]
	v_add_f64_e32 v[24:25], 0x3da6c25c47512144, v[36:37]
	v_fma_f64 v[36:37], v[32:33], s[12:13], -v[34:35]
	s_mov_b64 s[12:13], 0x3e5ade156a5dcb37
	s_delay_alu instid0(VALU_DEP_4) | instskip(NEXT) | instid1(VALU_DEP_4)
	v_fma_f64 v[16:17], v[2:3], v[14:15], -v[16:17]
	v_add_f64_e32 v[20:21], v[20:21], v[22:23]
	s_delay_alu instid0(VALU_DEP_4) | instskip(NEXT) | instid1(VALU_DEP_4)
	v_fma_f64 v[22:23], v[30:31], v[24:25], -v[28:29]
	v_fmamk_f64 v[28:29], v[32:33], 0x3c7abc9e3b39803f, v[36:37]
	s_delay_alu instid0(VALU_DEP_1) | instskip(SKIP_3) | instid1(VALU_DEP_4)
	v_add_f64_e32 v[36:37], v[34:35], v[28:29]
	v_add_f64_e32 v[16:17], 0xbed2866fcba56427, v[16:17]
	;; [unrolled: 1-line block ×4, first 2 shown]
	v_add_f64_e64 v[34:35], v[36:37], -v[34:35]
	s_delay_alu instid0(VALU_DEP_4) | instskip(NEXT) | instid1(VALU_DEP_4)
	v_fma_f64 v[14:15], v[2:3], v[16:17], -v[14:15]
	v_add_f64_e32 v[38:39], v[36:37], v[32:33]
	s_delay_alu instid0(VALU_DEP_4) | instskip(SKIP_1) | instid1(VALU_DEP_4)
	v_fma_f64 v[24:25], v[30:31], v[22:23], -v[24:25]
	v_add_f64_e64 v[26:27], v[32:33], -v[26:27]
	v_add_f64_e32 v[14:15], 0x3ef13f58be9a2859, v[14:15]
	s_delay_alu instid0(VALU_DEP_4) | instskip(NEXT) | instid1(VALU_DEP_4)
	v_add_f64_e64 v[40:41], v[38:39], -v[36:37]
	v_add_f64_e32 v[24:25], 0x3e9102bce7f95efc, v[24:25]
	s_delay_alu instid0(VALU_DEP_4)
	v_add_f64_e64 v[20:21], v[20:21], -v[26:27]
	v_add_f64_e64 v[26:27], v[28:29], -v[34:35]
	v_mul_f64_e32 v[34:35], 0x3ff71547652b82fe, v[10:11]
	v_fma_f64 v[16:17], v[2:3], v[14:15], -v[16:17]
	v_add_f64_e64 v[42:43], v[38:39], -v[40:41]
	v_fma_f64 v[22:23], v[30:31], v[24:25], -v[22:23]
	v_add_f64_e64 v[32:33], v[32:33], -v[40:41]
	s_delay_alu instid0(VALU_DEP_4) | instskip(NEXT) | instid1(VALU_DEP_4)
	v_add_f64_e32 v[16:17], 0xbf0e2b2659c41d5a, v[16:17]
	v_add_f64_e64 v[28:29], v[36:37], -v[42:43]
	s_delay_alu instid0(VALU_DEP_4) | instskip(SKIP_1) | instid1(VALU_DEP_4)
	v_add_f64_e32 v[22:23], 0x3ef7f900fe8cfca0, v[22:23]
	v_add_f64_e32 v[36:37], v[26:27], v[20:21]
	v_fma_f64 v[14:15], v[2:3], v[16:17], -v[14:15]
	s_delay_alu instid0(VALU_DEP_4) | instskip(NEXT) | instid1(VALU_DEP_4)
	v_add_f64_e32 v[28:29], v[32:33], v[28:29]
	v_fma_f64 v[24:25], v[30:31], v[22:23], -v[24:25]
	v_rndne_f64_e32 v[32:33], v[34:35]
	v_add_f64_e64 v[34:35], v[36:37], -v[26:27]
	v_add_f64_e32 v[14:15], 0x3f28b51b74107cab, v[14:15]
	v_add_f64_e32 v[28:29], v[36:37], v[28:29]
	;; [unrolled: 1-line block ×3, first 2 shown]
	v_fmamk_f64 v[40:41], v[32:33], 0xbfe62e42fefa39ef, v[10:11]
	v_add_f64_e64 v[36:37], v[36:37], -v[34:35]
	v_add_f64_e64 v[20:21], v[20:21], -v[34:35]
	v_cvt_i32_f64_e32 v1, v[32:33]
	s_delay_alu instid0(VALU_DEP_4) | instskip(NEXT) | instid1(VALU_DEP_1)
	v_fmamk_f64 v[40:41], v[32:33], 0xbc7abc9e3b39803f, v[40:41]
	v_fmaak_f64 v[44:45], s[12:13], v[40:41], 0x3e928af3fca7ab0c
	s_delay_alu instid0(VALU_DEP_1) | instskip(SKIP_1) | instid1(VALU_DEP_2)
	v_fmaak_f64 v[44:45], v[40:41], v[44:45], 0x3ec71dee623fde64
	v_fma_f64 v[16:17], v[2:3], v[14:15], -v[16:17]
	v_fmaak_f64 v[44:45], v[40:41], v[44:45], 0x3efa01997c89e6b0
	v_add_f64_e32 v[42:43], v[38:39], v[28:29]
	v_fma_f64 v[22:23], v[30:31], v[24:25], -v[22:23]
	v_add_f64_e64 v[26:27], v[26:27], -v[36:37]
	s_delay_alu instid0(VALU_DEP_4) | instskip(NEXT) | instid1(VALU_DEP_1)
	v_fmaak_f64 v[44:45], v[40:41], v[44:45], 0x3f2a01a014761f6e
	v_fmaak_f64 v[36:37], v[40:41], v[44:45], 0x3f56c16c1852b7b0
	v_add_f64_e32 v[16:17], 0xbf42e2fd1f15eb52, v[16:17]
	v_add_f64_e64 v[34:35], v[42:43], -v[38:39]
	v_add_f64_e32 v[22:23], 0x3fa26bf6554a9085, v[22:23]
	v_add_f64_e32 v[20:21], v[20:21], v[26:27]
	s_delay_alu instid0(VALU_DEP_4) | instskip(NEXT) | instid1(VALU_DEP_4)
	v_fma_f64 v[14:15], v[2:3], v[16:17], -v[14:15]
	v_add_f64_e64 v[26:27], v[28:29], -v[34:35]
	s_delay_alu instid0(VALU_DEP_4) | instskip(NEXT) | instid1(VALU_DEP_3)
	v_fma_f64 v[24:25], v[30:31], v[22:23], -v[24:25]
	v_add_f64_e32 v[14:15], 0x3f5adc758a12100e, v[14:15]
	s_delay_alu instid0(VALU_DEP_3) | instskip(NEXT) | instid1(VALU_DEP_3)
	v_add_f64_e32 v[20:21], v[20:21], v[26:27]
	v_add_f64_e32 v[24:25], 0x3fd608d881213db9, v[24:25]
	s_delay_alu instid0(VALU_DEP_3) | instskip(NEXT) | instid1(VALU_DEP_1)
	v_fma_f64 v[16:17], v[2:3], v[14:15], -v[16:17]
	v_add_f64_e32 v[16:17], 0xbf71b65e201aa849, v[16:17]
	s_delay_alu instid0(VALU_DEP_1) | instskip(NEXT) | instid1(VALU_DEP_1)
	v_fma_f64 v[14:15], v[2:3], v[16:17], -v[14:15]
	v_add_f64_e32 v[14:15], 0x3f859961f3dde3dd, v[14:15]
	s_delay_alu instid0(VALU_DEP_1) | instskip(NEXT) | instid1(VALU_DEP_1)
	;; [unrolled: 3-line block ×6, first 2 shown]
	v_fma_f64 v[16:17], v[2:3], v[14:15], -v[16:17]
	v_add_f64_e32 v[16:17], 0xbfd37febc057cd8d, v[16:17]
	s_delay_alu instid0(VALU_DEP_1) | instskip(SKIP_1) | instid1(VALU_DEP_1)
	v_fma_f64 v[2:3], v[2:3], v[16:17], -v[14:15]
	v_fmaak_f64 v[16:17], v[40:41], v[36:37], 0x3f81111111122322
	v_fmaak_f64 v[16:17], v[40:41], v[16:17], 0x3fa55555555502a1
	s_delay_alu instid0(VALU_DEP_1) | instskip(NEXT) | instid1(VALU_DEP_1)
	v_fmaak_f64 v[16:17], v[40:41], v[16:17], 0x3fc5555555555511
	v_fmaak_f64 v[16:17], v[40:41], v[16:17], 0x3fe000000000000b
	s_delay_alu instid0(VALU_DEP_1) | instskip(SKIP_1) | instid1(VALU_DEP_2)
	v_fma_f64 v[16:17], v[40:41], v[16:17], 1.0
	v_add_f64_e32 v[2:3], 0x3fe5a84e9035a22a, v[2:3]
	v_fma_f64 v[16:17], v[40:41], v[16:17], 1.0
	s_delay_alu instid0(VALU_DEP_2) | instskip(SKIP_2) | instid1(VALU_DEP_4)
	v_add_f64_e64 v[2:3], v[2:3], -v[14:15]
	v_add_f64_e32 v[14:15], v[42:43], v[20:21]
	v_fma_f64 v[20:21], v[30:31], v[24:25], -v[22:23]
	v_ldexp_f64 v[16:17], v[16:17], v1
	s_delay_alu instid0(VALU_DEP_4) | instskip(NEXT) | instid1(VALU_DEP_4)
	v_mul_f64_e32 v[2:3], 0.5, v[2:3]
	v_cndmask_b32_e32 v1, 0x7ff00000, v15, vcc_lo
	s_delay_alu instid0(VALU_DEP_4) | instskip(SKIP_2) | instid1(VALU_DEP_3)
	v_add_f64_e32 v[18:19], 0xbfe12166e9d2f61f, v[20:21]
	s_and_b32 vcc_lo, s0, vcc_lo
	v_cndmask_b32_e32 v14, 0, v14, vcc_lo
	v_cndmask_b32_e64 v15, 0xfff00000, v1, s0
	v_mul_f64_e32 v[2:3], v[16:17], v[2:3]
	s_delay_alu instid0(VALU_DEP_4) | instskip(NEXT) | instid1(VALU_DEP_2)
	v_add_f64_e64 v[18:19], v[18:19], -v[22:23]
	v_mul_f64_e32 v[2:3], v[14:15], v[2:3]
	s_delay_alu instid0(VALU_DEP_1) | instskip(NEXT) | instid1(VALU_DEP_1)
	v_fma_f64 v[2:3], v[18:19], 0.5, -v[2:3]
	v_mul_f64_e32 v[2:3], v[16:17], v[2:3]
.LBB5_7:
	s_and_not1_saveexec_b32 s0, s10
	s_cbranch_execz .LBB5_9
; %bb.8:
	v_div_scale_f64 v[2:3], null, v[10:11], v[10:11], 0x40200000
	v_div_scale_f64 v[18:19], vcc_lo, 0x40200000, v[10:11], 0x40200000
	s_mov_b64 s[10:11], 0x3c5871a5cf8c9ee1
	v_rcp_f64_e32 v[14:15], v[2:3]
	v_nop
	s_delay_alu instid0(TRANS32_DEP_1) | instskip(NEXT) | instid1(VALU_DEP_1)
	v_fma_f64 v[16:17], -v[2:3], v[14:15], 1.0
	v_fmac_f64_e32 v[14:15], v[14:15], v[16:17]
	s_delay_alu instid0(VALU_DEP_1) | instskip(NEXT) | instid1(VALU_DEP_1)
	v_fma_f64 v[16:17], -v[2:3], v[14:15], 1.0
	v_fmac_f64_e32 v[14:15], v[14:15], v[16:17]
	s_delay_alu instid0(VALU_DEP_1) | instskip(NEXT) | instid1(VALU_DEP_1)
	v_mul_f64_e32 v[16:17], v[18:19], v[14:15]
	v_fma_f64 v[2:3], -v[2:3], v[16:17], v[18:19]
	s_delay_alu instid0(VALU_DEP_1) | instskip(SKIP_1) | instid1(VALU_DEP_2)
	v_div_fmas_f64 v[2:3], v[2:3], v[14:15], v[16:17]
	v_cmp_gt_f64_e32 vcc_lo, 0x10000000, v[10:11]
	v_div_fixup_f64 v[2:3], v[2:3], v[10:11], 0x40200000
	v_cndmask_b32_e64 v1, 0, 0x100, vcc_lo
	s_delay_alu instid0(VALU_DEP_1) | instskip(SKIP_1) | instid1(VALU_DEP_4)
	v_ldexp_f64 v[10:11], v[10:11], v1
	v_cndmask_b32_e64 v1, 0, 0xffffff80, vcc_lo
	v_add_f64_e32 v[2:3], -2.0, v[2:3]
	s_delay_alu instid0(VALU_DEP_3) | instskip(SKIP_1) | instid1(VALU_DEP_2)
	v_rsq_f64_e32 v[18:19], v[10:11]
	v_cmp_class_f64_e64 vcc_lo, v[10:11], 0x260
	v_fmaak_f64 v[14:15], s[10:11], v[2:3], 0xbc72fecc93812603
	s_delay_alu instid0(VALU_DEP_1) | instskip(NEXT) | instid1(TRANS32_DEP_1)
	v_fmaak_f64 v[16:17], v[2:3], v[14:15], 0xbc5871a5cf8c9ee1
	v_mul_f64_e32 v[20:21], v[10:11], v[18:19]
	v_mul_f64_e32 v[18:19], 0.5, v[18:19]
	s_delay_alu instid0(VALU_DEP_3) | instskip(NEXT) | instid1(VALU_DEP_2)
	v_add_f64_e32 v[16:17], 0x3c8e092e41a8cdf4, v[16:17]
	v_fma_f64 v[22:23], -v[18:19], v[20:21], 0.5
	s_delay_alu instid0(VALU_DEP_2) | instskip(NEXT) | instid1(VALU_DEP_2)
	v_fma_f64 v[14:15], v[2:3], v[16:17], -v[14:15]
	v_fmac_f64_e32 v[20:21], v[20:21], v[22:23]
	s_delay_alu instid0(VALU_DEP_2) | instskip(SKIP_1) | instid1(VALU_DEP_3)
	v_add_f64_e32 v[14:15], 0xbca82f9474d77641, v[14:15]
	v_fmac_f64_e32 v[18:19], v[18:19], v[22:23]
	v_fma_f64 v[22:23], -v[20:21], v[20:21], v[10:11]
	s_delay_alu instid0(VALU_DEP_3) | instskip(NEXT) | instid1(VALU_DEP_2)
	v_fma_f64 v[16:17], v[2:3], v[14:15], -v[16:17]
	v_fmac_f64_e32 v[20:21], v[22:23], v[18:19]
	s_delay_alu instid0(VALU_DEP_2) | instskip(NEXT) | instid1(VALU_DEP_1)
	v_add_f64_e32 v[16:17], 0x3cc3dbf96b94785b, v[16:17]
	v_fma_f64 v[14:15], v[2:3], v[16:17], -v[14:15]
	s_delay_alu instid0(VALU_DEP_1) | instskip(NEXT) | instid1(VALU_DEP_1)
	v_add_f64_e32 v[14:15], 0xbce0a690ecfadd36, v[14:15]
	v_fma_f64 v[16:17], v[2:3], v[14:15], -v[16:17]
	s_delay_alu instid0(VALU_DEP_1) | instskip(NEXT) | instid1(VALU_DEP_1)
	;; [unrolled: 3-line block ×19, first 2 shown]
	v_add_f64_e32 v[14:15], 0xbfa019f72d4ff71e, v[14:15]
	v_fma_f64 v[2:3], v[2:3], v[14:15], -v[16:17]
	v_fma_f64 v[14:15], -v[20:21], v[20:21], v[10:11]
	s_delay_alu instid0(VALU_DEP_2) | instskip(NEXT) | instid1(VALU_DEP_2)
	v_add_f64_e32 v[2:3], 0x400385bd9f4e6907, v[2:3]
	v_fmac_f64_e32 v[20:21], v[14:15], v[18:19]
	s_delay_alu instid0(VALU_DEP_2) | instskip(NEXT) | instid1(VALU_DEP_2)
	v_add_f64_e64 v[2:3], v[2:3], -v[16:17]
	v_ldexp_f64 v[14:15], v[20:21], v1
	s_delay_alu instid0(VALU_DEP_2) | instskip(NEXT) | instid1(VALU_DEP_2)
	v_mul_f64_e32 v[2:3], 0.5, v[2:3]
	v_dual_cndmask_b32 v11, v15, v11 :: v_dual_cndmask_b32 v10, v14, v10
	s_delay_alu instid0(VALU_DEP_1) | instskip(NEXT) | instid1(VALU_DEP_1)
	v_div_scale_f64 v[14:15], null, v[10:11], v[10:11], v[2:3]
	v_rcp_f64_e32 v[16:17], v[14:15]
	v_nop
	s_delay_alu instid0(TRANS32_DEP_1) | instskip(NEXT) | instid1(VALU_DEP_1)
	v_fma_f64 v[18:19], -v[14:15], v[16:17], 1.0
	v_fmac_f64_e32 v[16:17], v[16:17], v[18:19]
	s_delay_alu instid0(VALU_DEP_1) | instskip(NEXT) | instid1(VALU_DEP_1)
	v_fma_f64 v[18:19], -v[14:15], v[16:17], 1.0
	v_fmac_f64_e32 v[16:17], v[16:17], v[18:19]
	v_div_scale_f64 v[18:19], vcc_lo, v[2:3], v[10:11], v[2:3]
	s_delay_alu instid0(VALU_DEP_1) | instskip(NEXT) | instid1(VALU_DEP_1)
	v_mul_f64_e32 v[20:21], v[18:19], v[16:17]
	v_fma_f64 v[14:15], -v[14:15], v[20:21], v[18:19]
	s_delay_alu instid0(VALU_DEP_1) | instskip(NEXT) | instid1(VALU_DEP_1)
	v_div_fmas_f64 v[14:15], v[14:15], v[16:17], v[20:21]
	v_div_fixup_f64 v[2:3], v[14:15], v[10:11], v[2:3]
.LBB5_9:
	s_or_b32 exec_lo, exec_lo, s0
.LBB5_10:
	s_delay_alu instid0(SALU_CYCLE_1)
	s_or_b32 exec_lo, exec_lo, s9
.LBB5_11:
	s_delay_alu instid0(SALU_CYCLE_1) | instskip(NEXT) | instid1(SALU_CYCLE_1)
	s_or_b32 exec_lo, exec_lo, s1
	s_mov_b32 s1, exec_lo
	v_cmpx_neq_f64_e32 0, v[12:13]
	s_cbranch_execz .LBB5_19
; %bb.12:
	v_mov_b64_e32 v[4:5], 0x7ff8000000000000
	s_mov_b32 s9, exec_lo
	v_cmpx_ngt_f64_e32 0, v[12:13]
	s_cbranch_execz .LBB5_18
; %bb.13:
	s_mov_b32 s0, exec_lo
	v_cmpx_ge_f64_e32 2.0, v[12:13]
	s_xor_b32 s10, exec_lo, s0
	s_cbranch_execz .LBB5_15
; %bb.14:
	v_fma_f64 v[4:5], v[12:13], 0.5, -2.0
	s_mov_b64 s[12:13], 0xbc545cb72134d0ef
	v_mul_f64_e32 v[16:17], 0.5, v[12:13]
	s_delay_alu instid0(VALU_DEP_2) | instskip(SKIP_1) | instid1(VALU_DEP_2)
	v_fmaak_f64 v[10:11], s[12:13], v[4:5], 0x3c833362977da589
	s_mov_b64 s[12:13], 0x3fe5555555555555
	v_frexp_mant_f64_e32 v[18:19], v[16:17]
	v_cmp_neq_f64_e64 s0, 0, v[16:17]
	s_delay_alu instid0(VALU_DEP_3) | instskip(NEXT) | instid1(VALU_DEP_1)
	v_fmaak_f64 v[14:15], v[4:5], v[10:11], 0x3c545cb72134d0ef
	v_add_f64_e32 v[14:15], 0xbcb184eb721ebbb4, v[14:15]
	s_delay_alu instid0(VALU_DEP_4) | instskip(SKIP_1) | instid1(VALU_DEP_2)
	v_cmp_gt_f64_e32 vcc_lo, s[12:13], v[18:19]
	s_mov_b64 s[12:13], 0x3fc3ab76bf559e2b
	v_fma_f64 v[10:11], v[4:5], v[14:15], -v[10:11]
	v_cndmask_b32_e64 v1, 0, 1, vcc_lo
	s_delay_alu instid0(VALU_DEP_1) | instskip(SKIP_1) | instid1(VALU_DEP_4)
	v_ldexp_f64 v[18:19], v[18:19], v1
	v_frexp_exp_i32_f64_e32 v1, v[16:17]
	v_add_f64_e32 v[10:11], 0x3cdee6d893f65eba, v[10:11]
	s_delay_alu instid0(VALU_DEP_3) | instskip(SKIP_1) | instid1(VALU_DEP_4)
	v_add_f64_e32 v[20:21], 1.0, v[18:19]
	v_add_f64_e32 v[26:27], -1.0, v[18:19]
	v_subrev_co_ci_u32_e64 v1, null, 0, v1, vcc_lo
	v_cmp_neq_f64_e32 vcc_lo, 0x7ff00000, v[16:17]
	v_fma_f64 v[14:15], v[4:5], v[10:11], -v[14:15]
	v_rcp_f64_e32 v[22:23], v[20:21]
	v_add_f64_e32 v[28:29], -1.0, v[20:21]
	s_delay_alu instid0(VALU_DEP_2) | instskip(NEXT) | instid1(VALU_DEP_2)
	v_add_f64_e32 v[14:15], 0xbd0a5022c297fbeb, v[14:15]
	v_add_f64_e64 v[18:19], v[18:19], -v[28:29]
	s_delay_alu instid0(TRANS32_DEP_1) | instskip(NEXT) | instid1(VALU_DEP_3)
	v_fma_f64 v[24:25], -v[20:21], v[22:23], 1.0
	v_fma_f64 v[10:11], v[4:5], v[14:15], -v[10:11]
	s_delay_alu instid0(VALU_DEP_2) | instskip(NEXT) | instid1(VALU_DEP_2)
	v_fmac_f64_e32 v[22:23], v[24:25], v[22:23]
	v_add_f64_e32 v[10:11], 0x3d359b464b262627, v[10:11]
	s_delay_alu instid0(VALU_DEP_2) | instskip(NEXT) | instid1(VALU_DEP_2)
	v_fma_f64 v[24:25], -v[20:21], v[22:23], 1.0
	v_fma_f64 v[14:15], v[4:5], v[10:11], -v[14:15]
	s_delay_alu instid0(VALU_DEP_2) | instskip(NEXT) | instid1(VALU_DEP_2)
	v_fmac_f64_e32 v[22:23], v[24:25], v[22:23]
	v_add_f64_e32 v[14:15], 0xbd61164c62ee1af0, v[14:15]
	s_delay_alu instid0(VALU_DEP_2) | instskip(NEXT) | instid1(VALU_DEP_2)
	v_mul_f64_e32 v[24:25], v[26:27], v[22:23]
	v_fma_f64 v[10:11], v[4:5], v[14:15], -v[10:11]
	s_delay_alu instid0(VALU_DEP_2) | instskip(NEXT) | instid1(VALU_DEP_2)
	v_mul_f64_e32 v[30:31], v[20:21], v[24:25]
	v_add_f64_e32 v[10:11], 0x3d89fe2fe19bd324, v[10:11]
	s_delay_alu instid0(VALU_DEP_2) | instskip(NEXT) | instid1(VALU_DEP_2)
	v_fma_f64 v[20:21], v[24:25], v[20:21], -v[30:31]
	v_fma_f64 v[14:15], v[4:5], v[10:11], -v[14:15]
	s_delay_alu instid0(VALU_DEP_2) | instskip(NEXT) | instid1(VALU_DEP_2)
	v_fmac_f64_e32 v[20:21], v[24:25], v[18:19]
	v_add_f64_e32 v[14:15], 0xbdb2fc957a946abc, v[14:15]
	s_delay_alu instid0(VALU_DEP_2) | instskip(NEXT) | instid1(VALU_DEP_2)
	v_add_f64_e32 v[18:19], v[30:31], v[20:21]
	v_fma_f64 v[10:11], v[4:5], v[14:15], -v[10:11]
	s_delay_alu instid0(VALU_DEP_2) | instskip(NEXT) | instid1(VALU_DEP_2)
	v_add_f64_e64 v[28:29], v[26:27], -v[18:19]
	v_add_f64_e32 v[10:11], 0x3dda98becc743c10, v[10:11]
	v_add_f64_e64 v[30:31], v[18:19], -v[30:31]
	s_delay_alu instid0(VALU_DEP_3) | instskip(NEXT) | instid1(VALU_DEP_3)
	v_add_f64_e64 v[26:27], v[26:27], -v[28:29]
	v_fma_f64 v[14:15], v[4:5], v[10:11], -v[14:15]
	s_delay_alu instid0(VALU_DEP_3) | instskip(SKIP_1) | instid1(VALU_DEP_4)
	v_add_f64_e64 v[20:21], v[30:31], -v[20:21]
	v_cvt_f64_i32_e32 v[30:31], v1
	v_add_f64_e64 v[18:19], v[26:27], -v[18:19]
	s_delay_alu instid0(VALU_DEP_4) | instskip(NEXT) | instid1(VALU_DEP_3)
	v_add_f64_e32 v[14:15], 0xbe01d4fe13ae9556, v[14:15]
	v_mul_f64_e32 v[32:33], 0x3fe62e42fefa39ef, v[30:31]
	s_delay_alu instid0(VALU_DEP_3) | instskip(NEXT) | instid1(VALU_DEP_3)
	v_add_f64_e32 v[18:19], v[20:21], v[18:19]
	v_fma_f64 v[10:11], v[4:5], v[14:15], -v[10:11]
	s_delay_alu instid0(VALU_DEP_2) | instskip(NEXT) | instid1(VALU_DEP_2)
	v_add_f64_e32 v[18:19], v[28:29], v[18:19]
	v_add_f64_e32 v[10:11], 0x3e26d903a454cb34, v[10:11]
	s_delay_alu instid0(VALU_DEP_2) | instskip(NEXT) | instid1(VALU_DEP_2)
	v_mul_f64_e32 v[18:19], v[22:23], v[18:19]
	v_fma_f64 v[14:15], v[4:5], v[10:11], -v[14:15]
	s_delay_alu instid0(VALU_DEP_2) | instskip(NEXT) | instid1(VALU_DEP_2)
	v_add_f64_e32 v[20:21], v[24:25], v[18:19]
	v_add_f64_e32 v[14:15], 0xbe4beaf68c0b30ab, v[14:15]
	s_delay_alu instid0(VALU_DEP_2) | instskip(NEXT) | instid1(VALU_DEP_2)
	v_mul_f64_e32 v[22:23], v[20:21], v[20:21]
	v_fma_f64 v[10:11], v[4:5], v[14:15], -v[10:11]
	s_delay_alu instid0(VALU_DEP_2) | instskip(NEXT) | instid1(VALU_DEP_2)
	v_fmaak_f64 v[26:27], s[12:13], v[22:23], 0x3fc385386b47b09a
	v_add_f64_e32 v[10:11], 0x3e703b769d4d6435, v[10:11]
	v_mul_f64_e32 v[28:29], v[20:21], v[22:23]
	s_mov_b64 s[12:13], 0x3ca3cee1e6a7fd77
	s_delay_alu instid0(VALU_DEP_3) | instskip(NEXT) | instid1(VALU_DEP_1)
	v_fmaak_f64 v[26:27], v[22:23], v[26:27], 0x3fc7474dd7f4df2e
	v_fmaak_f64 v[26:27], v[22:23], v[26:27], 0x3fcc71c016291751
	s_delay_alu instid0(VALU_DEP_1) | instskip(NEXT) | instid1(VALU_DEP_1)
	v_fmaak_f64 v[26:27], v[22:23], v[26:27], 0x3fd249249b27acf1
	v_fmaak_f64 v[26:27], v[22:23], v[26:27], 0x3fd99999998ef7b6
	v_fma_f64 v[14:15], v[4:5], v[10:11], -v[14:15]
	s_delay_alu instid0(VALU_DEP_2) | instskip(SKIP_2) | instid1(VALU_DEP_3)
	v_fmaak_f64 v[22:23], v[22:23], v[26:27], 0x3fe5555555555780
	v_ldexp_f64 v[26:27], v[20:21], 1
	v_add_f64_e64 v[20:21], v[20:21], -v[24:25]
	v_mul_f64_e32 v[22:23], v[28:29], v[22:23]
	v_fma_f64 v[28:29], v[12:13], v[12:13], -2.0
	v_add_f64_e32 v[14:15], 0xbe91ec638f227f8d, v[14:15]
	s_delay_alu instid0(VALU_DEP_4) | instskip(NEXT) | instid1(VALU_DEP_4)
	v_add_f64_e64 v[18:19], v[18:19], -v[20:21]
	v_add_f64_e32 v[24:25], v[26:27], v[22:23]
	s_delay_alu instid0(VALU_DEP_3) | instskip(NEXT) | instid1(VALU_DEP_3)
	v_fma_f64 v[10:11], v[4:5], v[14:15], -v[10:11]
	v_ldexp_f64 v[18:19], v[18:19], 1
	s_delay_alu instid0(VALU_DEP_3) | instskip(SKIP_2) | instid1(VALU_DEP_1)
	v_add_f64_e64 v[20:21], v[24:25], -v[26:27]
	v_fmaak_f64 v[26:27], s[12:13], v[28:29], 0x3d27fb0ac384c2aa
	s_mov_b64 s[12:13], 0x3fe62e42fefa39ef
	v_fmaak_f64 v[34:35], v[28:29], v[26:27], 0xbca3cee1e6a7fd77
	v_add_f64_e32 v[10:11], 0x3eb2bf24978cf4ac, v[10:11]
	s_delay_alu instid0(VALU_DEP_4) | instskip(NEXT) | instid1(VALU_DEP_3)
	v_add_f64_e64 v[20:21], v[22:23], -v[20:21]
	v_add_f64_e32 v[22:23], 0x3da6c25c47512144, v[34:35]
	v_fma_f64 v[34:35], v[30:31], s[12:13], -v[32:33]
	s_mov_b64 s[12:13], 0x3e5ade156a5dcb37
	s_delay_alu instid0(VALU_DEP_4) | instskip(NEXT) | instid1(VALU_DEP_4)
	v_fma_f64 v[14:15], v[4:5], v[10:11], -v[14:15]
	v_add_f64_e32 v[18:19], v[18:19], v[20:21]
	s_delay_alu instid0(VALU_DEP_4) | instskip(NEXT) | instid1(VALU_DEP_4)
	v_fma_f64 v[20:21], v[28:29], v[22:23], -v[26:27]
	v_fmamk_f64 v[26:27], v[30:31], 0x3c7abc9e3b39803f, v[34:35]
	s_delay_alu instid0(VALU_DEP_1) | instskip(SKIP_3) | instid1(VALU_DEP_4)
	v_add_f64_e32 v[34:35], v[32:33], v[26:27]
	v_add_f64_e32 v[14:15], 0xbed2866fcba56427, v[14:15]
	v_add_f64_e32 v[30:31], v[24:25], v[18:19]
	v_add_f64_e32 v[20:21], 0x3e205c1367e58a13, v[20:21]
	v_add_f64_e64 v[32:33], v[34:35], -v[32:33]
	s_delay_alu instid0(VALU_DEP_4) | instskip(NEXT) | instid1(VALU_DEP_4)
	v_fma_f64 v[10:11], v[4:5], v[14:15], -v[10:11]
	v_add_f64_e32 v[36:37], v[34:35], v[30:31]
	s_delay_alu instid0(VALU_DEP_4) | instskip(SKIP_1) | instid1(VALU_DEP_4)
	v_fma_f64 v[22:23], v[28:29], v[20:21], -v[22:23]
	v_add_f64_e64 v[24:25], v[30:31], -v[24:25]
	v_add_f64_e32 v[10:11], 0x3ef13f58be9a2859, v[10:11]
	s_delay_alu instid0(VALU_DEP_4) | instskip(NEXT) | instid1(VALU_DEP_4)
	v_add_f64_e64 v[38:39], v[36:37], -v[34:35]
	v_add_f64_e32 v[22:23], 0x3e9102bce7f95efc, v[22:23]
	s_delay_alu instid0(VALU_DEP_4)
	v_add_f64_e64 v[18:19], v[18:19], -v[24:25]
	v_add_f64_e64 v[24:25], v[26:27], -v[32:33]
	v_mul_f64_e32 v[32:33], 0x3ff71547652b82fe, v[12:13]
	v_fma_f64 v[14:15], v[4:5], v[10:11], -v[14:15]
	v_add_f64_e64 v[40:41], v[36:37], -v[38:39]
	v_fma_f64 v[20:21], v[28:29], v[22:23], -v[20:21]
	v_add_f64_e64 v[30:31], v[30:31], -v[38:39]
	s_delay_alu instid0(VALU_DEP_4) | instskip(NEXT) | instid1(VALU_DEP_4)
	v_add_f64_e32 v[14:15], 0xbf0e2b2659c41d5a, v[14:15]
	v_add_f64_e64 v[26:27], v[34:35], -v[40:41]
	s_delay_alu instid0(VALU_DEP_4) | instskip(SKIP_1) | instid1(VALU_DEP_4)
	v_add_f64_e32 v[20:21], 0x3ef7f900fe8cfca0, v[20:21]
	v_add_f64_e32 v[34:35], v[24:25], v[18:19]
	v_fma_f64 v[10:11], v[4:5], v[14:15], -v[10:11]
	s_delay_alu instid0(VALU_DEP_4) | instskip(NEXT) | instid1(VALU_DEP_4)
	v_add_f64_e32 v[26:27], v[30:31], v[26:27]
	v_fma_f64 v[22:23], v[28:29], v[20:21], -v[22:23]
	v_rndne_f64_e32 v[30:31], v[32:33]
	v_add_f64_e64 v[32:33], v[34:35], -v[24:25]
	v_add_f64_e32 v[10:11], 0x3f28b51b74107cab, v[10:11]
	v_add_f64_e32 v[26:27], v[34:35], v[26:27]
	;; [unrolled: 1-line block ×3, first 2 shown]
	v_fmamk_f64 v[12:13], v[30:31], 0xbfe62e42fefa39ef, v[12:13]
	v_add_f64_e64 v[34:35], v[34:35], -v[32:33]
	v_add_f64_e64 v[18:19], v[18:19], -v[32:33]
	v_cvt_i32_f64_e32 v1, v[30:31]
	s_delay_alu instid0(VALU_DEP_4) | instskip(NEXT) | instid1(VALU_DEP_1)
	v_fmamk_f64 v[12:13], v[30:31], 0xbc7abc9e3b39803f, v[12:13]
	v_fmaak_f64 v[40:41], s[12:13], v[12:13], 0x3e928af3fca7ab0c
	s_delay_alu instid0(VALU_DEP_1) | instskip(SKIP_1) | instid1(VALU_DEP_2)
	v_fmaak_f64 v[40:41], v[12:13], v[40:41], 0x3ec71dee623fde64
	v_fma_f64 v[14:15], v[4:5], v[10:11], -v[14:15]
	v_fmaak_f64 v[40:41], v[12:13], v[40:41], 0x3efa01997c89e6b0
	v_add_f64_e32 v[38:39], v[36:37], v[26:27]
	v_fma_f64 v[20:21], v[28:29], v[22:23], -v[20:21]
	v_add_f64_e64 v[24:25], v[24:25], -v[34:35]
	s_delay_alu instid0(VALU_DEP_4) | instskip(NEXT) | instid1(VALU_DEP_1)
	v_fmaak_f64 v[40:41], v[12:13], v[40:41], 0x3f2a01a014761f6e
	v_fmaak_f64 v[34:35], v[12:13], v[40:41], 0x3f56c16c1852b7b0
	v_add_f64_e32 v[14:15], 0xbf42e2fd1f15eb52, v[14:15]
	v_add_f64_e64 v[32:33], v[38:39], -v[36:37]
	v_add_f64_e32 v[20:21], 0x3fa26bf6554a9085, v[20:21]
	v_add_f64_e32 v[18:19], v[18:19], v[24:25]
	s_delay_alu instid0(VALU_DEP_4) | instskip(NEXT) | instid1(VALU_DEP_4)
	v_fma_f64 v[10:11], v[4:5], v[14:15], -v[10:11]
	v_add_f64_e64 v[24:25], v[26:27], -v[32:33]
	s_delay_alu instid0(VALU_DEP_4) | instskip(NEXT) | instid1(VALU_DEP_3)
	v_fma_f64 v[22:23], v[28:29], v[20:21], -v[22:23]
	v_add_f64_e32 v[10:11], 0x3f5adc758a12100e, v[10:11]
	s_delay_alu instid0(VALU_DEP_3) | instskip(NEXT) | instid1(VALU_DEP_3)
	v_add_f64_e32 v[18:19], v[18:19], v[24:25]
	v_add_f64_e32 v[22:23], 0x3fd608d881213db9, v[22:23]
	s_delay_alu instid0(VALU_DEP_3) | instskip(NEXT) | instid1(VALU_DEP_1)
	v_fma_f64 v[14:15], v[4:5], v[10:11], -v[14:15]
	v_add_f64_e32 v[14:15], 0xbf71b65e201aa849, v[14:15]
	s_delay_alu instid0(VALU_DEP_1) | instskip(NEXT) | instid1(VALU_DEP_1)
	v_fma_f64 v[10:11], v[4:5], v[14:15], -v[10:11]
	v_add_f64_e32 v[10:11], 0x3f859961f3dde3dd, v[10:11]
	s_delay_alu instid0(VALU_DEP_1) | instskip(NEXT) | instid1(VALU_DEP_1)
	v_fma_f64 v[14:15], v[4:5], v[10:11], -v[14:15]
	v_add_f64_e32 v[14:15], 0xbf984e9ef121b6f0, v[14:15]
	s_delay_alu instid0(VALU_DEP_1) | instskip(NEXT) | instid1(VALU_DEP_1)
	v_fma_f64 v[10:11], v[4:5], v[14:15], -v[10:11]
	v_add_f64_e32 v[10:11], 0x3fa93e8acea8a32d, v[10:11]
	s_delay_alu instid0(VALU_DEP_1) | instskip(NEXT) | instid1(VALU_DEP_1)
	v_fma_f64 v[14:15], v[4:5], v[10:11], -v[14:15]
	v_add_f64_e32 v[14:15], 0xbfb84b70342d06ea, v[14:15]
	s_delay_alu instid0(VALU_DEP_1) | instskip(NEXT) | instid1(VALU_DEP_1)
	v_fma_f64 v[10:11], v[4:5], v[14:15], -v[10:11]
	v_add_f64_e32 v[10:11], 0x3fc5f7ac77ac88c0, v[10:11]
	s_delay_alu instid0(VALU_DEP_1) | instskip(NEXT) | instid1(VALU_DEP_1)
	v_fma_f64 v[14:15], v[4:5], v[10:11], -v[14:15]
	v_add_f64_e32 v[14:15], 0xbfd37febc057cd8d, v[14:15]
	s_delay_alu instid0(VALU_DEP_1) | instskip(SKIP_1) | instid1(VALU_DEP_1)
	v_fma_f64 v[4:5], v[4:5], v[14:15], -v[10:11]
	v_fmaak_f64 v[14:15], v[12:13], v[34:35], 0x3f81111111122322
	v_fmaak_f64 v[14:15], v[12:13], v[14:15], 0x3fa55555555502a1
	s_delay_alu instid0(VALU_DEP_1) | instskip(NEXT) | instid1(VALU_DEP_1)
	v_fmaak_f64 v[14:15], v[12:13], v[14:15], 0x3fc5555555555511
	v_fmaak_f64 v[14:15], v[12:13], v[14:15], 0x3fe000000000000b
	s_delay_alu instid0(VALU_DEP_1) | instskip(SKIP_1) | instid1(VALU_DEP_2)
	v_fma_f64 v[14:15], v[12:13], v[14:15], 1.0
	v_add_f64_e32 v[4:5], 0x3fe5a84e9035a22a, v[4:5]
	v_fma_f64 v[12:13], v[12:13], v[14:15], 1.0
	v_fma_f64 v[14:15], v[28:29], v[22:23], -v[20:21]
	s_delay_alu instid0(VALU_DEP_3) | instskip(SKIP_1) | instid1(VALU_DEP_4)
	v_add_f64_e64 v[4:5], v[4:5], -v[10:11]
	v_add_f64_e32 v[10:11], v[38:39], v[18:19]
	v_ldexp_f64 v[12:13], v[12:13], v1
	s_delay_alu instid0(VALU_DEP_4) | instskip(NEXT) | instid1(VALU_DEP_4)
	v_add_f64_e32 v[14:15], 0xbfe12166e9d2f61f, v[14:15]
	v_mul_f64_e32 v[4:5], 0.5, v[4:5]
	s_delay_alu instid0(VALU_DEP_4) | instskip(SKIP_2) | instid1(VALU_DEP_2)
	v_cndmask_b32_e32 v1, 0x7ff00000, v11, vcc_lo
	s_and_b32 vcc_lo, s0, vcc_lo
	v_cndmask_b32_e32 v10, 0, v10, vcc_lo
	v_cndmask_b32_e64 v11, 0xfff00000, v1, s0
	v_add_f64_e64 v[14:15], v[14:15], -v[20:21]
	v_mul_f64_e32 v[4:5], v[12:13], v[4:5]
	s_delay_alu instid0(VALU_DEP_1) | instskip(NEXT) | instid1(VALU_DEP_1)
	v_mul_f64_e32 v[4:5], v[10:11], v[4:5]
	v_fma_f64 v[4:5], v[14:15], 0.5, -v[4:5]
	s_delay_alu instid0(VALU_DEP_1)
	v_mul_f64_e32 v[4:5], v[12:13], v[4:5]
                                        ; implicit-def: $vgpr12_vgpr13
.LBB5_15:
	s_and_not1_saveexec_b32 s0, s10
	s_cbranch_execz .LBB5_17
; %bb.16:
	v_div_scale_f64 v[4:5], null, v[12:13], v[12:13], 0x40200000
	v_div_scale_f64 v[16:17], vcc_lo, 0x40200000, v[12:13], 0x40200000
	s_mov_b64 s[10:11], 0x3c5871a5cf8c9ee1
	v_rcp_f64_e32 v[10:11], v[4:5]
	v_nop
	s_delay_alu instid0(TRANS32_DEP_1) | instskip(NEXT) | instid1(VALU_DEP_1)
	v_fma_f64 v[14:15], -v[4:5], v[10:11], 1.0
	v_fmac_f64_e32 v[10:11], v[10:11], v[14:15]
	s_delay_alu instid0(VALU_DEP_1) | instskip(NEXT) | instid1(VALU_DEP_1)
	v_fma_f64 v[14:15], -v[4:5], v[10:11], 1.0
	v_fmac_f64_e32 v[10:11], v[10:11], v[14:15]
	s_delay_alu instid0(VALU_DEP_1) | instskip(NEXT) | instid1(VALU_DEP_1)
	v_mul_f64_e32 v[14:15], v[16:17], v[10:11]
	v_fma_f64 v[4:5], -v[4:5], v[14:15], v[16:17]
	s_delay_alu instid0(VALU_DEP_1) | instskip(SKIP_1) | instid1(VALU_DEP_2)
	v_div_fmas_f64 v[4:5], v[4:5], v[10:11], v[14:15]
	v_cmp_gt_f64_e32 vcc_lo, 0x10000000, v[12:13]
	v_div_fixup_f64 v[4:5], v[4:5], v[12:13], 0x40200000
	v_cndmask_b32_e64 v1, 0, 0x100, vcc_lo
	s_delay_alu instid0(VALU_DEP_1) | instskip(SKIP_1) | instid1(VALU_DEP_4)
	v_ldexp_f64 v[12:13], v[12:13], v1
	v_cndmask_b32_e64 v1, 0, 0xffffff80, vcc_lo
	v_add_f64_e32 v[4:5], -2.0, v[4:5]
	s_delay_alu instid0(VALU_DEP_3) | instskip(SKIP_1) | instid1(VALU_DEP_2)
	v_rsq_f64_e32 v[16:17], v[12:13]
	v_cmp_class_f64_e64 vcc_lo, v[12:13], 0x260
	v_fmaak_f64 v[10:11], s[10:11], v[4:5], 0xbc72fecc93812603
	s_delay_alu instid0(VALU_DEP_1) | instskip(NEXT) | instid1(TRANS32_DEP_1)
	v_fmaak_f64 v[14:15], v[4:5], v[10:11], 0xbc5871a5cf8c9ee1
	v_mul_f64_e32 v[18:19], v[12:13], v[16:17]
	v_mul_f64_e32 v[16:17], 0.5, v[16:17]
	s_delay_alu instid0(VALU_DEP_3) | instskip(NEXT) | instid1(VALU_DEP_2)
	v_add_f64_e32 v[14:15], 0x3c8e092e41a8cdf4, v[14:15]
	v_fma_f64 v[20:21], -v[16:17], v[18:19], 0.5
	s_delay_alu instid0(VALU_DEP_2) | instskip(NEXT) | instid1(VALU_DEP_2)
	v_fma_f64 v[10:11], v[4:5], v[14:15], -v[10:11]
	v_fmac_f64_e32 v[18:19], v[18:19], v[20:21]
	s_delay_alu instid0(VALU_DEP_2) | instskip(SKIP_1) | instid1(VALU_DEP_3)
	v_add_f64_e32 v[10:11], 0xbca82f9474d77641, v[10:11]
	v_fmac_f64_e32 v[16:17], v[16:17], v[20:21]
	v_fma_f64 v[20:21], -v[18:19], v[18:19], v[12:13]
	s_delay_alu instid0(VALU_DEP_3) | instskip(NEXT) | instid1(VALU_DEP_2)
	v_fma_f64 v[14:15], v[4:5], v[10:11], -v[14:15]
	v_fmac_f64_e32 v[18:19], v[20:21], v[16:17]
	s_delay_alu instid0(VALU_DEP_2) | instskip(NEXT) | instid1(VALU_DEP_1)
	v_add_f64_e32 v[14:15], 0x3cc3dbf96b94785b, v[14:15]
	v_fma_f64 v[10:11], v[4:5], v[14:15], -v[10:11]
	s_delay_alu instid0(VALU_DEP_1) | instskip(NEXT) | instid1(VALU_DEP_1)
	v_add_f64_e32 v[10:11], 0xbce0a690ecfadd36, v[10:11]
	v_fma_f64 v[14:15], v[4:5], v[10:11], -v[14:15]
	s_delay_alu instid0(VALU_DEP_1) | instskip(NEXT) | instid1(VALU_DEP_1)
	;; [unrolled: 3-line block ×19, first 2 shown]
	v_add_f64_e32 v[10:11], 0xbfa019f72d4ff71e, v[10:11]
	v_fma_f64 v[4:5], v[4:5], v[10:11], -v[14:15]
	v_fma_f64 v[10:11], -v[18:19], v[18:19], v[12:13]
	s_delay_alu instid0(VALU_DEP_2) | instskip(NEXT) | instid1(VALU_DEP_2)
	v_add_f64_e32 v[4:5], 0x400385bd9f4e6907, v[4:5]
	v_fmac_f64_e32 v[18:19], v[10:11], v[16:17]
	s_delay_alu instid0(VALU_DEP_2) | instskip(NEXT) | instid1(VALU_DEP_2)
	v_add_f64_e64 v[4:5], v[4:5], -v[14:15]
	v_ldexp_f64 v[10:11], v[18:19], v1
	s_delay_alu instid0(VALU_DEP_2) | instskip(NEXT) | instid1(VALU_DEP_2)
	v_mul_f64_e32 v[4:5], 0.5, v[4:5]
	v_dual_cndmask_b32 v11, v11, v13 :: v_dual_cndmask_b32 v10, v10, v12
	s_delay_alu instid0(VALU_DEP_1) | instskip(NEXT) | instid1(VALU_DEP_1)
	v_div_scale_f64 v[12:13], null, v[10:11], v[10:11], v[4:5]
	v_rcp_f64_e32 v[14:15], v[12:13]
	v_nop
	s_delay_alu instid0(TRANS32_DEP_1) | instskip(NEXT) | instid1(VALU_DEP_1)
	v_fma_f64 v[16:17], -v[12:13], v[14:15], 1.0
	v_fmac_f64_e32 v[14:15], v[14:15], v[16:17]
	s_delay_alu instid0(VALU_DEP_1) | instskip(NEXT) | instid1(VALU_DEP_1)
	v_fma_f64 v[16:17], -v[12:13], v[14:15], 1.0
	v_fmac_f64_e32 v[14:15], v[14:15], v[16:17]
	v_div_scale_f64 v[16:17], vcc_lo, v[4:5], v[10:11], v[4:5]
	s_delay_alu instid0(VALU_DEP_1) | instskip(NEXT) | instid1(VALU_DEP_1)
	v_mul_f64_e32 v[18:19], v[16:17], v[14:15]
	v_fma_f64 v[12:13], -v[12:13], v[18:19], v[16:17]
	s_delay_alu instid0(VALU_DEP_1) | instskip(NEXT) | instid1(VALU_DEP_1)
	v_div_fmas_f64 v[12:13], v[12:13], v[14:15], v[18:19]
	v_div_fixup_f64 v[4:5], v[12:13], v[10:11], v[4:5]
.LBB5_17:
	s_or_b32 exec_lo, exec_lo, s0
.LBB5_18:
	s_delay_alu instid0(SALU_CYCLE_1)
	s_or_b32 exec_lo, exec_lo, s9
.LBB5_19:
	s_delay_alu instid0(SALU_CYCLE_1)
	s_or_b32 exec_lo, exec_lo, s1
	v_mov_b64_e32 v[12:13], 0x7ff0000000000000
	v_mov_b64_e32 v[10:11], 0x7ff0000000000000
	s_mov_b32 s1, exec_lo
	s_wait_loadcnt 0x0
	v_cmpx_neq_f64_e32 0, v[6:7]
	s_cbranch_execz .LBB5_27
; %bb.20:
	v_mov_b64_e32 v[10:11], 0x7ff8000000000000
	s_mov_b32 s9, exec_lo
	v_cmpx_ngt_f64_e32 0, v[6:7]
	s_cbranch_execz .LBB5_26
; %bb.21:
	s_mov_b32 s0, exec_lo
	v_cmpx_ge_f64_e32 2.0, v[6:7]
	s_xor_b32 s10, exec_lo, s0
	s_cbranch_execz .LBB5_23
; %bb.22:
	v_fma_f64 v[10:11], v[6:7], 0.5, -2.0
	s_mov_b64 s[12:13], 0xbc545cb72134d0ef
	v_mul_f64_e32 v[18:19], 0.5, v[6:7]
	s_delay_alu instid0(VALU_DEP_2) | instskip(SKIP_1) | instid1(VALU_DEP_2)
	v_fmaak_f64 v[14:15], s[12:13], v[10:11], 0x3c833362977da589
	s_mov_b64 s[12:13], 0x3fe5555555555555
	v_frexp_mant_f64_e32 v[20:21], v[18:19]
	v_cmp_neq_f64_e64 s0, 0, v[18:19]
	s_delay_alu instid0(VALU_DEP_3) | instskip(NEXT) | instid1(VALU_DEP_1)
	v_fmaak_f64 v[16:17], v[10:11], v[14:15], 0x3c545cb72134d0ef
	v_add_f64_e32 v[16:17], 0xbcb184eb721ebbb4, v[16:17]
	s_delay_alu instid0(VALU_DEP_4) | instskip(SKIP_1) | instid1(VALU_DEP_2)
	v_cmp_gt_f64_e32 vcc_lo, s[12:13], v[20:21]
	s_mov_b64 s[12:13], 0x3fc3ab76bf559e2b
	v_fma_f64 v[14:15], v[10:11], v[16:17], -v[14:15]
	v_cndmask_b32_e64 v1, 0, 1, vcc_lo
	s_delay_alu instid0(VALU_DEP_1) | instskip(SKIP_1) | instid1(VALU_DEP_4)
	v_ldexp_f64 v[20:21], v[20:21], v1
	v_frexp_exp_i32_f64_e32 v1, v[18:19]
	v_add_f64_e32 v[14:15], 0x3cdee6d893f65eba, v[14:15]
	s_delay_alu instid0(VALU_DEP_3) | instskip(SKIP_1) | instid1(VALU_DEP_4)
	v_add_f64_e32 v[22:23], 1.0, v[20:21]
	v_add_f64_e32 v[28:29], -1.0, v[20:21]
	v_subrev_co_ci_u32_e64 v1, null, 0, v1, vcc_lo
	v_cmp_neq_f64_e32 vcc_lo, 0x7ff00000, v[18:19]
	v_fma_f64 v[16:17], v[10:11], v[14:15], -v[16:17]
	v_rcp_f64_e32 v[24:25], v[22:23]
	v_add_f64_e32 v[30:31], -1.0, v[22:23]
	s_delay_alu instid0(VALU_DEP_2) | instskip(NEXT) | instid1(VALU_DEP_2)
	v_add_f64_e32 v[16:17], 0xbd0a5022c297fbeb, v[16:17]
	v_add_f64_e64 v[20:21], v[20:21], -v[30:31]
	s_delay_alu instid0(TRANS32_DEP_1) | instskip(NEXT) | instid1(VALU_DEP_3)
	v_fma_f64 v[26:27], -v[22:23], v[24:25], 1.0
	v_fma_f64 v[14:15], v[10:11], v[16:17], -v[14:15]
	s_delay_alu instid0(VALU_DEP_2) | instskip(NEXT) | instid1(VALU_DEP_2)
	v_fmac_f64_e32 v[24:25], v[26:27], v[24:25]
	v_add_f64_e32 v[14:15], 0x3d359b464b262627, v[14:15]
	s_delay_alu instid0(VALU_DEP_2) | instskip(NEXT) | instid1(VALU_DEP_2)
	v_fma_f64 v[26:27], -v[22:23], v[24:25], 1.0
	v_fma_f64 v[16:17], v[10:11], v[14:15], -v[16:17]
	s_delay_alu instid0(VALU_DEP_2) | instskip(NEXT) | instid1(VALU_DEP_2)
	v_fmac_f64_e32 v[24:25], v[26:27], v[24:25]
	v_add_f64_e32 v[16:17], 0xbd61164c62ee1af0, v[16:17]
	s_delay_alu instid0(VALU_DEP_2) | instskip(NEXT) | instid1(VALU_DEP_2)
	v_mul_f64_e32 v[26:27], v[28:29], v[24:25]
	v_fma_f64 v[14:15], v[10:11], v[16:17], -v[14:15]
	s_delay_alu instid0(VALU_DEP_2) | instskip(NEXT) | instid1(VALU_DEP_2)
	v_mul_f64_e32 v[32:33], v[22:23], v[26:27]
	v_add_f64_e32 v[14:15], 0x3d89fe2fe19bd324, v[14:15]
	s_delay_alu instid0(VALU_DEP_2) | instskip(NEXT) | instid1(VALU_DEP_2)
	v_fma_f64 v[22:23], v[26:27], v[22:23], -v[32:33]
	v_fma_f64 v[16:17], v[10:11], v[14:15], -v[16:17]
	s_delay_alu instid0(VALU_DEP_2) | instskip(NEXT) | instid1(VALU_DEP_2)
	v_fmac_f64_e32 v[22:23], v[26:27], v[20:21]
	v_add_f64_e32 v[16:17], 0xbdb2fc957a946abc, v[16:17]
	s_delay_alu instid0(VALU_DEP_2) | instskip(NEXT) | instid1(VALU_DEP_2)
	v_add_f64_e32 v[20:21], v[32:33], v[22:23]
	v_fma_f64 v[14:15], v[10:11], v[16:17], -v[14:15]
	s_delay_alu instid0(VALU_DEP_2) | instskip(NEXT) | instid1(VALU_DEP_2)
	v_add_f64_e64 v[30:31], v[28:29], -v[20:21]
	v_add_f64_e32 v[14:15], 0x3dda98becc743c10, v[14:15]
	v_add_f64_e64 v[32:33], v[20:21], -v[32:33]
	s_delay_alu instid0(VALU_DEP_3) | instskip(NEXT) | instid1(VALU_DEP_3)
	v_add_f64_e64 v[28:29], v[28:29], -v[30:31]
	v_fma_f64 v[16:17], v[10:11], v[14:15], -v[16:17]
	s_delay_alu instid0(VALU_DEP_3) | instskip(SKIP_1) | instid1(VALU_DEP_4)
	v_add_f64_e64 v[22:23], v[32:33], -v[22:23]
	v_cvt_f64_i32_e32 v[32:33], v1
	v_add_f64_e64 v[20:21], v[28:29], -v[20:21]
	s_delay_alu instid0(VALU_DEP_4) | instskip(NEXT) | instid1(VALU_DEP_3)
	v_add_f64_e32 v[16:17], 0xbe01d4fe13ae9556, v[16:17]
	v_mul_f64_e32 v[34:35], 0x3fe62e42fefa39ef, v[32:33]
	s_delay_alu instid0(VALU_DEP_3) | instskip(NEXT) | instid1(VALU_DEP_3)
	v_add_f64_e32 v[20:21], v[22:23], v[20:21]
	v_fma_f64 v[14:15], v[10:11], v[16:17], -v[14:15]
	s_delay_alu instid0(VALU_DEP_2) | instskip(NEXT) | instid1(VALU_DEP_2)
	v_add_f64_e32 v[20:21], v[30:31], v[20:21]
	v_add_f64_e32 v[14:15], 0x3e26d903a454cb34, v[14:15]
	s_delay_alu instid0(VALU_DEP_2) | instskip(NEXT) | instid1(VALU_DEP_2)
	v_mul_f64_e32 v[20:21], v[24:25], v[20:21]
	v_fma_f64 v[16:17], v[10:11], v[14:15], -v[16:17]
	s_delay_alu instid0(VALU_DEP_2) | instskip(NEXT) | instid1(VALU_DEP_2)
	v_add_f64_e32 v[22:23], v[26:27], v[20:21]
	v_add_f64_e32 v[16:17], 0xbe4beaf68c0b30ab, v[16:17]
	s_delay_alu instid0(VALU_DEP_2) | instskip(NEXT) | instid1(VALU_DEP_2)
	v_mul_f64_e32 v[24:25], v[22:23], v[22:23]
	v_fma_f64 v[14:15], v[10:11], v[16:17], -v[14:15]
	s_delay_alu instid0(VALU_DEP_2) | instskip(NEXT) | instid1(VALU_DEP_2)
	v_fmaak_f64 v[28:29], s[12:13], v[24:25], 0x3fc385386b47b09a
	v_add_f64_e32 v[14:15], 0x3e703b769d4d6435, v[14:15]
	v_mul_f64_e32 v[30:31], v[22:23], v[24:25]
	s_mov_b64 s[12:13], 0x3ca3cee1e6a7fd77
	s_delay_alu instid0(VALU_DEP_3) | instskip(NEXT) | instid1(VALU_DEP_1)
	v_fmaak_f64 v[28:29], v[24:25], v[28:29], 0x3fc7474dd7f4df2e
	v_fmaak_f64 v[28:29], v[24:25], v[28:29], 0x3fcc71c016291751
	s_delay_alu instid0(VALU_DEP_1) | instskip(NEXT) | instid1(VALU_DEP_1)
	v_fmaak_f64 v[28:29], v[24:25], v[28:29], 0x3fd249249b27acf1
	v_fmaak_f64 v[28:29], v[24:25], v[28:29], 0x3fd99999998ef7b6
	v_fma_f64 v[16:17], v[10:11], v[14:15], -v[16:17]
	s_delay_alu instid0(VALU_DEP_2) | instskip(SKIP_2) | instid1(VALU_DEP_3)
	v_fmaak_f64 v[24:25], v[24:25], v[28:29], 0x3fe5555555555780
	v_ldexp_f64 v[28:29], v[22:23], 1
	v_add_f64_e64 v[22:23], v[22:23], -v[26:27]
	v_mul_f64_e32 v[24:25], v[30:31], v[24:25]
	v_fma_f64 v[30:31], v[6:7], v[6:7], -2.0
	v_add_f64_e32 v[16:17], 0xbe91ec638f227f8d, v[16:17]
	s_delay_alu instid0(VALU_DEP_4) | instskip(NEXT) | instid1(VALU_DEP_4)
	v_add_f64_e64 v[20:21], v[20:21], -v[22:23]
	v_add_f64_e32 v[26:27], v[28:29], v[24:25]
	s_delay_alu instid0(VALU_DEP_3) | instskip(NEXT) | instid1(VALU_DEP_3)
	v_fma_f64 v[14:15], v[10:11], v[16:17], -v[14:15]
	v_ldexp_f64 v[20:21], v[20:21], 1
	s_delay_alu instid0(VALU_DEP_3) | instskip(SKIP_2) | instid1(VALU_DEP_1)
	v_add_f64_e64 v[22:23], v[26:27], -v[28:29]
	v_fmaak_f64 v[28:29], s[12:13], v[30:31], 0x3d27fb0ac384c2aa
	s_mov_b64 s[12:13], 0x3fe62e42fefa39ef
	v_fmaak_f64 v[36:37], v[30:31], v[28:29], 0xbca3cee1e6a7fd77
	v_add_f64_e32 v[14:15], 0x3eb2bf24978cf4ac, v[14:15]
	s_delay_alu instid0(VALU_DEP_4) | instskip(NEXT) | instid1(VALU_DEP_3)
	v_add_f64_e64 v[22:23], v[24:25], -v[22:23]
	v_add_f64_e32 v[24:25], 0x3da6c25c47512144, v[36:37]
	v_fma_f64 v[36:37], v[32:33], s[12:13], -v[34:35]
	s_mov_b64 s[12:13], 0x3e5ade156a5dcb37
	s_delay_alu instid0(VALU_DEP_4) | instskip(NEXT) | instid1(VALU_DEP_4)
	v_fma_f64 v[16:17], v[10:11], v[14:15], -v[16:17]
	v_add_f64_e32 v[20:21], v[20:21], v[22:23]
	s_delay_alu instid0(VALU_DEP_4) | instskip(NEXT) | instid1(VALU_DEP_4)
	v_fma_f64 v[22:23], v[30:31], v[24:25], -v[28:29]
	v_fmamk_f64 v[28:29], v[32:33], 0x3c7abc9e3b39803f, v[36:37]
	s_delay_alu instid0(VALU_DEP_1) | instskip(SKIP_3) | instid1(VALU_DEP_4)
	v_add_f64_e32 v[36:37], v[34:35], v[28:29]
	v_add_f64_e32 v[16:17], 0xbed2866fcba56427, v[16:17]
	;; [unrolled: 1-line block ×4, first 2 shown]
	v_add_f64_e64 v[34:35], v[36:37], -v[34:35]
	s_delay_alu instid0(VALU_DEP_4) | instskip(NEXT) | instid1(VALU_DEP_4)
	v_fma_f64 v[14:15], v[10:11], v[16:17], -v[14:15]
	v_add_f64_e32 v[38:39], v[36:37], v[32:33]
	s_delay_alu instid0(VALU_DEP_4) | instskip(SKIP_1) | instid1(VALU_DEP_4)
	v_fma_f64 v[24:25], v[30:31], v[22:23], -v[24:25]
	v_add_f64_e64 v[26:27], v[32:33], -v[26:27]
	v_add_f64_e32 v[14:15], 0x3ef13f58be9a2859, v[14:15]
	s_delay_alu instid0(VALU_DEP_4) | instskip(NEXT) | instid1(VALU_DEP_4)
	v_add_f64_e64 v[40:41], v[38:39], -v[36:37]
	v_add_f64_e32 v[24:25], 0x3e9102bce7f95efc, v[24:25]
	s_delay_alu instid0(VALU_DEP_4)
	v_add_f64_e64 v[20:21], v[20:21], -v[26:27]
	v_add_f64_e64 v[26:27], v[28:29], -v[34:35]
	v_mul_f64_e32 v[34:35], 0x3ff71547652b82fe, v[6:7]
	v_fma_f64 v[16:17], v[10:11], v[14:15], -v[16:17]
	v_add_f64_e64 v[42:43], v[38:39], -v[40:41]
	v_fma_f64 v[22:23], v[30:31], v[24:25], -v[22:23]
	v_add_f64_e64 v[32:33], v[32:33], -v[40:41]
	s_delay_alu instid0(VALU_DEP_4) | instskip(NEXT) | instid1(VALU_DEP_4)
	v_add_f64_e32 v[16:17], 0xbf0e2b2659c41d5a, v[16:17]
	v_add_f64_e64 v[28:29], v[36:37], -v[42:43]
	s_delay_alu instid0(VALU_DEP_4) | instskip(SKIP_1) | instid1(VALU_DEP_4)
	v_add_f64_e32 v[22:23], 0x3ef7f900fe8cfca0, v[22:23]
	v_add_f64_e32 v[36:37], v[26:27], v[20:21]
	v_fma_f64 v[14:15], v[10:11], v[16:17], -v[14:15]
	s_delay_alu instid0(VALU_DEP_4) | instskip(NEXT) | instid1(VALU_DEP_4)
	v_add_f64_e32 v[28:29], v[32:33], v[28:29]
	v_fma_f64 v[24:25], v[30:31], v[22:23], -v[24:25]
	v_rndne_f64_e32 v[32:33], v[34:35]
	v_add_f64_e64 v[34:35], v[36:37], -v[26:27]
	v_add_f64_e32 v[14:15], 0x3f28b51b74107cab, v[14:15]
	v_add_f64_e32 v[28:29], v[36:37], v[28:29]
	;; [unrolled: 1-line block ×3, first 2 shown]
	v_fmamk_f64 v[40:41], v[32:33], 0xbfe62e42fefa39ef, v[6:7]
	v_add_f64_e64 v[36:37], v[36:37], -v[34:35]
	v_add_f64_e64 v[20:21], v[20:21], -v[34:35]
	v_cvt_i32_f64_e32 v1, v[32:33]
	s_delay_alu instid0(VALU_DEP_4) | instskip(NEXT) | instid1(VALU_DEP_1)
	v_fmamk_f64 v[40:41], v[32:33], 0xbc7abc9e3b39803f, v[40:41]
	v_fmaak_f64 v[44:45], s[12:13], v[40:41], 0x3e928af3fca7ab0c
	s_delay_alu instid0(VALU_DEP_1) | instskip(SKIP_1) | instid1(VALU_DEP_2)
	v_fmaak_f64 v[44:45], v[40:41], v[44:45], 0x3ec71dee623fde64
	v_fma_f64 v[16:17], v[10:11], v[14:15], -v[16:17]
	v_fmaak_f64 v[44:45], v[40:41], v[44:45], 0x3efa01997c89e6b0
	v_add_f64_e32 v[42:43], v[38:39], v[28:29]
	v_fma_f64 v[22:23], v[30:31], v[24:25], -v[22:23]
	v_add_f64_e64 v[26:27], v[26:27], -v[36:37]
	s_delay_alu instid0(VALU_DEP_4) | instskip(NEXT) | instid1(VALU_DEP_1)
	v_fmaak_f64 v[44:45], v[40:41], v[44:45], 0x3f2a01a014761f6e
	v_fmaak_f64 v[36:37], v[40:41], v[44:45], 0x3f56c16c1852b7b0
	v_add_f64_e32 v[16:17], 0xbf42e2fd1f15eb52, v[16:17]
	v_add_f64_e64 v[34:35], v[42:43], -v[38:39]
	v_add_f64_e32 v[22:23], 0x3fa26bf6554a9085, v[22:23]
	v_add_f64_e32 v[20:21], v[20:21], v[26:27]
	s_delay_alu instid0(VALU_DEP_4) | instskip(NEXT) | instid1(VALU_DEP_4)
	v_fma_f64 v[14:15], v[10:11], v[16:17], -v[14:15]
	v_add_f64_e64 v[26:27], v[28:29], -v[34:35]
	s_delay_alu instid0(VALU_DEP_4) | instskip(NEXT) | instid1(VALU_DEP_3)
	v_fma_f64 v[24:25], v[30:31], v[22:23], -v[24:25]
	v_add_f64_e32 v[14:15], 0x3f5adc758a12100e, v[14:15]
	s_delay_alu instid0(VALU_DEP_3) | instskip(NEXT) | instid1(VALU_DEP_3)
	v_add_f64_e32 v[20:21], v[20:21], v[26:27]
	v_add_f64_e32 v[24:25], 0x3fd608d881213db9, v[24:25]
	s_delay_alu instid0(VALU_DEP_3) | instskip(NEXT) | instid1(VALU_DEP_1)
	v_fma_f64 v[16:17], v[10:11], v[14:15], -v[16:17]
	v_add_f64_e32 v[16:17], 0xbf71b65e201aa849, v[16:17]
	s_delay_alu instid0(VALU_DEP_1) | instskip(NEXT) | instid1(VALU_DEP_1)
	v_fma_f64 v[14:15], v[10:11], v[16:17], -v[14:15]
	v_add_f64_e32 v[14:15], 0x3f859961f3dde3dd, v[14:15]
	s_delay_alu instid0(VALU_DEP_1) | instskip(NEXT) | instid1(VALU_DEP_1)
	;; [unrolled: 3-line block ×6, first 2 shown]
	v_fma_f64 v[16:17], v[10:11], v[14:15], -v[16:17]
	v_add_f64_e32 v[16:17], 0xbfd37febc057cd8d, v[16:17]
	s_delay_alu instid0(VALU_DEP_1) | instskip(SKIP_1) | instid1(VALU_DEP_1)
	v_fma_f64 v[10:11], v[10:11], v[16:17], -v[14:15]
	v_fmaak_f64 v[16:17], v[40:41], v[36:37], 0x3f81111111122322
	v_fmaak_f64 v[16:17], v[40:41], v[16:17], 0x3fa55555555502a1
	s_delay_alu instid0(VALU_DEP_1) | instskip(NEXT) | instid1(VALU_DEP_1)
	v_fmaak_f64 v[16:17], v[40:41], v[16:17], 0x3fc5555555555511
	v_fmaak_f64 v[16:17], v[40:41], v[16:17], 0x3fe000000000000b
	s_delay_alu instid0(VALU_DEP_1) | instskip(SKIP_1) | instid1(VALU_DEP_2)
	v_fma_f64 v[16:17], v[40:41], v[16:17], 1.0
	v_add_f64_e32 v[10:11], 0x3fe5a84e9035a22a, v[10:11]
	v_fma_f64 v[16:17], v[40:41], v[16:17], 1.0
	s_delay_alu instid0(VALU_DEP_2) | instskip(SKIP_2) | instid1(VALU_DEP_4)
	v_add_f64_e64 v[10:11], v[10:11], -v[14:15]
	v_add_f64_e32 v[14:15], v[42:43], v[20:21]
	v_fma_f64 v[20:21], v[30:31], v[24:25], -v[22:23]
	v_ldexp_f64 v[16:17], v[16:17], v1
	s_delay_alu instid0(VALU_DEP_4) | instskip(NEXT) | instid1(VALU_DEP_4)
	v_mul_f64_e32 v[10:11], 0.5, v[10:11]
	v_cndmask_b32_e32 v1, 0x7ff00000, v15, vcc_lo
	s_delay_alu instid0(VALU_DEP_4) | instskip(SKIP_2) | instid1(VALU_DEP_3)
	v_add_f64_e32 v[18:19], 0xbfe12166e9d2f61f, v[20:21]
	s_and_b32 vcc_lo, s0, vcc_lo
	v_cndmask_b32_e32 v14, 0, v14, vcc_lo
	v_cndmask_b32_e64 v15, 0xfff00000, v1, s0
	v_mul_f64_e32 v[10:11], v[16:17], v[10:11]
	s_delay_alu instid0(VALU_DEP_4) | instskip(NEXT) | instid1(VALU_DEP_2)
	v_add_f64_e64 v[18:19], v[18:19], -v[22:23]
	v_mul_f64_e32 v[10:11], v[14:15], v[10:11]
	s_delay_alu instid0(VALU_DEP_1) | instskip(NEXT) | instid1(VALU_DEP_1)
	v_fma_f64 v[10:11], v[18:19], 0.5, -v[10:11]
	v_mul_f64_e32 v[10:11], v[16:17], v[10:11]
.LBB5_23:
	s_and_not1_saveexec_b32 s0, s10
	s_cbranch_execz .LBB5_25
; %bb.24:
	v_div_scale_f64 v[10:11], null, v[6:7], v[6:7], 0x40200000
	v_div_scale_f64 v[18:19], vcc_lo, 0x40200000, v[6:7], 0x40200000
	s_mov_b64 s[10:11], 0x3c5871a5cf8c9ee1
	v_rcp_f64_e32 v[14:15], v[10:11]
	v_nop
	s_delay_alu instid0(TRANS32_DEP_1) | instskip(NEXT) | instid1(VALU_DEP_1)
	v_fma_f64 v[16:17], -v[10:11], v[14:15], 1.0
	v_fmac_f64_e32 v[14:15], v[14:15], v[16:17]
	s_delay_alu instid0(VALU_DEP_1) | instskip(NEXT) | instid1(VALU_DEP_1)
	v_fma_f64 v[16:17], -v[10:11], v[14:15], 1.0
	v_fmac_f64_e32 v[14:15], v[14:15], v[16:17]
	s_delay_alu instid0(VALU_DEP_1) | instskip(NEXT) | instid1(VALU_DEP_1)
	v_mul_f64_e32 v[16:17], v[18:19], v[14:15]
	v_fma_f64 v[10:11], -v[10:11], v[16:17], v[18:19]
	s_delay_alu instid0(VALU_DEP_1) | instskip(SKIP_1) | instid1(VALU_DEP_2)
	v_div_fmas_f64 v[10:11], v[10:11], v[14:15], v[16:17]
	v_cmp_gt_f64_e32 vcc_lo, 0x10000000, v[6:7]
	v_div_fixup_f64 v[10:11], v[10:11], v[6:7], 0x40200000
	v_cndmask_b32_e64 v1, 0, 0x100, vcc_lo
	s_delay_alu instid0(VALU_DEP_1) | instskip(SKIP_1) | instid1(VALU_DEP_4)
	v_ldexp_f64 v[6:7], v[6:7], v1
	v_cndmask_b32_e64 v1, 0, 0xffffff80, vcc_lo
	v_add_f64_e32 v[10:11], -2.0, v[10:11]
	s_delay_alu instid0(VALU_DEP_3) | instskip(SKIP_1) | instid1(VALU_DEP_2)
	v_rsq_f64_e32 v[18:19], v[6:7]
	v_cmp_class_f64_e64 vcc_lo, v[6:7], 0x260
	v_fmaak_f64 v[14:15], s[10:11], v[10:11], 0xbc72fecc93812603
	s_delay_alu instid0(VALU_DEP_1) | instskip(NEXT) | instid1(TRANS32_DEP_1)
	v_fmaak_f64 v[16:17], v[10:11], v[14:15], 0xbc5871a5cf8c9ee1
	v_mul_f64_e32 v[20:21], v[6:7], v[18:19]
	v_mul_f64_e32 v[18:19], 0.5, v[18:19]
	s_delay_alu instid0(VALU_DEP_3) | instskip(NEXT) | instid1(VALU_DEP_2)
	v_add_f64_e32 v[16:17], 0x3c8e092e41a8cdf4, v[16:17]
	v_fma_f64 v[22:23], -v[18:19], v[20:21], 0.5
	s_delay_alu instid0(VALU_DEP_2) | instskip(NEXT) | instid1(VALU_DEP_2)
	v_fma_f64 v[14:15], v[10:11], v[16:17], -v[14:15]
	v_fmac_f64_e32 v[20:21], v[20:21], v[22:23]
	s_delay_alu instid0(VALU_DEP_2) | instskip(SKIP_1) | instid1(VALU_DEP_3)
	v_add_f64_e32 v[14:15], 0xbca82f9474d77641, v[14:15]
	v_fmac_f64_e32 v[18:19], v[18:19], v[22:23]
	v_fma_f64 v[22:23], -v[20:21], v[20:21], v[6:7]
	s_delay_alu instid0(VALU_DEP_3) | instskip(NEXT) | instid1(VALU_DEP_2)
	v_fma_f64 v[16:17], v[10:11], v[14:15], -v[16:17]
	v_fmac_f64_e32 v[20:21], v[22:23], v[18:19]
	s_delay_alu instid0(VALU_DEP_2) | instskip(NEXT) | instid1(VALU_DEP_1)
	v_add_f64_e32 v[16:17], 0x3cc3dbf96b94785b, v[16:17]
	v_fma_f64 v[14:15], v[10:11], v[16:17], -v[14:15]
	s_delay_alu instid0(VALU_DEP_1) | instskip(NEXT) | instid1(VALU_DEP_1)
	v_add_f64_e32 v[14:15], 0xbce0a690ecfadd36, v[14:15]
	v_fma_f64 v[16:17], v[10:11], v[14:15], -v[16:17]
	s_delay_alu instid0(VALU_DEP_1) | instskip(NEXT) | instid1(VALU_DEP_1)
	;; [unrolled: 3-line block ×19, first 2 shown]
	v_add_f64_e32 v[14:15], 0xbfa019f72d4ff71e, v[14:15]
	v_fma_f64 v[10:11], v[10:11], v[14:15], -v[16:17]
	v_fma_f64 v[14:15], -v[20:21], v[20:21], v[6:7]
	s_delay_alu instid0(VALU_DEP_2) | instskip(NEXT) | instid1(VALU_DEP_2)
	v_add_f64_e32 v[10:11], 0x400385bd9f4e6907, v[10:11]
	v_fmac_f64_e32 v[20:21], v[14:15], v[18:19]
	s_delay_alu instid0(VALU_DEP_2) | instskip(NEXT) | instid1(VALU_DEP_2)
	v_add_f64_e64 v[10:11], v[10:11], -v[16:17]
	v_ldexp_f64 v[14:15], v[20:21], v1
	s_delay_alu instid0(VALU_DEP_2) | instskip(NEXT) | instid1(VALU_DEP_2)
	v_mul_f64_e32 v[10:11], 0.5, v[10:11]
	v_dual_cndmask_b32 v7, v15, v7 :: v_dual_cndmask_b32 v6, v14, v6
	s_delay_alu instid0(VALU_DEP_1) | instskip(NEXT) | instid1(VALU_DEP_1)
	v_div_scale_f64 v[14:15], null, v[6:7], v[6:7], v[10:11]
	v_rcp_f64_e32 v[16:17], v[14:15]
	v_nop
	s_delay_alu instid0(TRANS32_DEP_1) | instskip(NEXT) | instid1(VALU_DEP_1)
	v_fma_f64 v[18:19], -v[14:15], v[16:17], 1.0
	v_fmac_f64_e32 v[16:17], v[16:17], v[18:19]
	s_delay_alu instid0(VALU_DEP_1) | instskip(NEXT) | instid1(VALU_DEP_1)
	v_fma_f64 v[18:19], -v[14:15], v[16:17], 1.0
	v_fmac_f64_e32 v[16:17], v[16:17], v[18:19]
	v_div_scale_f64 v[18:19], vcc_lo, v[10:11], v[6:7], v[10:11]
	s_delay_alu instid0(VALU_DEP_1) | instskip(NEXT) | instid1(VALU_DEP_1)
	v_mul_f64_e32 v[20:21], v[18:19], v[16:17]
	v_fma_f64 v[14:15], -v[14:15], v[20:21], v[18:19]
	s_delay_alu instid0(VALU_DEP_1) | instskip(NEXT) | instid1(VALU_DEP_1)
	v_div_fmas_f64 v[14:15], v[14:15], v[16:17], v[20:21]
	v_div_fixup_f64 v[10:11], v[14:15], v[6:7], v[10:11]
.LBB5_25:
	s_or_b32 exec_lo, exec_lo, s0
.LBB5_26:
	s_delay_alu instid0(SALU_CYCLE_1)
	s_or_b32 exec_lo, exec_lo, s9
.LBB5_27:
	s_delay_alu instid0(SALU_CYCLE_1) | instskip(NEXT) | instid1(SALU_CYCLE_1)
	s_or_b32 exec_lo, exec_lo, s1
	s_mov_b32 s1, exec_lo
	v_cmpx_neq_f64_e32 0, v[8:9]
	s_cbranch_execz .LBB5_35
; %bb.28:
	v_mov_b64_e32 v[12:13], 0x7ff8000000000000
	s_mov_b32 s9, exec_lo
	v_cmpx_ngt_f64_e32 0, v[8:9]
	s_cbranch_execz .LBB5_34
; %bb.29:
	s_mov_b32 s0, exec_lo
	v_cmpx_ge_f64_e32 2.0, v[8:9]
	s_xor_b32 s10, exec_lo, s0
	s_cbranch_execz .LBB5_31
; %bb.30:
	v_fma_f64 v[6:7], v[8:9], 0.5, -2.0
	s_mov_b64 s[12:13], 0xbc545cb72134d0ef
	v_mul_f64_e32 v[16:17], 0.5, v[8:9]
	s_delay_alu instid0(VALU_DEP_2) | instskip(SKIP_1) | instid1(VALU_DEP_2)
	v_fmaak_f64 v[12:13], s[12:13], v[6:7], 0x3c833362977da589
	s_mov_b64 s[12:13], 0x3fe5555555555555
	v_frexp_mant_f64_e32 v[18:19], v[16:17]
	v_cmp_neq_f64_e64 s0, 0, v[16:17]
	s_delay_alu instid0(VALU_DEP_3) | instskip(NEXT) | instid1(VALU_DEP_1)
	v_fmaak_f64 v[14:15], v[6:7], v[12:13], 0x3c545cb72134d0ef
	v_add_f64_e32 v[14:15], 0xbcb184eb721ebbb4, v[14:15]
	s_delay_alu instid0(VALU_DEP_4) | instskip(SKIP_1) | instid1(VALU_DEP_2)
	v_cmp_gt_f64_e32 vcc_lo, s[12:13], v[18:19]
	s_mov_b64 s[12:13], 0x3fc3ab76bf559e2b
	v_fma_f64 v[12:13], v[6:7], v[14:15], -v[12:13]
	v_cndmask_b32_e64 v1, 0, 1, vcc_lo
	s_delay_alu instid0(VALU_DEP_1) | instskip(SKIP_1) | instid1(VALU_DEP_4)
	v_ldexp_f64 v[18:19], v[18:19], v1
	v_frexp_exp_i32_f64_e32 v1, v[16:17]
	v_add_f64_e32 v[12:13], 0x3cdee6d893f65eba, v[12:13]
	s_delay_alu instid0(VALU_DEP_3) | instskip(SKIP_1) | instid1(VALU_DEP_4)
	v_add_f64_e32 v[20:21], 1.0, v[18:19]
	v_add_f64_e32 v[26:27], -1.0, v[18:19]
	v_subrev_co_ci_u32_e64 v1, null, 0, v1, vcc_lo
	v_cmp_neq_f64_e32 vcc_lo, 0x7ff00000, v[16:17]
	v_fma_f64 v[14:15], v[6:7], v[12:13], -v[14:15]
	v_rcp_f64_e32 v[22:23], v[20:21]
	v_add_f64_e32 v[28:29], -1.0, v[20:21]
	s_delay_alu instid0(VALU_DEP_2) | instskip(NEXT) | instid1(VALU_DEP_2)
	v_add_f64_e32 v[14:15], 0xbd0a5022c297fbeb, v[14:15]
	v_add_f64_e64 v[18:19], v[18:19], -v[28:29]
	s_delay_alu instid0(TRANS32_DEP_1) | instskip(NEXT) | instid1(VALU_DEP_3)
	v_fma_f64 v[24:25], -v[20:21], v[22:23], 1.0
	v_fma_f64 v[12:13], v[6:7], v[14:15], -v[12:13]
	s_delay_alu instid0(VALU_DEP_2) | instskip(NEXT) | instid1(VALU_DEP_2)
	v_fmac_f64_e32 v[22:23], v[24:25], v[22:23]
	v_add_f64_e32 v[12:13], 0x3d359b464b262627, v[12:13]
	s_delay_alu instid0(VALU_DEP_2) | instskip(NEXT) | instid1(VALU_DEP_2)
	v_fma_f64 v[24:25], -v[20:21], v[22:23], 1.0
	v_fma_f64 v[14:15], v[6:7], v[12:13], -v[14:15]
	s_delay_alu instid0(VALU_DEP_2) | instskip(NEXT) | instid1(VALU_DEP_2)
	v_fmac_f64_e32 v[22:23], v[24:25], v[22:23]
	v_add_f64_e32 v[14:15], 0xbd61164c62ee1af0, v[14:15]
	s_delay_alu instid0(VALU_DEP_2) | instskip(NEXT) | instid1(VALU_DEP_2)
	v_mul_f64_e32 v[24:25], v[26:27], v[22:23]
	v_fma_f64 v[12:13], v[6:7], v[14:15], -v[12:13]
	s_delay_alu instid0(VALU_DEP_2) | instskip(NEXT) | instid1(VALU_DEP_2)
	v_mul_f64_e32 v[30:31], v[20:21], v[24:25]
	v_add_f64_e32 v[12:13], 0x3d89fe2fe19bd324, v[12:13]
	s_delay_alu instid0(VALU_DEP_2) | instskip(NEXT) | instid1(VALU_DEP_2)
	v_fma_f64 v[20:21], v[24:25], v[20:21], -v[30:31]
	v_fma_f64 v[14:15], v[6:7], v[12:13], -v[14:15]
	s_delay_alu instid0(VALU_DEP_2) | instskip(NEXT) | instid1(VALU_DEP_2)
	v_fmac_f64_e32 v[20:21], v[24:25], v[18:19]
	v_add_f64_e32 v[14:15], 0xbdb2fc957a946abc, v[14:15]
	s_delay_alu instid0(VALU_DEP_2) | instskip(NEXT) | instid1(VALU_DEP_2)
	v_add_f64_e32 v[18:19], v[30:31], v[20:21]
	v_fma_f64 v[12:13], v[6:7], v[14:15], -v[12:13]
	s_delay_alu instid0(VALU_DEP_2) | instskip(NEXT) | instid1(VALU_DEP_2)
	v_add_f64_e64 v[28:29], v[26:27], -v[18:19]
	v_add_f64_e32 v[12:13], 0x3dda98becc743c10, v[12:13]
	v_add_f64_e64 v[30:31], v[18:19], -v[30:31]
	s_delay_alu instid0(VALU_DEP_3) | instskip(NEXT) | instid1(VALU_DEP_3)
	v_add_f64_e64 v[26:27], v[26:27], -v[28:29]
	v_fma_f64 v[14:15], v[6:7], v[12:13], -v[14:15]
	s_delay_alu instid0(VALU_DEP_3) | instskip(SKIP_1) | instid1(VALU_DEP_4)
	v_add_f64_e64 v[20:21], v[30:31], -v[20:21]
	v_cvt_f64_i32_e32 v[30:31], v1
	v_add_f64_e64 v[18:19], v[26:27], -v[18:19]
	s_delay_alu instid0(VALU_DEP_4) | instskip(NEXT) | instid1(VALU_DEP_3)
	v_add_f64_e32 v[14:15], 0xbe01d4fe13ae9556, v[14:15]
	v_mul_f64_e32 v[32:33], 0x3fe62e42fefa39ef, v[30:31]
	s_delay_alu instid0(VALU_DEP_3) | instskip(NEXT) | instid1(VALU_DEP_3)
	v_add_f64_e32 v[18:19], v[20:21], v[18:19]
	v_fma_f64 v[12:13], v[6:7], v[14:15], -v[12:13]
	s_delay_alu instid0(VALU_DEP_2) | instskip(NEXT) | instid1(VALU_DEP_2)
	v_add_f64_e32 v[18:19], v[28:29], v[18:19]
	v_add_f64_e32 v[12:13], 0x3e26d903a454cb34, v[12:13]
	s_delay_alu instid0(VALU_DEP_2) | instskip(NEXT) | instid1(VALU_DEP_2)
	v_mul_f64_e32 v[18:19], v[22:23], v[18:19]
	v_fma_f64 v[14:15], v[6:7], v[12:13], -v[14:15]
	s_delay_alu instid0(VALU_DEP_2) | instskip(NEXT) | instid1(VALU_DEP_2)
	v_add_f64_e32 v[20:21], v[24:25], v[18:19]
	v_add_f64_e32 v[14:15], 0xbe4beaf68c0b30ab, v[14:15]
	s_delay_alu instid0(VALU_DEP_2) | instskip(NEXT) | instid1(VALU_DEP_2)
	v_mul_f64_e32 v[22:23], v[20:21], v[20:21]
	v_fma_f64 v[12:13], v[6:7], v[14:15], -v[12:13]
	s_delay_alu instid0(VALU_DEP_2) | instskip(NEXT) | instid1(VALU_DEP_2)
	v_fmaak_f64 v[26:27], s[12:13], v[22:23], 0x3fc385386b47b09a
	v_add_f64_e32 v[12:13], 0x3e703b769d4d6435, v[12:13]
	v_mul_f64_e32 v[28:29], v[20:21], v[22:23]
	s_mov_b64 s[12:13], 0x3ca3cee1e6a7fd77
	s_delay_alu instid0(VALU_DEP_3) | instskip(NEXT) | instid1(VALU_DEP_1)
	v_fmaak_f64 v[26:27], v[22:23], v[26:27], 0x3fc7474dd7f4df2e
	v_fmaak_f64 v[26:27], v[22:23], v[26:27], 0x3fcc71c016291751
	s_delay_alu instid0(VALU_DEP_1) | instskip(NEXT) | instid1(VALU_DEP_1)
	v_fmaak_f64 v[26:27], v[22:23], v[26:27], 0x3fd249249b27acf1
	v_fmaak_f64 v[26:27], v[22:23], v[26:27], 0x3fd99999998ef7b6
	v_fma_f64 v[14:15], v[6:7], v[12:13], -v[14:15]
	s_delay_alu instid0(VALU_DEP_2) | instskip(SKIP_2) | instid1(VALU_DEP_3)
	v_fmaak_f64 v[22:23], v[22:23], v[26:27], 0x3fe5555555555780
	v_ldexp_f64 v[26:27], v[20:21], 1
	v_add_f64_e64 v[20:21], v[20:21], -v[24:25]
	v_mul_f64_e32 v[22:23], v[28:29], v[22:23]
	v_fma_f64 v[28:29], v[8:9], v[8:9], -2.0
	v_add_f64_e32 v[14:15], 0xbe91ec638f227f8d, v[14:15]
	s_delay_alu instid0(VALU_DEP_4) | instskip(NEXT) | instid1(VALU_DEP_4)
	v_add_f64_e64 v[18:19], v[18:19], -v[20:21]
	v_add_f64_e32 v[24:25], v[26:27], v[22:23]
	s_delay_alu instid0(VALU_DEP_3) | instskip(NEXT) | instid1(VALU_DEP_3)
	v_fma_f64 v[12:13], v[6:7], v[14:15], -v[12:13]
	v_ldexp_f64 v[18:19], v[18:19], 1
	s_delay_alu instid0(VALU_DEP_3) | instskip(SKIP_2) | instid1(VALU_DEP_1)
	v_add_f64_e64 v[20:21], v[24:25], -v[26:27]
	v_fmaak_f64 v[26:27], s[12:13], v[28:29], 0x3d27fb0ac384c2aa
	s_mov_b64 s[12:13], 0x3fe62e42fefa39ef
	v_fmaak_f64 v[34:35], v[28:29], v[26:27], 0xbca3cee1e6a7fd77
	v_add_f64_e32 v[12:13], 0x3eb2bf24978cf4ac, v[12:13]
	s_delay_alu instid0(VALU_DEP_4) | instskip(NEXT) | instid1(VALU_DEP_3)
	v_add_f64_e64 v[20:21], v[22:23], -v[20:21]
	v_add_f64_e32 v[22:23], 0x3da6c25c47512144, v[34:35]
	v_fma_f64 v[34:35], v[30:31], s[12:13], -v[32:33]
	s_mov_b64 s[12:13], 0x3e5ade156a5dcb37
	s_delay_alu instid0(VALU_DEP_4) | instskip(NEXT) | instid1(VALU_DEP_4)
	v_fma_f64 v[14:15], v[6:7], v[12:13], -v[14:15]
	v_add_f64_e32 v[18:19], v[18:19], v[20:21]
	s_delay_alu instid0(VALU_DEP_4) | instskip(NEXT) | instid1(VALU_DEP_4)
	v_fma_f64 v[20:21], v[28:29], v[22:23], -v[26:27]
	v_fmamk_f64 v[26:27], v[30:31], 0x3c7abc9e3b39803f, v[34:35]
	s_delay_alu instid0(VALU_DEP_1) | instskip(SKIP_3) | instid1(VALU_DEP_4)
	v_add_f64_e32 v[34:35], v[32:33], v[26:27]
	v_add_f64_e32 v[14:15], 0xbed2866fcba56427, v[14:15]
	;; [unrolled: 1-line block ×4, first 2 shown]
	v_add_f64_e64 v[32:33], v[34:35], -v[32:33]
	s_delay_alu instid0(VALU_DEP_4) | instskip(NEXT) | instid1(VALU_DEP_4)
	v_fma_f64 v[12:13], v[6:7], v[14:15], -v[12:13]
	v_add_f64_e32 v[36:37], v[34:35], v[30:31]
	s_delay_alu instid0(VALU_DEP_4) | instskip(SKIP_1) | instid1(VALU_DEP_4)
	v_fma_f64 v[22:23], v[28:29], v[20:21], -v[22:23]
	v_add_f64_e64 v[24:25], v[30:31], -v[24:25]
	v_add_f64_e32 v[12:13], 0x3ef13f58be9a2859, v[12:13]
	s_delay_alu instid0(VALU_DEP_4) | instskip(NEXT) | instid1(VALU_DEP_4)
	v_add_f64_e64 v[38:39], v[36:37], -v[34:35]
	v_add_f64_e32 v[22:23], 0x3e9102bce7f95efc, v[22:23]
	s_delay_alu instid0(VALU_DEP_4)
	v_add_f64_e64 v[18:19], v[18:19], -v[24:25]
	v_add_f64_e64 v[24:25], v[26:27], -v[32:33]
	v_mul_f64_e32 v[32:33], 0x3ff71547652b82fe, v[8:9]
	v_fma_f64 v[14:15], v[6:7], v[12:13], -v[14:15]
	v_add_f64_e64 v[40:41], v[36:37], -v[38:39]
	v_fma_f64 v[20:21], v[28:29], v[22:23], -v[20:21]
	v_add_f64_e64 v[30:31], v[30:31], -v[38:39]
	s_delay_alu instid0(VALU_DEP_4) | instskip(NEXT) | instid1(VALU_DEP_4)
	v_add_f64_e32 v[14:15], 0xbf0e2b2659c41d5a, v[14:15]
	v_add_f64_e64 v[26:27], v[34:35], -v[40:41]
	s_delay_alu instid0(VALU_DEP_4) | instskip(SKIP_1) | instid1(VALU_DEP_4)
	v_add_f64_e32 v[20:21], 0x3ef7f900fe8cfca0, v[20:21]
	v_add_f64_e32 v[34:35], v[24:25], v[18:19]
	v_fma_f64 v[12:13], v[6:7], v[14:15], -v[12:13]
	s_delay_alu instid0(VALU_DEP_4) | instskip(NEXT) | instid1(VALU_DEP_4)
	v_add_f64_e32 v[26:27], v[30:31], v[26:27]
	v_fma_f64 v[22:23], v[28:29], v[20:21], -v[22:23]
	v_rndne_f64_e32 v[30:31], v[32:33]
	v_add_f64_e64 v[32:33], v[34:35], -v[24:25]
	v_add_f64_e32 v[12:13], 0x3f28b51b74107cab, v[12:13]
	v_add_f64_e32 v[26:27], v[34:35], v[26:27]
	;; [unrolled: 1-line block ×3, first 2 shown]
	v_fmamk_f64 v[8:9], v[30:31], 0xbfe62e42fefa39ef, v[8:9]
	v_add_f64_e64 v[34:35], v[34:35], -v[32:33]
	v_add_f64_e64 v[18:19], v[18:19], -v[32:33]
	v_cvt_i32_f64_e32 v1, v[30:31]
	s_delay_alu instid0(VALU_DEP_4) | instskip(NEXT) | instid1(VALU_DEP_1)
	v_fmamk_f64 v[8:9], v[30:31], 0xbc7abc9e3b39803f, v[8:9]
	v_fmaak_f64 v[40:41], s[12:13], v[8:9], 0x3e928af3fca7ab0c
	s_delay_alu instid0(VALU_DEP_1) | instskip(SKIP_1) | instid1(VALU_DEP_2)
	v_fmaak_f64 v[40:41], v[8:9], v[40:41], 0x3ec71dee623fde64
	v_fma_f64 v[14:15], v[6:7], v[12:13], -v[14:15]
	v_fmaak_f64 v[40:41], v[8:9], v[40:41], 0x3efa01997c89e6b0
	v_add_f64_e32 v[38:39], v[36:37], v[26:27]
	v_fma_f64 v[20:21], v[28:29], v[22:23], -v[20:21]
	v_add_f64_e64 v[24:25], v[24:25], -v[34:35]
	s_delay_alu instid0(VALU_DEP_4) | instskip(NEXT) | instid1(VALU_DEP_1)
	v_fmaak_f64 v[40:41], v[8:9], v[40:41], 0x3f2a01a014761f6e
	v_fmaak_f64 v[34:35], v[8:9], v[40:41], 0x3f56c16c1852b7b0
	v_add_f64_e32 v[14:15], 0xbf42e2fd1f15eb52, v[14:15]
	v_add_f64_e64 v[32:33], v[38:39], -v[36:37]
	v_add_f64_e32 v[20:21], 0x3fa26bf6554a9085, v[20:21]
	v_add_f64_e32 v[18:19], v[18:19], v[24:25]
	s_delay_alu instid0(VALU_DEP_4) | instskip(NEXT) | instid1(VALU_DEP_4)
	v_fma_f64 v[12:13], v[6:7], v[14:15], -v[12:13]
	v_add_f64_e64 v[24:25], v[26:27], -v[32:33]
	s_delay_alu instid0(VALU_DEP_4) | instskip(NEXT) | instid1(VALU_DEP_3)
	v_fma_f64 v[22:23], v[28:29], v[20:21], -v[22:23]
	v_add_f64_e32 v[12:13], 0x3f5adc758a12100e, v[12:13]
	s_delay_alu instid0(VALU_DEP_3) | instskip(NEXT) | instid1(VALU_DEP_3)
	v_add_f64_e32 v[18:19], v[18:19], v[24:25]
	v_add_f64_e32 v[22:23], 0x3fd608d881213db9, v[22:23]
	s_delay_alu instid0(VALU_DEP_3) | instskip(NEXT) | instid1(VALU_DEP_1)
	v_fma_f64 v[14:15], v[6:7], v[12:13], -v[14:15]
	v_add_f64_e32 v[14:15], 0xbf71b65e201aa849, v[14:15]
	s_delay_alu instid0(VALU_DEP_1) | instskip(NEXT) | instid1(VALU_DEP_1)
	v_fma_f64 v[12:13], v[6:7], v[14:15], -v[12:13]
	v_add_f64_e32 v[12:13], 0x3f859961f3dde3dd, v[12:13]
	s_delay_alu instid0(VALU_DEP_1) | instskip(NEXT) | instid1(VALU_DEP_1)
	v_fma_f64 v[14:15], v[6:7], v[12:13], -v[14:15]
	v_add_f64_e32 v[14:15], 0xbf984e9ef121b6f0, v[14:15]
	s_delay_alu instid0(VALU_DEP_1) | instskip(NEXT) | instid1(VALU_DEP_1)
	v_fma_f64 v[12:13], v[6:7], v[14:15], -v[12:13]
	v_add_f64_e32 v[12:13], 0x3fa93e8acea8a32d, v[12:13]
	s_delay_alu instid0(VALU_DEP_1) | instskip(NEXT) | instid1(VALU_DEP_1)
	v_fma_f64 v[14:15], v[6:7], v[12:13], -v[14:15]
	v_add_f64_e32 v[14:15], 0xbfb84b70342d06ea, v[14:15]
	s_delay_alu instid0(VALU_DEP_1) | instskip(NEXT) | instid1(VALU_DEP_1)
	v_fma_f64 v[12:13], v[6:7], v[14:15], -v[12:13]
	v_add_f64_e32 v[12:13], 0x3fc5f7ac77ac88c0, v[12:13]
	s_delay_alu instid0(VALU_DEP_1) | instskip(NEXT) | instid1(VALU_DEP_1)
	v_fma_f64 v[14:15], v[6:7], v[12:13], -v[14:15]
	v_add_f64_e32 v[14:15], 0xbfd37febc057cd8d, v[14:15]
	s_delay_alu instid0(VALU_DEP_1) | instskip(SKIP_1) | instid1(VALU_DEP_1)
	v_fma_f64 v[6:7], v[6:7], v[14:15], -v[12:13]
	v_fmaak_f64 v[14:15], v[8:9], v[34:35], 0x3f81111111122322
	v_fmaak_f64 v[14:15], v[8:9], v[14:15], 0x3fa55555555502a1
	s_delay_alu instid0(VALU_DEP_1) | instskip(NEXT) | instid1(VALU_DEP_1)
	v_fmaak_f64 v[14:15], v[8:9], v[14:15], 0x3fc5555555555511
	v_fmaak_f64 v[14:15], v[8:9], v[14:15], 0x3fe000000000000b
	s_delay_alu instid0(VALU_DEP_1) | instskip(SKIP_1) | instid1(VALU_DEP_2)
	v_fma_f64 v[14:15], v[8:9], v[14:15], 1.0
	v_add_f64_e32 v[6:7], 0x3fe5a84e9035a22a, v[6:7]
	v_fma_f64 v[8:9], v[8:9], v[14:15], 1.0
	v_fma_f64 v[14:15], v[28:29], v[22:23], -v[20:21]
	s_delay_alu instid0(VALU_DEP_3) | instskip(SKIP_1) | instid1(VALU_DEP_4)
	v_add_f64_e64 v[6:7], v[6:7], -v[12:13]
	v_add_f64_e32 v[12:13], v[38:39], v[18:19]
	v_ldexp_f64 v[8:9], v[8:9], v1
	s_delay_alu instid0(VALU_DEP_4) | instskip(NEXT) | instid1(VALU_DEP_4)
	v_add_f64_e32 v[14:15], 0xbfe12166e9d2f61f, v[14:15]
	v_mul_f64_e32 v[6:7], 0.5, v[6:7]
	s_delay_alu instid0(VALU_DEP_4) | instskip(SKIP_2) | instid1(VALU_DEP_2)
	v_cndmask_b32_e32 v1, 0x7ff00000, v13, vcc_lo
	s_and_b32 vcc_lo, s0, vcc_lo
	v_cndmask_b32_e32 v12, 0, v12, vcc_lo
	v_cndmask_b32_e64 v13, 0xfff00000, v1, s0
	v_add_f64_e64 v[14:15], v[14:15], -v[20:21]
	v_mul_f64_e32 v[6:7], v[8:9], v[6:7]
	s_delay_alu instid0(VALU_DEP_1) | instskip(NEXT) | instid1(VALU_DEP_1)
	v_mul_f64_e32 v[6:7], v[12:13], v[6:7]
	v_fma_f64 v[6:7], v[14:15], 0.5, -v[6:7]
	s_delay_alu instid0(VALU_DEP_1)
	v_mul_f64_e32 v[12:13], v[8:9], v[6:7]
                                        ; implicit-def: $vgpr8_vgpr9
.LBB5_31:
	s_and_not1_saveexec_b32 s0, s10
	s_cbranch_execz .LBB5_33
; %bb.32:
	v_div_scale_f64 v[6:7], null, v[8:9], v[8:9], 0x40200000
	v_div_scale_f64 v[16:17], vcc_lo, 0x40200000, v[8:9], 0x40200000
	s_mov_b64 s[10:11], 0x3c5871a5cf8c9ee1
	v_rcp_f64_e32 v[12:13], v[6:7]
	v_nop
	s_delay_alu instid0(TRANS32_DEP_1) | instskip(NEXT) | instid1(VALU_DEP_1)
	v_fma_f64 v[14:15], -v[6:7], v[12:13], 1.0
	v_fmac_f64_e32 v[12:13], v[12:13], v[14:15]
	s_delay_alu instid0(VALU_DEP_1) | instskip(NEXT) | instid1(VALU_DEP_1)
	v_fma_f64 v[14:15], -v[6:7], v[12:13], 1.0
	v_fmac_f64_e32 v[12:13], v[12:13], v[14:15]
	s_delay_alu instid0(VALU_DEP_1) | instskip(NEXT) | instid1(VALU_DEP_1)
	v_mul_f64_e32 v[14:15], v[16:17], v[12:13]
	v_fma_f64 v[6:7], -v[6:7], v[14:15], v[16:17]
	s_delay_alu instid0(VALU_DEP_1) | instskip(SKIP_1) | instid1(VALU_DEP_2)
	v_div_fmas_f64 v[6:7], v[6:7], v[12:13], v[14:15]
	v_cmp_gt_f64_e32 vcc_lo, 0x10000000, v[8:9]
	v_div_fixup_f64 v[6:7], v[6:7], v[8:9], 0x40200000
	v_cndmask_b32_e64 v1, 0, 0x100, vcc_lo
	s_delay_alu instid0(VALU_DEP_1) | instskip(SKIP_1) | instid1(VALU_DEP_2)
	v_ldexp_f64 v[8:9], v[8:9], v1
	v_cndmask_b32_e64 v1, 0, 0xffffff80, vcc_lo
	v_cmp_class_f64_e64 vcc_lo, v[8:9], 0x260
	v_add_f64_e32 v[6:7], -2.0, v[6:7]
	v_rsq_f64_e32 v[16:17], v[8:9]
	s_delay_alu instid0(VALU_DEP_1) | instskip(NEXT) | instid1(TRANS32_DEP_1)
	v_fmaak_f64 v[12:13], s[10:11], v[6:7], 0xbc72fecc93812603
	v_mul_f64_e32 v[18:19], v[8:9], v[16:17]
	s_delay_alu instid0(VALU_DEP_2) | instskip(SKIP_1) | instid1(VALU_DEP_2)
	v_fmaak_f64 v[14:15], v[6:7], v[12:13], 0xbc5871a5cf8c9ee1
	v_mul_f64_e32 v[16:17], 0.5, v[16:17]
	v_add_f64_e32 v[14:15], 0x3c8e092e41a8cdf4, v[14:15]
	s_delay_alu instid0(VALU_DEP_2) | instskip(NEXT) | instid1(VALU_DEP_2)
	v_fma_f64 v[20:21], -v[16:17], v[18:19], 0.5
	v_fma_f64 v[12:13], v[6:7], v[14:15], -v[12:13]
	s_delay_alu instid0(VALU_DEP_2) | instskip(SKIP_1) | instid1(VALU_DEP_3)
	v_fmac_f64_e32 v[18:19], v[18:19], v[20:21]
	v_fmac_f64_e32 v[16:17], v[16:17], v[20:21]
	v_add_f64_e32 v[12:13], 0xbca82f9474d77641, v[12:13]
	s_delay_alu instid0(VALU_DEP_3) | instskip(NEXT) | instid1(VALU_DEP_2)
	v_fma_f64 v[20:21], -v[18:19], v[18:19], v[8:9]
	v_fma_f64 v[14:15], v[6:7], v[12:13], -v[14:15]
	s_delay_alu instid0(VALU_DEP_2) | instskip(NEXT) | instid1(VALU_DEP_2)
	v_fmac_f64_e32 v[18:19], v[20:21], v[16:17]
	v_add_f64_e32 v[14:15], 0x3cc3dbf96b94785b, v[14:15]
	s_delay_alu instid0(VALU_DEP_1) | instskip(NEXT) | instid1(VALU_DEP_1)
	v_fma_f64 v[12:13], v[6:7], v[14:15], -v[12:13]
	v_add_f64_e32 v[12:13], 0xbce0a690ecfadd36, v[12:13]
	s_delay_alu instid0(VALU_DEP_1) | instskip(NEXT) | instid1(VALU_DEP_1)
	v_fma_f64 v[14:15], v[6:7], v[12:13], -v[14:15]
	;; [unrolled: 3-line block ×19, first 2 shown]
	v_add_f64_e32 v[12:13], 0xbfa019f72d4ff71e, v[12:13]
	s_delay_alu instid0(VALU_DEP_1) | instskip(SKIP_1) | instid1(VALU_DEP_2)
	v_fma_f64 v[6:7], v[6:7], v[12:13], -v[14:15]
	v_fma_f64 v[12:13], -v[18:19], v[18:19], v[8:9]
	v_add_f64_e32 v[6:7], 0x400385bd9f4e6907, v[6:7]
	s_delay_alu instid0(VALU_DEP_2) | instskip(NEXT) | instid1(VALU_DEP_2)
	v_fmac_f64_e32 v[18:19], v[12:13], v[16:17]
	v_add_f64_e64 v[6:7], v[6:7], -v[14:15]
	s_delay_alu instid0(VALU_DEP_2) | instskip(NEXT) | instid1(VALU_DEP_1)
	v_ldexp_f64 v[12:13], v[18:19], v1
	v_dual_mul_f64 v[6:7], 0.5, v[6:7] :: v_dual_cndmask_b32 v9, v13, v9, vcc_lo
	s_delay_alu instid0(VALU_DEP_2) | instskip(NEXT) | instid1(VALU_DEP_1)
	v_cndmask_b32_e32 v8, v12, v8, vcc_lo
	v_div_scale_f64 v[12:13], null, v[8:9], v[8:9], v[6:7]
	s_delay_alu instid0(VALU_DEP_1) | instskip(SKIP_1) | instid1(TRANS32_DEP_1)
	v_rcp_f64_e32 v[14:15], v[12:13]
	v_nop
	v_fma_f64 v[16:17], -v[12:13], v[14:15], 1.0
	s_delay_alu instid0(VALU_DEP_1) | instskip(NEXT) | instid1(VALU_DEP_1)
	v_fmac_f64_e32 v[14:15], v[14:15], v[16:17]
	v_fma_f64 v[16:17], -v[12:13], v[14:15], 1.0
	s_delay_alu instid0(VALU_DEP_1) | instskip(SKIP_1) | instid1(VALU_DEP_1)
	v_fmac_f64_e32 v[14:15], v[14:15], v[16:17]
	v_div_scale_f64 v[16:17], vcc_lo, v[6:7], v[8:9], v[6:7]
	v_mul_f64_e32 v[18:19], v[16:17], v[14:15]
	s_delay_alu instid0(VALU_DEP_1) | instskip(NEXT) | instid1(VALU_DEP_1)
	v_fma_f64 v[12:13], -v[12:13], v[18:19], v[16:17]
	v_div_fmas_f64 v[12:13], v[12:13], v[14:15], v[18:19]
	s_delay_alu instid0(VALU_DEP_1)
	v_div_fixup_f64 v[12:13], v[12:13], v[8:9], v[6:7]
.LBB5_33:
	s_or_b32 exec_lo, exec_lo, s0
.LBB5_34:
	s_delay_alu instid0(SALU_CYCLE_1)
	s_or_b32 exec_lo, exec_lo, s9
.LBB5_35:
	s_delay_alu instid0(SALU_CYCLE_1)
	s_or_b32 exec_lo, exec_lo, s1
	s_add_nc_u64 s[2:3], s[4:5], s[2:3]
	s_clause 0x1
	global_store_b128 v0, v[2:5], s[2:3] scale_offset
	global_store_b128 v0, v[10:13], s[2:3] offset:4096 scale_offset
	s_branch .LBB5_2
.LBB5_36:
	s_wait_xcnt 0x0
	v_dual_mov_b32 v31, v0 :: v_dual_mov_b32 v0, s4
	v_dual_mov_b32 v1, s5 :: v_dual_mov_b32 v2, s6
	;; [unrolled: 1-line block ×3, first 2 shown]
	s_get_pc_i64 s[0:1]
	s_add_nc_u64 s[0:1], s[0:1], _ZN2at6native25elementwise_kernel_helperILb0EZZZNS0_12_GLOBAL__N_137scaled_modified_bessel_k0_kernel_cudaERNS_18TensorIteratorBaseEENKUlvE_clEvENKUlvE_clEvEUldE_NS0_6memory8policies11unroll_baseILi256ESt5arrayIPcLm2EE23TrivialOffsetCalculatorILi1EjESF_NS8_15LoadWithoutCastENS8_16StoreWithoutCastELi4ELi1EEEEEvT0_T1_@rel64+4
	s_delay_alu instid0(SALU_CYCLE_1)
	s_swap_pc_i64 s[30:31], s[0:1]
	s_endpgm
	.section	.rodata,"a",@progbits
	.p2align	6, 0x0
	.amdhsa_kernel _ZN2at6native29vectorized_elementwise_kernelILi2EZZZNS0_12_GLOBAL__N_137scaled_modified_bessel_k0_kernel_cudaERNS_18TensorIteratorBaseEENKUlvE_clEvENKUlvE_clEvEUldE_St5arrayIPcLm2EEEEviT0_T1_
		.amdhsa_group_segment_fixed_size 0
		.amdhsa_private_segment_fixed_size 0
		.amdhsa_kernarg_size 24
		.amdhsa_user_sgpr_count 2
		.amdhsa_user_sgpr_dispatch_ptr 0
		.amdhsa_user_sgpr_queue_ptr 0
		.amdhsa_user_sgpr_kernarg_segment_ptr 1
		.amdhsa_user_sgpr_dispatch_id 0
		.amdhsa_user_sgpr_kernarg_preload_length 0
		.amdhsa_user_sgpr_kernarg_preload_offset 0
		.amdhsa_user_sgpr_private_segment_size 0
		.amdhsa_wavefront_size32 1
		.amdhsa_uses_dynamic_stack 0
		.amdhsa_enable_private_segment 0
		.amdhsa_system_sgpr_workgroup_id_x 1
		.amdhsa_system_sgpr_workgroup_id_y 0
		.amdhsa_system_sgpr_workgroup_id_z 0
		.amdhsa_system_sgpr_workgroup_info 0
		.amdhsa_system_vgpr_workitem_id 0
		.amdhsa_next_free_vgpr 68
		.amdhsa_next_free_sgpr 33
		.amdhsa_named_barrier_count 0
		.amdhsa_reserve_vcc 1
		.amdhsa_float_round_mode_32 0
		.amdhsa_float_round_mode_16_64 0
		.amdhsa_float_denorm_mode_32 3
		.amdhsa_float_denorm_mode_16_64 3
		.amdhsa_fp16_overflow 0
		.amdhsa_memory_ordered 1
		.amdhsa_forward_progress 1
		.amdhsa_inst_pref_size 93
		.amdhsa_round_robin_scheduling 0
		.amdhsa_exception_fp_ieee_invalid_op 0
		.amdhsa_exception_fp_denorm_src 0
		.amdhsa_exception_fp_ieee_div_zero 0
		.amdhsa_exception_fp_ieee_overflow 0
		.amdhsa_exception_fp_ieee_underflow 0
		.amdhsa_exception_fp_ieee_inexact 0
		.amdhsa_exception_int_div_zero 0
	.end_amdhsa_kernel
	.section	.text._ZN2at6native29vectorized_elementwise_kernelILi2EZZZNS0_12_GLOBAL__N_137scaled_modified_bessel_k0_kernel_cudaERNS_18TensorIteratorBaseEENKUlvE_clEvENKUlvE_clEvEUldE_St5arrayIPcLm2EEEEviT0_T1_,"axG",@progbits,_ZN2at6native29vectorized_elementwise_kernelILi2EZZZNS0_12_GLOBAL__N_137scaled_modified_bessel_k0_kernel_cudaERNS_18TensorIteratorBaseEENKUlvE_clEvENKUlvE_clEvEUldE_St5arrayIPcLm2EEEEviT0_T1_,comdat
.Lfunc_end5:
	.size	_ZN2at6native29vectorized_elementwise_kernelILi2EZZZNS0_12_GLOBAL__N_137scaled_modified_bessel_k0_kernel_cudaERNS_18TensorIteratorBaseEENKUlvE_clEvENKUlvE_clEvEUldE_St5arrayIPcLm2EEEEviT0_T1_, .Lfunc_end5-_ZN2at6native29vectorized_elementwise_kernelILi2EZZZNS0_12_GLOBAL__N_137scaled_modified_bessel_k0_kernel_cudaERNS_18TensorIteratorBaseEENKUlvE_clEvENKUlvE_clEvEUldE_St5arrayIPcLm2EEEEviT0_T1_
                                        ; -- End function
	.set _ZN2at6native29vectorized_elementwise_kernelILi2EZZZNS0_12_GLOBAL__N_137scaled_modified_bessel_k0_kernel_cudaERNS_18TensorIteratorBaseEENKUlvE_clEvENKUlvE_clEvEUldE_St5arrayIPcLm2EEEEviT0_T1_.num_vgpr, max(46, .L_ZN2at6native25elementwise_kernel_helperILb0EZZZNS0_12_GLOBAL__N_137scaled_modified_bessel_k0_kernel_cudaERNS_18TensorIteratorBaseEENKUlvE_clEvENKUlvE_clEvEUldE_NS0_6memory8policies11unroll_baseILi256ESt5arrayIPcLm2EE23TrivialOffsetCalculatorILi1EjESF_NS8_15LoadWithoutCastENS8_16StoreWithoutCastELi4ELi1EEEEEvT0_T1_.num_vgpr)
	.set _ZN2at6native29vectorized_elementwise_kernelILi2EZZZNS0_12_GLOBAL__N_137scaled_modified_bessel_k0_kernel_cudaERNS_18TensorIteratorBaseEENKUlvE_clEvENKUlvE_clEvEUldE_St5arrayIPcLm2EEEEviT0_T1_.num_agpr, max(0, .L_ZN2at6native25elementwise_kernel_helperILb0EZZZNS0_12_GLOBAL__N_137scaled_modified_bessel_k0_kernel_cudaERNS_18TensorIteratorBaseEENKUlvE_clEvENKUlvE_clEvEUldE_NS0_6memory8policies11unroll_baseILi256ESt5arrayIPcLm2EE23TrivialOffsetCalculatorILi1EjESF_NS8_15LoadWithoutCastENS8_16StoreWithoutCastELi4ELi1EEEEEvT0_T1_.num_agpr)
	.set _ZN2at6native29vectorized_elementwise_kernelILi2EZZZNS0_12_GLOBAL__N_137scaled_modified_bessel_k0_kernel_cudaERNS_18TensorIteratorBaseEENKUlvE_clEvENKUlvE_clEvEUldE_St5arrayIPcLm2EEEEviT0_T1_.numbered_sgpr, max(33, .L_ZN2at6native25elementwise_kernel_helperILb0EZZZNS0_12_GLOBAL__N_137scaled_modified_bessel_k0_kernel_cudaERNS_18TensorIteratorBaseEENKUlvE_clEvENKUlvE_clEvEUldE_NS0_6memory8policies11unroll_baseILi256ESt5arrayIPcLm2EE23TrivialOffsetCalculatorILi1EjESF_NS8_15LoadWithoutCastENS8_16StoreWithoutCastELi4ELi1EEEEEvT0_T1_.numbered_sgpr)
	.set _ZN2at6native29vectorized_elementwise_kernelILi2EZZZNS0_12_GLOBAL__N_137scaled_modified_bessel_k0_kernel_cudaERNS_18TensorIteratorBaseEENKUlvE_clEvENKUlvE_clEvEUldE_St5arrayIPcLm2EEEEviT0_T1_.num_named_barrier, max(0, .L_ZN2at6native25elementwise_kernel_helperILb0EZZZNS0_12_GLOBAL__N_137scaled_modified_bessel_k0_kernel_cudaERNS_18TensorIteratorBaseEENKUlvE_clEvENKUlvE_clEvEUldE_NS0_6memory8policies11unroll_baseILi256ESt5arrayIPcLm2EE23TrivialOffsetCalculatorILi1EjESF_NS8_15LoadWithoutCastENS8_16StoreWithoutCastELi4ELi1EEEEEvT0_T1_.num_named_barrier)
	.set _ZN2at6native29vectorized_elementwise_kernelILi2EZZZNS0_12_GLOBAL__N_137scaled_modified_bessel_k0_kernel_cudaERNS_18TensorIteratorBaseEENKUlvE_clEvENKUlvE_clEvEUldE_St5arrayIPcLm2EEEEviT0_T1_.private_seg_size, 0+max(.L_ZN2at6native25elementwise_kernel_helperILb0EZZZNS0_12_GLOBAL__N_137scaled_modified_bessel_k0_kernel_cudaERNS_18TensorIteratorBaseEENKUlvE_clEvENKUlvE_clEvEUldE_NS0_6memory8policies11unroll_baseILi256ESt5arrayIPcLm2EE23TrivialOffsetCalculatorILi1EjESF_NS8_15LoadWithoutCastENS8_16StoreWithoutCastELi4ELi1EEEEEvT0_T1_.private_seg_size)
	.set _ZN2at6native29vectorized_elementwise_kernelILi2EZZZNS0_12_GLOBAL__N_137scaled_modified_bessel_k0_kernel_cudaERNS_18TensorIteratorBaseEENKUlvE_clEvENKUlvE_clEvEUldE_St5arrayIPcLm2EEEEviT0_T1_.uses_vcc, or(1, .L_ZN2at6native25elementwise_kernel_helperILb0EZZZNS0_12_GLOBAL__N_137scaled_modified_bessel_k0_kernel_cudaERNS_18TensorIteratorBaseEENKUlvE_clEvENKUlvE_clEvEUldE_NS0_6memory8policies11unroll_baseILi256ESt5arrayIPcLm2EE23TrivialOffsetCalculatorILi1EjESF_NS8_15LoadWithoutCastENS8_16StoreWithoutCastELi4ELi1EEEEEvT0_T1_.uses_vcc)
	.set _ZN2at6native29vectorized_elementwise_kernelILi2EZZZNS0_12_GLOBAL__N_137scaled_modified_bessel_k0_kernel_cudaERNS_18TensorIteratorBaseEENKUlvE_clEvENKUlvE_clEvEUldE_St5arrayIPcLm2EEEEviT0_T1_.uses_flat_scratch, or(0, .L_ZN2at6native25elementwise_kernel_helperILb0EZZZNS0_12_GLOBAL__N_137scaled_modified_bessel_k0_kernel_cudaERNS_18TensorIteratorBaseEENKUlvE_clEvENKUlvE_clEvEUldE_NS0_6memory8policies11unroll_baseILi256ESt5arrayIPcLm2EE23TrivialOffsetCalculatorILi1EjESF_NS8_15LoadWithoutCastENS8_16StoreWithoutCastELi4ELi1EEEEEvT0_T1_.uses_flat_scratch)
	.set _ZN2at6native29vectorized_elementwise_kernelILi2EZZZNS0_12_GLOBAL__N_137scaled_modified_bessel_k0_kernel_cudaERNS_18TensorIteratorBaseEENKUlvE_clEvENKUlvE_clEvEUldE_St5arrayIPcLm2EEEEviT0_T1_.has_dyn_sized_stack, or(0, .L_ZN2at6native25elementwise_kernel_helperILb0EZZZNS0_12_GLOBAL__N_137scaled_modified_bessel_k0_kernel_cudaERNS_18TensorIteratorBaseEENKUlvE_clEvENKUlvE_clEvEUldE_NS0_6memory8policies11unroll_baseILi256ESt5arrayIPcLm2EE23TrivialOffsetCalculatorILi1EjESF_NS8_15LoadWithoutCastENS8_16StoreWithoutCastELi4ELi1EEEEEvT0_T1_.has_dyn_sized_stack)
	.set _ZN2at6native29vectorized_elementwise_kernelILi2EZZZNS0_12_GLOBAL__N_137scaled_modified_bessel_k0_kernel_cudaERNS_18TensorIteratorBaseEENKUlvE_clEvENKUlvE_clEvEUldE_St5arrayIPcLm2EEEEviT0_T1_.has_recursion, or(0, .L_ZN2at6native25elementwise_kernel_helperILb0EZZZNS0_12_GLOBAL__N_137scaled_modified_bessel_k0_kernel_cudaERNS_18TensorIteratorBaseEENKUlvE_clEvENKUlvE_clEvEUldE_NS0_6memory8policies11unroll_baseILi256ESt5arrayIPcLm2EE23TrivialOffsetCalculatorILi1EjESF_NS8_15LoadWithoutCastENS8_16StoreWithoutCastELi4ELi1EEEEEvT0_T1_.has_recursion)
	.set _ZN2at6native29vectorized_elementwise_kernelILi2EZZZNS0_12_GLOBAL__N_137scaled_modified_bessel_k0_kernel_cudaERNS_18TensorIteratorBaseEENKUlvE_clEvENKUlvE_clEvEUldE_St5arrayIPcLm2EEEEviT0_T1_.has_indirect_call, or(0, .L_ZN2at6native25elementwise_kernel_helperILb0EZZZNS0_12_GLOBAL__N_137scaled_modified_bessel_k0_kernel_cudaERNS_18TensorIteratorBaseEENKUlvE_clEvENKUlvE_clEvEUldE_NS0_6memory8policies11unroll_baseILi256ESt5arrayIPcLm2EE23TrivialOffsetCalculatorILi1EjESF_NS8_15LoadWithoutCastENS8_16StoreWithoutCastELi4ELi1EEEEEvT0_T1_.has_indirect_call)
	.section	.AMDGPU.csdata,"",@progbits
; Kernel info:
; codeLenInByte = 11796
; TotalNumSgprs: 35
; NumVgprs: 68
; ScratchSize: 0
; MemoryBound: 0
; FloatMode: 240
; IeeeMode: 1
; LDSByteSize: 0 bytes/workgroup (compile time only)
; SGPRBlocks: 0
; VGPRBlocks: 4
; NumSGPRsForWavesPerEU: 35
; NumVGPRsForWavesPerEU: 68
; NamedBarCnt: 0
; Occupancy: 12
; WaveLimiterHint : 1
; COMPUTE_PGM_RSRC2:SCRATCH_EN: 0
; COMPUTE_PGM_RSRC2:USER_SGPR: 2
; COMPUTE_PGM_RSRC2:TRAP_HANDLER: 0
; COMPUTE_PGM_RSRC2:TGID_X_EN: 1
; COMPUTE_PGM_RSRC2:TGID_Y_EN: 0
; COMPUTE_PGM_RSRC2:TGID_Z_EN: 0
; COMPUTE_PGM_RSRC2:TIDIG_COMP_CNT: 0
	.section	.text._ZN2at6native27unrolled_elementwise_kernelIZZZNS0_12_GLOBAL__N_137scaled_modified_bessel_k0_kernel_cudaERNS_18TensorIteratorBaseEENKUlvE_clEvENKUlvE_clEvEUldE_St5arrayIPcLm2EELi4E23TrivialOffsetCalculatorILi1EjESC_NS0_6memory15LoadWithoutCastENSD_16StoreWithoutCastEEEviT_T0_T2_T3_T4_T5_,"axG",@progbits,_ZN2at6native27unrolled_elementwise_kernelIZZZNS0_12_GLOBAL__N_137scaled_modified_bessel_k0_kernel_cudaERNS_18TensorIteratorBaseEENKUlvE_clEvENKUlvE_clEvEUldE_St5arrayIPcLm2EELi4E23TrivialOffsetCalculatorILi1EjESC_NS0_6memory15LoadWithoutCastENSD_16StoreWithoutCastEEEviT_T0_T2_T3_T4_T5_,comdat
	.globl	_ZN2at6native27unrolled_elementwise_kernelIZZZNS0_12_GLOBAL__N_137scaled_modified_bessel_k0_kernel_cudaERNS_18TensorIteratorBaseEENKUlvE_clEvENKUlvE_clEvEUldE_St5arrayIPcLm2EELi4E23TrivialOffsetCalculatorILi1EjESC_NS0_6memory15LoadWithoutCastENSD_16StoreWithoutCastEEEviT_T0_T2_T3_T4_T5_ ; -- Begin function _ZN2at6native27unrolled_elementwise_kernelIZZZNS0_12_GLOBAL__N_137scaled_modified_bessel_k0_kernel_cudaERNS_18TensorIteratorBaseEENKUlvE_clEvENKUlvE_clEvEUldE_St5arrayIPcLm2EELi4E23TrivialOffsetCalculatorILi1EjESC_NS0_6memory15LoadWithoutCastENSD_16StoreWithoutCastEEEviT_T0_T2_T3_T4_T5_
	.p2align	8
	.type	_ZN2at6native27unrolled_elementwise_kernelIZZZNS0_12_GLOBAL__N_137scaled_modified_bessel_k0_kernel_cudaERNS_18TensorIteratorBaseEENKUlvE_clEvENKUlvE_clEvEUldE_St5arrayIPcLm2EELi4E23TrivialOffsetCalculatorILi1EjESC_NS0_6memory15LoadWithoutCastENSD_16StoreWithoutCastEEEviT_T0_T2_T3_T4_T5_,@function
_ZN2at6native27unrolled_elementwise_kernelIZZZNS0_12_GLOBAL__N_137scaled_modified_bessel_k0_kernel_cudaERNS_18TensorIteratorBaseEENKUlvE_clEvENKUlvE_clEvEUldE_St5arrayIPcLm2EELi4E23TrivialOffsetCalculatorILi1EjESC_NS0_6memory15LoadWithoutCastENSD_16StoreWithoutCastEEEviT_T0_T2_T3_T4_T5_: ; @_ZN2at6native27unrolled_elementwise_kernelIZZZNS0_12_GLOBAL__N_137scaled_modified_bessel_k0_kernel_cudaERNS_18TensorIteratorBaseEENKUlvE_clEvENKUlvE_clEvEUldE_St5arrayIPcLm2EELi4E23TrivialOffsetCalculatorILi1EjESC_NS0_6memory15LoadWithoutCastENSD_16StoreWithoutCastEEEviT_T0_T2_T3_T4_T5_
; %bb.0:
	s_clause 0x1
	s_load_b32 s2, s[0:1], 0x0
	s_load_b128 s[4:7], s[0:1], 0x8
	s_wait_xcnt 0x0
	s_bfe_u32 s0, ttmp6, 0x4000c
	s_and_b32 s1, ttmp6, 15
	s_add_co_i32 s0, s0, 1
	s_getreg_b32 s3, hwreg(HW_REG_IB_STS2, 6, 4)
	s_mul_i32 s0, ttmp9, s0
	v_mov_b32_e32 v31, v0
	s_add_co_i32 s1, s1, s0
	s_cmp_eq_u32 s3, 0
	s_mov_b32 s32, 0
	s_cselect_b32 s3, ttmp9, s1
	s_get_pc_i64 s[0:1]
	s_add_nc_u64 s[0:1], s[0:1], _ZN2at6native25elementwise_kernel_helperILb0EZZZNS0_12_GLOBAL__N_137scaled_modified_bessel_k0_kernel_cudaERNS_18TensorIteratorBaseEENKUlvE_clEvENKUlvE_clEvEUldE_NS0_6memory8policies11unroll_baseILi256ESt5arrayIPcLm2EE23TrivialOffsetCalculatorILi1EjESF_NS8_15LoadWithoutCastENS8_16StoreWithoutCastELi4ELi1EEEEEvT0_T1_@rel64+4
	s_lshl_b32 s3, s3, 10
	s_wait_kmcnt 0x0
	s_sub_co_i32 s2, s2, s3
	v_dual_mov_b32 v0, s4 :: v_dual_mov_b32 v1, s5
	v_dual_mov_b32 v2, s6 :: v_dual_mov_b32 v3, s7
	v_mov_b32_e32 v4, s2
	s_swap_pc_i64 s[30:31], s[0:1]
	s_endpgm
	.section	.rodata,"a",@progbits
	.p2align	6, 0x0
	.amdhsa_kernel _ZN2at6native27unrolled_elementwise_kernelIZZZNS0_12_GLOBAL__N_137scaled_modified_bessel_k0_kernel_cudaERNS_18TensorIteratorBaseEENKUlvE_clEvENKUlvE_clEvEUldE_St5arrayIPcLm2EELi4E23TrivialOffsetCalculatorILi1EjESC_NS0_6memory15LoadWithoutCastENSD_16StoreWithoutCastEEEviT_T0_T2_T3_T4_T5_
		.amdhsa_group_segment_fixed_size 0
		.amdhsa_private_segment_fixed_size 0
		.amdhsa_kernarg_size 28
		.amdhsa_user_sgpr_count 2
		.amdhsa_user_sgpr_dispatch_ptr 0
		.amdhsa_user_sgpr_queue_ptr 0
		.amdhsa_user_sgpr_kernarg_segment_ptr 1
		.amdhsa_user_sgpr_dispatch_id 0
		.amdhsa_user_sgpr_kernarg_preload_length 0
		.amdhsa_user_sgpr_kernarg_preload_offset 0
		.amdhsa_user_sgpr_private_segment_size 0
		.amdhsa_wavefront_size32 1
		.amdhsa_uses_dynamic_stack 0
		.amdhsa_enable_private_segment 0
		.amdhsa_system_sgpr_workgroup_id_x 1
		.amdhsa_system_sgpr_workgroup_id_y 0
		.amdhsa_system_sgpr_workgroup_id_z 0
		.amdhsa_system_sgpr_workgroup_info 0
		.amdhsa_system_vgpr_workitem_id 0
		.amdhsa_next_free_vgpr 68
		.amdhsa_next_free_sgpr 33
		.amdhsa_named_barrier_count 0
		.amdhsa_reserve_vcc 1
		.amdhsa_float_round_mode_32 0
		.amdhsa_float_round_mode_16_64 0
		.amdhsa_float_denorm_mode_32 3
		.amdhsa_float_denorm_mode_16_64 3
		.amdhsa_fp16_overflow 0
		.amdhsa_memory_ordered 1
		.amdhsa_forward_progress 1
		.amdhsa_inst_pref_size 1
		.amdhsa_round_robin_scheduling 0
		.amdhsa_exception_fp_ieee_invalid_op 0
		.amdhsa_exception_fp_denorm_src 0
		.amdhsa_exception_fp_ieee_div_zero 0
		.amdhsa_exception_fp_ieee_overflow 0
		.amdhsa_exception_fp_ieee_underflow 0
		.amdhsa_exception_fp_ieee_inexact 0
		.amdhsa_exception_int_div_zero 0
	.end_amdhsa_kernel
	.section	.text._ZN2at6native27unrolled_elementwise_kernelIZZZNS0_12_GLOBAL__N_137scaled_modified_bessel_k0_kernel_cudaERNS_18TensorIteratorBaseEENKUlvE_clEvENKUlvE_clEvEUldE_St5arrayIPcLm2EELi4E23TrivialOffsetCalculatorILi1EjESC_NS0_6memory15LoadWithoutCastENSD_16StoreWithoutCastEEEviT_T0_T2_T3_T4_T5_,"axG",@progbits,_ZN2at6native27unrolled_elementwise_kernelIZZZNS0_12_GLOBAL__N_137scaled_modified_bessel_k0_kernel_cudaERNS_18TensorIteratorBaseEENKUlvE_clEvENKUlvE_clEvEUldE_St5arrayIPcLm2EELi4E23TrivialOffsetCalculatorILi1EjESC_NS0_6memory15LoadWithoutCastENSD_16StoreWithoutCastEEEviT_T0_T2_T3_T4_T5_,comdat
.Lfunc_end6:
	.size	_ZN2at6native27unrolled_elementwise_kernelIZZZNS0_12_GLOBAL__N_137scaled_modified_bessel_k0_kernel_cudaERNS_18TensorIteratorBaseEENKUlvE_clEvENKUlvE_clEvEUldE_St5arrayIPcLm2EELi4E23TrivialOffsetCalculatorILi1EjESC_NS0_6memory15LoadWithoutCastENSD_16StoreWithoutCastEEEviT_T0_T2_T3_T4_T5_, .Lfunc_end6-_ZN2at6native27unrolled_elementwise_kernelIZZZNS0_12_GLOBAL__N_137scaled_modified_bessel_k0_kernel_cudaERNS_18TensorIteratorBaseEENKUlvE_clEvENKUlvE_clEvEUldE_St5arrayIPcLm2EELi4E23TrivialOffsetCalculatorILi1EjESC_NS0_6memory15LoadWithoutCastENSD_16StoreWithoutCastEEEviT_T0_T2_T3_T4_T5_
                                        ; -- End function
	.set _ZN2at6native27unrolled_elementwise_kernelIZZZNS0_12_GLOBAL__N_137scaled_modified_bessel_k0_kernel_cudaERNS_18TensorIteratorBaseEENKUlvE_clEvENKUlvE_clEvEUldE_St5arrayIPcLm2EELi4E23TrivialOffsetCalculatorILi1EjESC_NS0_6memory15LoadWithoutCastENSD_16StoreWithoutCastEEEviT_T0_T2_T3_T4_T5_.num_vgpr, max(32, .L_ZN2at6native25elementwise_kernel_helperILb0EZZZNS0_12_GLOBAL__N_137scaled_modified_bessel_k0_kernel_cudaERNS_18TensorIteratorBaseEENKUlvE_clEvENKUlvE_clEvEUldE_NS0_6memory8policies11unroll_baseILi256ESt5arrayIPcLm2EE23TrivialOffsetCalculatorILi1EjESF_NS8_15LoadWithoutCastENS8_16StoreWithoutCastELi4ELi1EEEEEvT0_T1_.num_vgpr)
	.set _ZN2at6native27unrolled_elementwise_kernelIZZZNS0_12_GLOBAL__N_137scaled_modified_bessel_k0_kernel_cudaERNS_18TensorIteratorBaseEENKUlvE_clEvENKUlvE_clEvEUldE_St5arrayIPcLm2EELi4E23TrivialOffsetCalculatorILi1EjESC_NS0_6memory15LoadWithoutCastENSD_16StoreWithoutCastEEEviT_T0_T2_T3_T4_T5_.num_agpr, max(0, .L_ZN2at6native25elementwise_kernel_helperILb0EZZZNS0_12_GLOBAL__N_137scaled_modified_bessel_k0_kernel_cudaERNS_18TensorIteratorBaseEENKUlvE_clEvENKUlvE_clEvEUldE_NS0_6memory8policies11unroll_baseILi256ESt5arrayIPcLm2EE23TrivialOffsetCalculatorILi1EjESF_NS8_15LoadWithoutCastENS8_16StoreWithoutCastELi4ELi1EEEEEvT0_T1_.num_agpr)
	.set _ZN2at6native27unrolled_elementwise_kernelIZZZNS0_12_GLOBAL__N_137scaled_modified_bessel_k0_kernel_cudaERNS_18TensorIteratorBaseEENKUlvE_clEvENKUlvE_clEvEUldE_St5arrayIPcLm2EELi4E23TrivialOffsetCalculatorILi1EjESC_NS0_6memory15LoadWithoutCastENSD_16StoreWithoutCastEEEviT_T0_T2_T3_T4_T5_.numbered_sgpr, max(33, .L_ZN2at6native25elementwise_kernel_helperILb0EZZZNS0_12_GLOBAL__N_137scaled_modified_bessel_k0_kernel_cudaERNS_18TensorIteratorBaseEENKUlvE_clEvENKUlvE_clEvEUldE_NS0_6memory8policies11unroll_baseILi256ESt5arrayIPcLm2EE23TrivialOffsetCalculatorILi1EjESF_NS8_15LoadWithoutCastENS8_16StoreWithoutCastELi4ELi1EEEEEvT0_T1_.numbered_sgpr)
	.set _ZN2at6native27unrolled_elementwise_kernelIZZZNS0_12_GLOBAL__N_137scaled_modified_bessel_k0_kernel_cudaERNS_18TensorIteratorBaseEENKUlvE_clEvENKUlvE_clEvEUldE_St5arrayIPcLm2EELi4E23TrivialOffsetCalculatorILi1EjESC_NS0_6memory15LoadWithoutCastENSD_16StoreWithoutCastEEEviT_T0_T2_T3_T4_T5_.num_named_barrier, max(0, .L_ZN2at6native25elementwise_kernel_helperILb0EZZZNS0_12_GLOBAL__N_137scaled_modified_bessel_k0_kernel_cudaERNS_18TensorIteratorBaseEENKUlvE_clEvENKUlvE_clEvEUldE_NS0_6memory8policies11unroll_baseILi256ESt5arrayIPcLm2EE23TrivialOffsetCalculatorILi1EjESF_NS8_15LoadWithoutCastENS8_16StoreWithoutCastELi4ELi1EEEEEvT0_T1_.num_named_barrier)
	.set _ZN2at6native27unrolled_elementwise_kernelIZZZNS0_12_GLOBAL__N_137scaled_modified_bessel_k0_kernel_cudaERNS_18TensorIteratorBaseEENKUlvE_clEvENKUlvE_clEvEUldE_St5arrayIPcLm2EELi4E23TrivialOffsetCalculatorILi1EjESC_NS0_6memory15LoadWithoutCastENSD_16StoreWithoutCastEEEviT_T0_T2_T3_T4_T5_.private_seg_size, 0+max(.L_ZN2at6native25elementwise_kernel_helperILb0EZZZNS0_12_GLOBAL__N_137scaled_modified_bessel_k0_kernel_cudaERNS_18TensorIteratorBaseEENKUlvE_clEvENKUlvE_clEvEUldE_NS0_6memory8policies11unroll_baseILi256ESt5arrayIPcLm2EE23TrivialOffsetCalculatorILi1EjESF_NS8_15LoadWithoutCastENS8_16StoreWithoutCastELi4ELi1EEEEEvT0_T1_.private_seg_size)
	.set _ZN2at6native27unrolled_elementwise_kernelIZZZNS0_12_GLOBAL__N_137scaled_modified_bessel_k0_kernel_cudaERNS_18TensorIteratorBaseEENKUlvE_clEvENKUlvE_clEvEUldE_St5arrayIPcLm2EELi4E23TrivialOffsetCalculatorILi1EjESC_NS0_6memory15LoadWithoutCastENSD_16StoreWithoutCastEEEviT_T0_T2_T3_T4_T5_.uses_vcc, or(1, .L_ZN2at6native25elementwise_kernel_helperILb0EZZZNS0_12_GLOBAL__N_137scaled_modified_bessel_k0_kernel_cudaERNS_18TensorIteratorBaseEENKUlvE_clEvENKUlvE_clEvEUldE_NS0_6memory8policies11unroll_baseILi256ESt5arrayIPcLm2EE23TrivialOffsetCalculatorILi1EjESF_NS8_15LoadWithoutCastENS8_16StoreWithoutCastELi4ELi1EEEEEvT0_T1_.uses_vcc)
	.set _ZN2at6native27unrolled_elementwise_kernelIZZZNS0_12_GLOBAL__N_137scaled_modified_bessel_k0_kernel_cudaERNS_18TensorIteratorBaseEENKUlvE_clEvENKUlvE_clEvEUldE_St5arrayIPcLm2EELi4E23TrivialOffsetCalculatorILi1EjESC_NS0_6memory15LoadWithoutCastENSD_16StoreWithoutCastEEEviT_T0_T2_T3_T4_T5_.uses_flat_scratch, or(0, .L_ZN2at6native25elementwise_kernel_helperILb0EZZZNS0_12_GLOBAL__N_137scaled_modified_bessel_k0_kernel_cudaERNS_18TensorIteratorBaseEENKUlvE_clEvENKUlvE_clEvEUldE_NS0_6memory8policies11unroll_baseILi256ESt5arrayIPcLm2EE23TrivialOffsetCalculatorILi1EjESF_NS8_15LoadWithoutCastENS8_16StoreWithoutCastELi4ELi1EEEEEvT0_T1_.uses_flat_scratch)
	.set _ZN2at6native27unrolled_elementwise_kernelIZZZNS0_12_GLOBAL__N_137scaled_modified_bessel_k0_kernel_cudaERNS_18TensorIteratorBaseEENKUlvE_clEvENKUlvE_clEvEUldE_St5arrayIPcLm2EELi4E23TrivialOffsetCalculatorILi1EjESC_NS0_6memory15LoadWithoutCastENSD_16StoreWithoutCastEEEviT_T0_T2_T3_T4_T5_.has_dyn_sized_stack, or(0, .L_ZN2at6native25elementwise_kernel_helperILb0EZZZNS0_12_GLOBAL__N_137scaled_modified_bessel_k0_kernel_cudaERNS_18TensorIteratorBaseEENKUlvE_clEvENKUlvE_clEvEUldE_NS0_6memory8policies11unroll_baseILi256ESt5arrayIPcLm2EE23TrivialOffsetCalculatorILi1EjESF_NS8_15LoadWithoutCastENS8_16StoreWithoutCastELi4ELi1EEEEEvT0_T1_.has_dyn_sized_stack)
	.set _ZN2at6native27unrolled_elementwise_kernelIZZZNS0_12_GLOBAL__N_137scaled_modified_bessel_k0_kernel_cudaERNS_18TensorIteratorBaseEENKUlvE_clEvENKUlvE_clEvEUldE_St5arrayIPcLm2EELi4E23TrivialOffsetCalculatorILi1EjESC_NS0_6memory15LoadWithoutCastENSD_16StoreWithoutCastEEEviT_T0_T2_T3_T4_T5_.has_recursion, or(0, .L_ZN2at6native25elementwise_kernel_helperILb0EZZZNS0_12_GLOBAL__N_137scaled_modified_bessel_k0_kernel_cudaERNS_18TensorIteratorBaseEENKUlvE_clEvENKUlvE_clEvEUldE_NS0_6memory8policies11unroll_baseILi256ESt5arrayIPcLm2EE23TrivialOffsetCalculatorILi1EjESF_NS8_15LoadWithoutCastENS8_16StoreWithoutCastELi4ELi1EEEEEvT0_T1_.has_recursion)
	.set _ZN2at6native27unrolled_elementwise_kernelIZZZNS0_12_GLOBAL__N_137scaled_modified_bessel_k0_kernel_cudaERNS_18TensorIteratorBaseEENKUlvE_clEvENKUlvE_clEvEUldE_St5arrayIPcLm2EELi4E23TrivialOffsetCalculatorILi1EjESC_NS0_6memory15LoadWithoutCastENSD_16StoreWithoutCastEEEviT_T0_T2_T3_T4_T5_.has_indirect_call, or(0, .L_ZN2at6native25elementwise_kernel_helperILb0EZZZNS0_12_GLOBAL__N_137scaled_modified_bessel_k0_kernel_cudaERNS_18TensorIteratorBaseEENKUlvE_clEvENKUlvE_clEvEUldE_NS0_6memory8policies11unroll_baseILi256ESt5arrayIPcLm2EE23TrivialOffsetCalculatorILi1EjESF_NS8_15LoadWithoutCastENS8_16StoreWithoutCastELi4ELi1EEEEEvT0_T1_.has_indirect_call)
	.section	.AMDGPU.csdata,"",@progbits
; Kernel info:
; codeLenInByte = 124
; TotalNumSgprs: 35
; NumVgprs: 68
; ScratchSize: 0
; MemoryBound: 0
; FloatMode: 240
; IeeeMode: 1
; LDSByteSize: 0 bytes/workgroup (compile time only)
; SGPRBlocks: 0
; VGPRBlocks: 4
; NumSGPRsForWavesPerEU: 35
; NumVGPRsForWavesPerEU: 68
; NamedBarCnt: 0
; Occupancy: 12
; WaveLimiterHint : 0
; COMPUTE_PGM_RSRC2:SCRATCH_EN: 0
; COMPUTE_PGM_RSRC2:USER_SGPR: 2
; COMPUTE_PGM_RSRC2:TRAP_HANDLER: 0
; COMPUTE_PGM_RSRC2:TGID_X_EN: 1
; COMPUTE_PGM_RSRC2:TGID_Y_EN: 0
; COMPUTE_PGM_RSRC2:TGID_Z_EN: 0
; COMPUTE_PGM_RSRC2:TIDIG_COMP_CNT: 0
	.section	.text._ZN2at6native32elementwise_kernel_manual_unrollILi128ELi4EZNS0_22gpu_kernel_impl_nocastIZZZNS0_12_GLOBAL__N_137scaled_modified_bessel_k0_kernel_cudaERNS_18TensorIteratorBaseEENKUlvE_clEvENKUlvE_clEvEUldE_EEvS5_RKT_EUlibE_EEviT1_,"axG",@progbits,_ZN2at6native32elementwise_kernel_manual_unrollILi128ELi4EZNS0_22gpu_kernel_impl_nocastIZZZNS0_12_GLOBAL__N_137scaled_modified_bessel_k0_kernel_cudaERNS_18TensorIteratorBaseEENKUlvE_clEvENKUlvE_clEvEUldE_EEvS5_RKT_EUlibE_EEviT1_,comdat
	.globl	_ZN2at6native32elementwise_kernel_manual_unrollILi128ELi4EZNS0_22gpu_kernel_impl_nocastIZZZNS0_12_GLOBAL__N_137scaled_modified_bessel_k0_kernel_cudaERNS_18TensorIteratorBaseEENKUlvE_clEvENKUlvE_clEvEUldE_EEvS5_RKT_EUlibE_EEviT1_ ; -- Begin function _ZN2at6native32elementwise_kernel_manual_unrollILi128ELi4EZNS0_22gpu_kernel_impl_nocastIZZZNS0_12_GLOBAL__N_137scaled_modified_bessel_k0_kernel_cudaERNS_18TensorIteratorBaseEENKUlvE_clEvENKUlvE_clEvEUldE_EEvS5_RKT_EUlibE_EEviT1_
	.p2align	8
	.type	_ZN2at6native32elementwise_kernel_manual_unrollILi128ELi4EZNS0_22gpu_kernel_impl_nocastIZZZNS0_12_GLOBAL__N_137scaled_modified_bessel_k0_kernel_cudaERNS_18TensorIteratorBaseEENKUlvE_clEvENKUlvE_clEvEUldE_EEvS5_RKT_EUlibE_EEviT1_,@function
_ZN2at6native32elementwise_kernel_manual_unrollILi128ELi4EZNS0_22gpu_kernel_impl_nocastIZZZNS0_12_GLOBAL__N_137scaled_modified_bessel_k0_kernel_cudaERNS_18TensorIteratorBaseEENKUlvE_clEvENKUlvE_clEvEUldE_EEvS5_RKT_EUlibE_EEviT1_: ; @_ZN2at6native32elementwise_kernel_manual_unrollILi128ELi4EZNS0_22gpu_kernel_impl_nocastIZZZNS0_12_GLOBAL__N_137scaled_modified_bessel_k0_kernel_cudaERNS_18TensorIteratorBaseEENKUlvE_clEvENKUlvE_clEvEUldE_EEvS5_RKT_EUlibE_EEviT1_
; %bb.0:
	s_clause 0x1
	s_load_b32 s28, s[0:1], 0x8
	s_load_b32 s34, s[0:1], 0x0
	s_bfe_u32 s2, ttmp6, 0x4000c
	s_and_b32 s3, ttmp6, 15
	s_add_co_i32 s2, s2, 1
	s_getreg_b32 s4, hwreg(HW_REG_IB_STS2, 6, 4)
	s_mul_i32 s2, ttmp9, s2
	s_mov_b32 s17, 0
	s_add_co_i32 s3, s3, s2
	s_cmp_eq_u32 s4, 0
	s_cselect_b32 s2, ttmp9, s3
	s_delay_alu instid0(SALU_CYCLE_1) | instskip(SKIP_3) | instid1(VALU_DEP_1)
	v_lshl_or_b32 v0, s2, 9, v0
	s_add_nc_u64 s[2:3], s[0:1], 8
	s_wait_xcnt 0x0
	s_mov_b32 s0, exec_lo
	v_or_b32_e32 v8, 0x180, v0
	s_wait_kmcnt 0x0
	s_add_co_i32 s29, s28, -1
	s_delay_alu instid0(SALU_CYCLE_1)
	s_cmp_gt_u32 s29, 1
	s_cselect_b32 s30, -1, 0
	v_cmpx_le_i32_e64 s34, v8
	s_xor_b32 s31, exec_lo, s0
	s_cbranch_execz .LBB7_7
; %bb.1:
	s_clause 0x3
	s_load_b128 s[8:11], s[2:3], 0x4
	s_load_b64 s[0:1], s[2:3], 0x14
	s_load_b128 s[12:15], s[2:3], 0xc4
	s_load_b128 s[4:7], s[2:3], 0x148
	s_cmp_lg_u32 s28, 0
	s_add_nc_u64 s[20:21], s[2:3], 0xc4
	s_cselect_b32 s36, -1, 0
	s_min_u32 s35, s29, 15
	s_cmp_gt_u32 s28, 1
	s_mov_b32 s19, s17
	s_cselect_b32 s33, -1, 0
	s_wait_kmcnt 0x0
	s_mov_b32 s16, s9
	s_mov_b32 s18, s0
	s_mov_b32 s9, exec_lo
	v_cmpx_gt_i32_e64 s34, v0
	s_cbranch_execz .LBB7_14
; %bb.2:
	s_and_not1_b32 vcc_lo, exec_lo, s30
	s_cbranch_vccnz .LBB7_21
; %bb.3:
	s_and_not1_b32 vcc_lo, exec_lo, s36
	s_cbranch_vccnz .LBB7_105
; %bb.4:
	s_add_co_i32 s0, s35, 1
	s_cmp_eq_u32 s29, 2
	s_cbranch_scc1 .LBB7_107
; %bb.5:
	v_dual_mov_b32 v2, 0 :: v_dual_mov_b32 v3, 0
	v_mov_b32_e32 v1, v0
	s_and_b32 s22, s0, 28
	s_mov_b32 s23, 0
	s_mov_b64 s[24:25], s[2:3]
	s_mov_b64 s[26:27], s[20:21]
.LBB7_6:                                ; =>This Inner Loop Header: Depth=1
	s_clause 0x1
	s_load_b256 s[40:47], s[24:25], 0x4
	s_load_b128 s[56:59], s[24:25], 0x24
	s_load_b256 s[48:55], s[26:27], 0x0
	s_add_co_i32 s23, s23, 4
	s_wait_xcnt 0x0
	s_add_nc_u64 s[24:25], s[24:25], 48
	s_cmp_lg_u32 s22, s23
	s_add_nc_u64 s[26:27], s[26:27], 32
	s_wait_kmcnt 0x0
	v_mul_hi_u32 v4, s41, v1
	s_delay_alu instid0(VALU_DEP_1) | instskip(NEXT) | instid1(VALU_DEP_1)
	v_add_nc_u32_e32 v4, v1, v4
	v_lshrrev_b32_e32 v4, s42, v4
	s_delay_alu instid0(VALU_DEP_1) | instskip(NEXT) | instid1(VALU_DEP_1)
	v_mul_hi_u32 v5, s44, v4
	v_add_nc_u32_e32 v5, v4, v5
	s_delay_alu instid0(VALU_DEP_1) | instskip(NEXT) | instid1(VALU_DEP_1)
	v_lshrrev_b32_e32 v5, s45, v5
	v_mul_hi_u32 v6, s47, v5
	s_delay_alu instid0(VALU_DEP_1) | instskip(SKIP_1) | instid1(VALU_DEP_1)
	v_add_nc_u32_e32 v6, v5, v6
	v_mul_lo_u32 v7, v4, s40
	v_sub_nc_u32_e32 v1, v1, v7
	v_mul_lo_u32 v7, v5, s43
	s_delay_alu instid0(VALU_DEP_4) | instskip(NEXT) | instid1(VALU_DEP_3)
	v_lshrrev_b32_e32 v6, s56, v6
	v_mad_u32 v3, v1, s49, v3
	v_mad_u32 v1, v1, s48, v2
	s_delay_alu instid0(VALU_DEP_4) | instskip(NEXT) | instid1(VALU_DEP_4)
	v_sub_nc_u32_e32 v2, v4, v7
	v_mul_hi_u32 v8, s58, v6
	v_mul_lo_u32 v4, v6, s46
	s_delay_alu instid0(VALU_DEP_3) | instskip(SKIP_1) | instid1(VALU_DEP_4)
	v_mad_u32 v3, v2, s51, v3
	v_mad_u32 v2, v2, s50, v1
	v_add_nc_u32_e32 v7, v6, v8
	s_delay_alu instid0(VALU_DEP_1) | instskip(NEXT) | instid1(VALU_DEP_1)
	v_dual_sub_nc_u32 v4, v5, v4 :: v_dual_lshrrev_b32 v1, s59, v7
	v_mad_u32 v3, v4, s53, v3
	s_delay_alu instid0(VALU_DEP_4) | instskip(NEXT) | instid1(VALU_DEP_3)
	v_mad_u32 v2, v4, s52, v2
	v_mul_lo_u32 v5, v1, s57
	s_delay_alu instid0(VALU_DEP_1) | instskip(NEXT) | instid1(VALU_DEP_1)
	v_sub_nc_u32_e32 v4, v6, v5
	v_mad_u32 v3, v4, s55, v3
	s_delay_alu instid0(VALU_DEP_4)
	v_mad_u32 v2, v4, s54, v2
	s_cbranch_scc1 .LBB7_6
	s_branch .LBB7_108
.LBB7_7:
	s_and_not1_saveexec_b32 s0, s31
	s_cbranch_execz .LBB7_149
.LBB7_8:
	v_cndmask_b32_e64 v6, 0, 1, s30
	s_and_not1_b32 vcc_lo, exec_lo, s30
	s_cbranch_vccnz .LBB7_20
; %bb.9:
	s_cmp_lg_u32 s28, 0
	s_mov_b32 s8, 0
	s_cbranch_scc0 .LBB7_23
; %bb.10:
	s_min_u32 s1, s29, 15
	s_delay_alu instid0(SALU_CYCLE_1)
	s_add_co_i32 s1, s1, 1
	s_cmp_eq_u32 s29, 2
	s_cbranch_scc1 .LBB7_24
; %bb.11:
	v_dual_mov_b32 v2, 0 :: v_dual_mov_b32 v3, 0
	v_mov_b32_e32 v1, v0
	s_and_b32 s0, s1, 28
	s_add_nc_u64 s[4:5], s[2:3], 0xc4
	s_mov_b32 s9, 0
	s_mov_b64 s[6:7], s[2:3]
.LBB7_12:                               ; =>This Inner Loop Header: Depth=1
	s_clause 0x1
	s_load_b256 s[12:19], s[6:7], 0x4
	s_load_b128 s[36:39], s[6:7], 0x24
	s_load_b256 s[20:27], s[4:5], 0x0
	s_add_co_i32 s9, s9, 4
	s_wait_xcnt 0x0
	s_add_nc_u64 s[6:7], s[6:7], 48
	s_cmp_lg_u32 s0, s9
	s_add_nc_u64 s[4:5], s[4:5], 32
	s_wait_kmcnt 0x0
	v_mul_hi_u32 v4, s13, v1
	s_delay_alu instid0(VALU_DEP_1) | instskip(NEXT) | instid1(VALU_DEP_1)
	v_add_nc_u32_e32 v4, v1, v4
	v_lshrrev_b32_e32 v4, s14, v4
	s_delay_alu instid0(VALU_DEP_1) | instskip(NEXT) | instid1(VALU_DEP_1)
	v_mul_hi_u32 v5, s16, v4
	v_add_nc_u32_e32 v5, v4, v5
	s_delay_alu instid0(VALU_DEP_1) | instskip(NEXT) | instid1(VALU_DEP_1)
	v_lshrrev_b32_e32 v5, s17, v5
	v_mul_hi_u32 v7, s19, v5
	s_delay_alu instid0(VALU_DEP_1) | instskip(SKIP_1) | instid1(VALU_DEP_2)
	v_add_nc_u32_e32 v7, v5, v7
	v_mul_lo_u32 v9, v4, s12
	v_lshrrev_b32_e32 v7, s36, v7
	s_delay_alu instid0(VALU_DEP_1) | instskip(NEXT) | instid1(VALU_DEP_3)
	v_mul_hi_u32 v10, s38, v7
	v_sub_nc_u32_e32 v1, v1, v9
	v_mul_lo_u32 v9, v5, s15
	s_delay_alu instid0(VALU_DEP_2) | instskip(SKIP_1) | instid1(VALU_DEP_3)
	v_mad_u32 v3, v1, s21, v3
	v_mad_u32 v1, v1, s20, v2
	v_sub_nc_u32_e32 v2, v4, v9
	v_mul_lo_u32 v4, v7, s18
	v_add_nc_u32_e32 v9, v7, v10
	s_delay_alu instid0(VALU_DEP_3) | instskip(SKIP_1) | instid1(VALU_DEP_3)
	v_mad_u32 v3, v2, s23, v3
	v_mad_u32 v2, v2, s22, v1
	v_dual_sub_nc_u32 v4, v5, v4 :: v_dual_lshrrev_b32 v1, s39, v9
	s_delay_alu instid0(VALU_DEP_1) | instskip(NEXT) | instid1(VALU_DEP_2)
	v_mad_u32 v3, v4, s25, v3
	v_mul_lo_u32 v5, v1, s37
	s_delay_alu instid0(VALU_DEP_4) | instskip(NEXT) | instid1(VALU_DEP_2)
	v_mad_u32 v2, v4, s24, v2
	v_sub_nc_u32_e32 v4, v7, v5
	s_delay_alu instid0(VALU_DEP_1) | instskip(NEXT) | instid1(VALU_DEP_3)
	v_mad_u32 v3, v4, s27, v3
	v_mad_u32 v2, v4, s26, v2
	s_cbranch_scc1 .LBB7_12
; %bb.13:
	s_and_b32 s6, s1, 3
	s_mov_b32 s1, 0
	s_cmp_eq_u32 s6, 0
	s_cbranch_scc0 .LBB7_25
	s_branch .LBB7_27
.LBB7_14:
	s_or_b32 exec_lo, exec_lo, s9
	s_delay_alu instid0(SALU_CYCLE_1)
	s_mov_b32 s9, exec_lo
	v_cmpx_gt_i32_e64 s34, v0
	s_cbranch_execz .LBB7_123
.LBB7_15:
	s_and_not1_b32 vcc_lo, exec_lo, s30
	s_cbranch_vccnz .LBB7_22
; %bb.16:
	s_and_not1_b32 vcc_lo, exec_lo, s36
	s_cbranch_vccnz .LBB7_106
; %bb.17:
	s_add_co_i32 s0, s35, 1
	s_cmp_eq_u32 s29, 2
	s_cbranch_scc1 .LBB7_131
; %bb.18:
	v_dual_mov_b32 v2, 0 :: v_dual_mov_b32 v3, 0
	v_mov_b32_e32 v1, v0
	s_and_b32 s22, s0, 28
	s_mov_b32 s23, 0
	s_mov_b64 s[24:25], s[2:3]
	s_mov_b64 s[26:27], s[20:21]
.LBB7_19:                               ; =>This Inner Loop Header: Depth=1
	s_clause 0x1
	s_load_b256 s[40:47], s[24:25], 0x4
	s_load_b128 s[56:59], s[24:25], 0x24
	s_load_b256 s[48:55], s[26:27], 0x0
	s_add_co_i32 s23, s23, 4
	s_wait_xcnt 0x0
	s_add_nc_u64 s[24:25], s[24:25], 48
	s_cmp_eq_u32 s22, s23
	s_add_nc_u64 s[26:27], s[26:27], 32
	s_wait_kmcnt 0x0
	v_mul_hi_u32 v4, s41, v1
	s_delay_alu instid0(VALU_DEP_1) | instskip(NEXT) | instid1(VALU_DEP_1)
	v_add_nc_u32_e32 v4, v1, v4
	v_lshrrev_b32_e32 v4, s42, v4
	s_delay_alu instid0(VALU_DEP_1) | instskip(NEXT) | instid1(VALU_DEP_1)
	v_mul_hi_u32 v5, s44, v4
	v_add_nc_u32_e32 v5, v4, v5
	s_delay_alu instid0(VALU_DEP_1) | instskip(NEXT) | instid1(VALU_DEP_1)
	v_lshrrev_b32_e32 v5, s45, v5
	v_mul_hi_u32 v6, s47, v5
	s_delay_alu instid0(VALU_DEP_1) | instskip(SKIP_1) | instid1(VALU_DEP_1)
	v_add_nc_u32_e32 v6, v5, v6
	v_mul_lo_u32 v7, v4, s40
	v_sub_nc_u32_e32 v1, v1, v7
	v_mul_lo_u32 v7, v5, s43
	s_delay_alu instid0(VALU_DEP_4) | instskip(NEXT) | instid1(VALU_DEP_3)
	v_lshrrev_b32_e32 v6, s56, v6
	v_mad_u32 v3, v1, s49, v3
	v_mad_u32 v1, v1, s48, v2
	s_delay_alu instid0(VALU_DEP_4) | instskip(NEXT) | instid1(VALU_DEP_4)
	v_sub_nc_u32_e32 v2, v4, v7
	v_mul_hi_u32 v8, s58, v6
	v_mul_lo_u32 v4, v6, s46
	s_delay_alu instid0(VALU_DEP_3) | instskip(SKIP_1) | instid1(VALU_DEP_4)
	v_mad_u32 v3, v2, s51, v3
	v_mad_u32 v2, v2, s50, v1
	v_add_nc_u32_e32 v7, v6, v8
	s_delay_alu instid0(VALU_DEP_1) | instskip(NEXT) | instid1(VALU_DEP_1)
	v_dual_sub_nc_u32 v4, v5, v4 :: v_dual_lshrrev_b32 v1, s59, v7
	v_mad_u32 v3, v4, s53, v3
	s_delay_alu instid0(VALU_DEP_4) | instskip(NEXT) | instid1(VALU_DEP_3)
	v_mad_u32 v2, v4, s52, v2
	v_mul_lo_u32 v5, v1, s57
	s_delay_alu instid0(VALU_DEP_1) | instskip(NEXT) | instid1(VALU_DEP_1)
	v_sub_nc_u32_e32 v4, v6, v5
	v_mad_u32 v3, v4, s55, v3
	s_delay_alu instid0(VALU_DEP_4)
	v_mad_u32 v2, v4, s54, v2
	s_cbranch_scc0 .LBB7_19
	s_branch .LBB7_132
.LBB7_20:
	s_mov_b32 s8, -1
                                        ; implicit-def: $vgpr3
	s_branch .LBB7_27
.LBB7_21:
                                        ; implicit-def: $vgpr3
	s_branch .LBB7_112
.LBB7_22:
                                        ; implicit-def: $vgpr3
	s_branch .LBB7_136
.LBB7_23:
	v_dual_mov_b32 v3, 0 :: v_dual_mov_b32 v2, 0
	s_branch .LBB7_27
.LBB7_24:
	v_mov_b64_e32 v[2:3], 0
	v_mov_b32_e32 v1, v0
	s_mov_b32 s0, 0
	s_and_b32 s6, s1, 3
	s_mov_b32 s1, 0
	s_cmp_eq_u32 s6, 0
	s_cbranch_scc1 .LBB7_27
.LBB7_25:
	s_lshl_b32 s4, s0, 3
	s_mov_b32 s5, s1
	s_mul_u64 s[10:11], s[0:1], 12
	s_add_nc_u64 s[4:5], s[2:3], s[4:5]
	s_delay_alu instid0(SALU_CYCLE_1)
	s_add_nc_u64 s[0:1], s[4:5], 0xc4
	s_add_nc_u64 s[4:5], s[2:3], s[10:11]
.LBB7_26:                               ; =>This Inner Loop Header: Depth=1
	s_load_b96 s[12:14], s[4:5], 0x4
	s_load_b64 s[10:11], s[0:1], 0x0
	s_add_co_i32 s6, s6, -1
	s_wait_xcnt 0x0
	s_add_nc_u64 s[4:5], s[4:5], 12
	s_cmp_lg_u32 s6, 0
	s_add_nc_u64 s[0:1], s[0:1], 8
	s_wait_kmcnt 0x0
	v_mul_hi_u32 v4, s13, v1
	s_delay_alu instid0(VALU_DEP_1) | instskip(NEXT) | instid1(VALU_DEP_1)
	v_add_nc_u32_e32 v4, v1, v4
	v_lshrrev_b32_e32 v4, s14, v4
	s_delay_alu instid0(VALU_DEP_1) | instskip(NEXT) | instid1(VALU_DEP_1)
	v_mul_lo_u32 v5, v4, s12
	v_sub_nc_u32_e32 v1, v1, v5
	s_delay_alu instid0(VALU_DEP_1)
	v_mad_u32 v3, v1, s11, v3
	v_mad_u32 v2, v1, s10, v2
	v_mov_b32_e32 v1, v4
	s_cbranch_scc1 .LBB7_26
.LBB7_27:
	s_and_not1_b32 vcc_lo, exec_lo, s8
	s_cbranch_vccnz .LBB7_30
; %bb.28:
	s_clause 0x1
	s_load_b96 s[4:6], s[2:3], 0x4
	s_load_b64 s[0:1], s[2:3], 0xc4
	s_cmp_lt_u32 s28, 2
	s_wait_kmcnt 0x0
	v_mul_hi_u32 v1, s5, v0
	s_delay_alu instid0(VALU_DEP_1) | instskip(NEXT) | instid1(VALU_DEP_1)
	v_add_nc_u32_e32 v1, v0, v1
	v_lshrrev_b32_e32 v1, s6, v1
	s_delay_alu instid0(VALU_DEP_1) | instskip(NEXT) | instid1(VALU_DEP_1)
	v_mul_lo_u32 v2, v1, s4
	v_sub_nc_u32_e32 v2, v0, v2
	s_delay_alu instid0(VALU_DEP_1)
	v_mul_lo_u32 v3, v2, s1
	v_mul_lo_u32 v2, v2, s0
	s_cbranch_scc1 .LBB7_30
; %bb.29:
	s_clause 0x1
	s_load_b96 s[4:6], s[2:3], 0x10
	s_load_b64 s[0:1], s[2:3], 0xcc
	s_wait_kmcnt 0x0
	v_mul_hi_u32 v4, s5, v1
	s_delay_alu instid0(VALU_DEP_1) | instskip(NEXT) | instid1(VALU_DEP_1)
	v_add_nc_u32_e32 v4, v1, v4
	v_lshrrev_b32_e32 v4, s6, v4
	s_delay_alu instid0(VALU_DEP_1) | instskip(NEXT) | instid1(VALU_DEP_1)
	v_mul_lo_u32 v4, v4, s4
	v_sub_nc_u32_e32 v1, v1, v4
	s_delay_alu instid0(VALU_DEP_1)
	v_mad_u32 v2, v1, s0, v2
	v_mad_u32 v3, v1, s1, v3
.LBB7_30:
	v_cmp_ne_u32_e32 vcc_lo, 1, v6
	v_add_nc_u32_e32 v1, 0x80, v0
	s_cbranch_vccnz .LBB7_36
; %bb.31:
	s_cmp_lg_u32 s28, 0
	s_mov_b32 s8, 0
	s_cbranch_scc0 .LBB7_37
; %bb.32:
	s_min_u32 s1, s29, 15
	s_delay_alu instid0(SALU_CYCLE_1)
	s_add_co_i32 s1, s1, 1
	s_cmp_eq_u32 s29, 2
	s_cbranch_scc1 .LBB7_38
; %bb.33:
	v_dual_mov_b32 v4, 0 :: v_dual_mov_b32 v5, 0
	v_mov_b32_e32 v7, v1
	s_and_b32 s0, s1, 28
	s_add_nc_u64 s[4:5], s[2:3], 0xc4
	s_mov_b32 s9, 0
	s_mov_b64 s[6:7], s[2:3]
.LBB7_34:                               ; =>This Inner Loop Header: Depth=1
	s_clause 0x1
	s_load_b256 s[12:19], s[6:7], 0x4
	s_load_b128 s[36:39], s[6:7], 0x24
	s_load_b256 s[20:27], s[4:5], 0x0
	s_add_co_i32 s9, s9, 4
	s_wait_xcnt 0x0
	s_add_nc_u64 s[6:7], s[6:7], 48
	s_cmp_lg_u32 s0, s9
	s_add_nc_u64 s[4:5], s[4:5], 32
	s_wait_kmcnt 0x0
	v_mul_hi_u32 v9, s13, v7
	s_delay_alu instid0(VALU_DEP_1) | instskip(NEXT) | instid1(VALU_DEP_1)
	v_add_nc_u32_e32 v9, v7, v9
	v_lshrrev_b32_e32 v9, s14, v9
	s_delay_alu instid0(VALU_DEP_1) | instskip(NEXT) | instid1(VALU_DEP_1)
	v_mul_hi_u32 v10, s16, v9
	v_add_nc_u32_e32 v10, v9, v10
	s_delay_alu instid0(VALU_DEP_1) | instskip(NEXT) | instid1(VALU_DEP_1)
	v_lshrrev_b32_e32 v10, s17, v10
	v_mul_hi_u32 v11, s19, v10
	s_delay_alu instid0(VALU_DEP_1) | instskip(SKIP_1) | instid1(VALU_DEP_1)
	v_add_nc_u32_e32 v11, v10, v11
	v_mul_lo_u32 v12, v9, s12
	v_sub_nc_u32_e32 v7, v7, v12
	v_mul_lo_u32 v12, v10, s15
	s_delay_alu instid0(VALU_DEP_4) | instskip(NEXT) | instid1(VALU_DEP_3)
	v_lshrrev_b32_e32 v11, s36, v11
	v_mad_u32 v5, v7, s21, v5
	v_mad_u32 v4, v7, s20, v4
	s_delay_alu instid0(VALU_DEP_4) | instskip(NEXT) | instid1(VALU_DEP_4)
	v_sub_nc_u32_e32 v7, v9, v12
	v_mul_hi_u32 v13, s38, v11
	v_mul_lo_u32 v9, v11, s18
	s_delay_alu instid0(VALU_DEP_3) | instskip(SKIP_1) | instid1(VALU_DEP_4)
	v_mad_u32 v5, v7, s23, v5
	v_mad_u32 v4, v7, s22, v4
	v_add_nc_u32_e32 v12, v11, v13
	s_delay_alu instid0(VALU_DEP_1) | instskip(NEXT) | instid1(VALU_DEP_1)
	v_dual_sub_nc_u32 v9, v10, v9 :: v_dual_lshrrev_b32 v7, s39, v12
	v_mad_u32 v5, v9, s25, v5
	s_delay_alu instid0(VALU_DEP_4) | instskip(NEXT) | instid1(VALU_DEP_3)
	v_mad_u32 v4, v9, s24, v4
	v_mul_lo_u32 v10, v7, s37
	s_delay_alu instid0(VALU_DEP_1) | instskip(NEXT) | instid1(VALU_DEP_1)
	v_sub_nc_u32_e32 v9, v11, v10
	v_mad_u32 v5, v9, s27, v5
	s_delay_alu instid0(VALU_DEP_4)
	v_mad_u32 v4, v9, s26, v4
	s_cbranch_scc1 .LBB7_34
; %bb.35:
	s_and_b32 s6, s1, 3
	s_mov_b32 s1, 0
	s_cmp_eq_u32 s6, 0
	s_cbranch_scc0 .LBB7_39
	s_branch .LBB7_41
.LBB7_36:
	s_mov_b32 s8, -1
                                        ; implicit-def: $vgpr5
	s_branch .LBB7_41
.LBB7_37:
	v_dual_mov_b32 v5, 0 :: v_dual_mov_b32 v4, 0
	s_branch .LBB7_41
.LBB7_38:
	v_mov_b64_e32 v[4:5], 0
	v_mov_b32_e32 v7, v1
	s_mov_b32 s0, 0
	s_and_b32 s6, s1, 3
	s_mov_b32 s1, 0
	s_cmp_eq_u32 s6, 0
	s_cbranch_scc1 .LBB7_41
.LBB7_39:
	s_lshl_b32 s4, s0, 3
	s_mov_b32 s5, s1
	s_mul_u64 s[10:11], s[0:1], 12
	s_add_nc_u64 s[4:5], s[2:3], s[4:5]
	s_delay_alu instid0(SALU_CYCLE_1)
	s_add_nc_u64 s[0:1], s[4:5], 0xc4
	s_add_nc_u64 s[4:5], s[2:3], s[10:11]
.LBB7_40:                               ; =>This Inner Loop Header: Depth=1
	s_load_b96 s[12:14], s[4:5], 0x4
	s_load_b64 s[10:11], s[0:1], 0x0
	s_add_co_i32 s6, s6, -1
	s_wait_xcnt 0x0
	s_add_nc_u64 s[4:5], s[4:5], 12
	s_cmp_lg_u32 s6, 0
	s_add_nc_u64 s[0:1], s[0:1], 8
	s_wait_kmcnt 0x0
	v_mul_hi_u32 v9, s13, v7
	s_delay_alu instid0(VALU_DEP_1) | instskip(NEXT) | instid1(VALU_DEP_1)
	v_add_nc_u32_e32 v9, v7, v9
	v_lshrrev_b32_e32 v9, s14, v9
	s_delay_alu instid0(VALU_DEP_1) | instskip(NEXT) | instid1(VALU_DEP_1)
	v_mul_lo_u32 v10, v9, s12
	v_sub_nc_u32_e32 v7, v7, v10
	s_delay_alu instid0(VALU_DEP_1)
	v_mad_u32 v5, v7, s11, v5
	v_mad_u32 v4, v7, s10, v4
	v_mov_b32_e32 v7, v9
	s_cbranch_scc1 .LBB7_40
.LBB7_41:
	s_and_not1_b32 vcc_lo, exec_lo, s8
	s_cbranch_vccnz .LBB7_44
; %bb.42:
	s_clause 0x1
	s_load_b96 s[4:6], s[2:3], 0x4
	s_load_b64 s[0:1], s[2:3], 0xc4
	s_cmp_lt_u32 s28, 2
	s_wait_kmcnt 0x0
	v_mul_hi_u32 v4, s5, v1
	s_delay_alu instid0(VALU_DEP_1) | instskip(NEXT) | instid1(VALU_DEP_1)
	v_add_nc_u32_e32 v4, v1, v4
	v_lshrrev_b32_e32 v7, s6, v4
	s_delay_alu instid0(VALU_DEP_1) | instskip(NEXT) | instid1(VALU_DEP_1)
	v_mul_lo_u32 v4, v7, s4
	v_sub_nc_u32_e32 v1, v1, v4
	s_delay_alu instid0(VALU_DEP_1)
	v_mul_lo_u32 v5, v1, s1
	v_mul_lo_u32 v4, v1, s0
	s_cbranch_scc1 .LBB7_44
; %bb.43:
	s_clause 0x1
	s_load_b96 s[4:6], s[2:3], 0x10
	s_load_b64 s[0:1], s[2:3], 0xcc
	s_wait_kmcnt 0x0
	v_mul_hi_u32 v1, s5, v7
	s_delay_alu instid0(VALU_DEP_1) | instskip(NEXT) | instid1(VALU_DEP_1)
	v_add_nc_u32_e32 v1, v7, v1
	v_lshrrev_b32_e32 v1, s6, v1
	s_delay_alu instid0(VALU_DEP_1) | instskip(NEXT) | instid1(VALU_DEP_1)
	v_mul_lo_u32 v1, v1, s4
	v_sub_nc_u32_e32 v1, v7, v1
	s_delay_alu instid0(VALU_DEP_1)
	v_mad_u32 v4, v1, s0, v4
	v_mad_u32 v5, v1, s1, v5
.LBB7_44:
	v_cmp_ne_u32_e32 vcc_lo, 1, v6
	v_add_nc_u32_e32 v7, 0x100, v0
	s_cbranch_vccnz .LBB7_50
; %bb.45:
	s_cmp_lg_u32 s28, 0
	s_mov_b32 s8, 0
	s_cbranch_scc0 .LBB7_51
; %bb.46:
	s_min_u32 s1, s29, 15
	s_delay_alu instid0(SALU_CYCLE_1)
	s_add_co_i32 s1, s1, 1
	s_cmp_eq_u32 s29, 2
	s_cbranch_scc1 .LBB7_52
; %bb.47:
	v_dual_mov_b32 v0, 0 :: v_dual_mov_b32 v1, 0
	v_mov_b32_e32 v9, v7
	s_and_b32 s0, s1, 28
	s_add_nc_u64 s[4:5], s[2:3], 0xc4
	s_mov_b32 s9, 0
	s_mov_b64 s[6:7], s[2:3]
.LBB7_48:                               ; =>This Inner Loop Header: Depth=1
	s_clause 0x1
	s_load_b256 s[12:19], s[6:7], 0x4
	s_load_b128 s[36:39], s[6:7], 0x24
	s_load_b256 s[20:27], s[4:5], 0x0
	s_add_co_i32 s9, s9, 4
	s_wait_xcnt 0x0
	s_add_nc_u64 s[6:7], s[6:7], 48
	s_cmp_lg_u32 s0, s9
	s_add_nc_u64 s[4:5], s[4:5], 32
	s_wait_kmcnt 0x0
	v_mul_hi_u32 v10, s13, v9
	s_delay_alu instid0(VALU_DEP_1) | instskip(NEXT) | instid1(VALU_DEP_1)
	v_add_nc_u32_e32 v10, v9, v10
	v_lshrrev_b32_e32 v10, s14, v10
	s_delay_alu instid0(VALU_DEP_1) | instskip(NEXT) | instid1(VALU_DEP_1)
	v_mul_hi_u32 v11, s16, v10
	v_add_nc_u32_e32 v11, v10, v11
	s_delay_alu instid0(VALU_DEP_1) | instskip(NEXT) | instid1(VALU_DEP_1)
	v_lshrrev_b32_e32 v11, s17, v11
	v_mul_hi_u32 v12, s19, v11
	s_delay_alu instid0(VALU_DEP_1) | instskip(SKIP_1) | instid1(VALU_DEP_1)
	v_add_nc_u32_e32 v12, v11, v12
	v_mul_lo_u32 v13, v10, s12
	v_sub_nc_u32_e32 v9, v9, v13
	v_mul_lo_u32 v13, v11, s15
	s_delay_alu instid0(VALU_DEP_4) | instskip(NEXT) | instid1(VALU_DEP_3)
	v_lshrrev_b32_e32 v12, s36, v12
	v_mad_u32 v1, v9, s21, v1
	v_mad_u32 v0, v9, s20, v0
	s_delay_alu instid0(VALU_DEP_4) | instskip(NEXT) | instid1(VALU_DEP_4)
	v_sub_nc_u32_e32 v9, v10, v13
	v_mul_hi_u32 v14, s38, v12
	v_mul_lo_u32 v10, v12, s18
	s_delay_alu instid0(VALU_DEP_3) | instskip(SKIP_1) | instid1(VALU_DEP_4)
	v_mad_u32 v1, v9, s23, v1
	v_mad_u32 v0, v9, s22, v0
	v_add_nc_u32_e32 v13, v12, v14
	s_delay_alu instid0(VALU_DEP_1) | instskip(NEXT) | instid1(VALU_DEP_1)
	v_dual_sub_nc_u32 v10, v11, v10 :: v_dual_lshrrev_b32 v9, s39, v13
	v_mad_u32 v1, v10, s25, v1
	s_delay_alu instid0(VALU_DEP_4) | instskip(NEXT) | instid1(VALU_DEP_3)
	v_mad_u32 v0, v10, s24, v0
	v_mul_lo_u32 v11, v9, s37
	s_delay_alu instid0(VALU_DEP_1) | instskip(NEXT) | instid1(VALU_DEP_1)
	v_sub_nc_u32_e32 v10, v12, v11
	v_mad_u32 v1, v10, s27, v1
	s_delay_alu instid0(VALU_DEP_4)
	v_mad_u32 v0, v10, s26, v0
	s_cbranch_scc1 .LBB7_48
; %bb.49:
	s_and_b32 s6, s1, 3
	s_mov_b32 s1, 0
	s_cmp_eq_u32 s6, 0
	s_cbranch_scc0 .LBB7_53
	s_branch .LBB7_55
.LBB7_50:
	s_mov_b32 s8, -1
                                        ; implicit-def: $vgpr1
	s_branch .LBB7_55
.LBB7_51:
	v_dual_mov_b32 v1, 0 :: v_dual_mov_b32 v0, 0
	s_branch .LBB7_55
.LBB7_52:
	v_mov_b64_e32 v[0:1], 0
	v_mov_b32_e32 v9, v7
	s_mov_b32 s0, 0
	s_and_b32 s6, s1, 3
	s_mov_b32 s1, 0
	s_cmp_eq_u32 s6, 0
	s_cbranch_scc1 .LBB7_55
.LBB7_53:
	s_lshl_b32 s4, s0, 3
	s_mov_b32 s5, s1
	s_mul_u64 s[10:11], s[0:1], 12
	s_add_nc_u64 s[4:5], s[2:3], s[4:5]
	s_delay_alu instid0(SALU_CYCLE_1)
	s_add_nc_u64 s[0:1], s[4:5], 0xc4
	s_add_nc_u64 s[4:5], s[2:3], s[10:11]
.LBB7_54:                               ; =>This Inner Loop Header: Depth=1
	s_load_b96 s[12:14], s[4:5], 0x4
	s_load_b64 s[10:11], s[0:1], 0x0
	s_add_co_i32 s6, s6, -1
	s_wait_xcnt 0x0
	s_add_nc_u64 s[4:5], s[4:5], 12
	s_cmp_lg_u32 s6, 0
	s_add_nc_u64 s[0:1], s[0:1], 8
	s_wait_kmcnt 0x0
	v_mul_hi_u32 v10, s13, v9
	s_delay_alu instid0(VALU_DEP_1) | instskip(NEXT) | instid1(VALU_DEP_1)
	v_add_nc_u32_e32 v10, v9, v10
	v_lshrrev_b32_e32 v10, s14, v10
	s_delay_alu instid0(VALU_DEP_1) | instskip(NEXT) | instid1(VALU_DEP_1)
	v_mul_lo_u32 v11, v10, s12
	v_sub_nc_u32_e32 v9, v9, v11
	s_delay_alu instid0(VALU_DEP_1)
	v_mad_u32 v1, v9, s11, v1
	v_mad_u32 v0, v9, s10, v0
	v_mov_b32_e32 v9, v10
	s_cbranch_scc1 .LBB7_54
.LBB7_55:
	s_and_not1_b32 vcc_lo, exec_lo, s8
	s_cbranch_vccnz .LBB7_58
; %bb.56:
	s_clause 0x1
	s_load_b96 s[4:6], s[2:3], 0x4
	s_load_b64 s[0:1], s[2:3], 0xc4
	s_cmp_lt_u32 s28, 2
	s_wait_kmcnt 0x0
	v_mul_hi_u32 v0, s5, v7
	s_delay_alu instid0(VALU_DEP_1) | instskip(NEXT) | instid1(VALU_DEP_1)
	v_add_nc_u32_e32 v0, v7, v0
	v_lshrrev_b32_e32 v9, s6, v0
	s_delay_alu instid0(VALU_DEP_1) | instskip(NEXT) | instid1(VALU_DEP_1)
	v_mul_lo_u32 v0, v9, s4
	v_sub_nc_u32_e32 v0, v7, v0
	s_delay_alu instid0(VALU_DEP_1)
	v_mul_lo_u32 v1, v0, s1
	v_mul_lo_u32 v0, v0, s0
	s_cbranch_scc1 .LBB7_58
; %bb.57:
	s_clause 0x1
	s_load_b96 s[4:6], s[2:3], 0x10
	s_load_b64 s[0:1], s[2:3], 0xcc
	s_wait_kmcnt 0x0
	v_mul_hi_u32 v7, s5, v9
	s_delay_alu instid0(VALU_DEP_1) | instskip(NEXT) | instid1(VALU_DEP_1)
	v_add_nc_u32_e32 v7, v9, v7
	v_lshrrev_b32_e32 v7, s6, v7
	s_delay_alu instid0(VALU_DEP_1) | instskip(NEXT) | instid1(VALU_DEP_1)
	v_mul_lo_u32 v7, v7, s4
	v_sub_nc_u32_e32 v7, v9, v7
	s_delay_alu instid0(VALU_DEP_1)
	v_mad_u32 v0, v7, s0, v0
	v_mad_u32 v1, v7, s1, v1
.LBB7_58:
	v_cmp_ne_u32_e32 vcc_lo, 1, v6
	s_cbranch_vccnz .LBB7_64
; %bb.59:
	s_cmp_lg_u32 s28, 0
	s_mov_b32 s8, 0
	s_cbranch_scc0 .LBB7_65
; %bb.60:
	s_min_u32 s1, s29, 15
	s_delay_alu instid0(SALU_CYCLE_1)
	s_add_co_i32 s1, s1, 1
	s_cmp_eq_u32 s29, 2
	s_cbranch_scc1 .LBB7_66
; %bb.61:
	v_dual_mov_b32 v6, 0 :: v_dual_mov_b32 v7, 0
	v_mov_b32_e32 v9, v8
	s_and_b32 s0, s1, 28
	s_add_nc_u64 s[4:5], s[2:3], 0xc4
	s_mov_b32 s9, 0
	s_mov_b64 s[6:7], s[2:3]
.LBB7_62:                               ; =>This Inner Loop Header: Depth=1
	s_clause 0x1
	s_load_b256 s[12:19], s[6:7], 0x4
	s_load_b128 s[36:39], s[6:7], 0x24
	s_load_b256 s[20:27], s[4:5], 0x0
	s_add_co_i32 s9, s9, 4
	s_wait_xcnt 0x0
	s_add_nc_u64 s[6:7], s[6:7], 48
	s_cmp_lg_u32 s0, s9
	s_add_nc_u64 s[4:5], s[4:5], 32
	s_wait_kmcnt 0x0
	v_mul_hi_u32 v10, s13, v9
	s_delay_alu instid0(VALU_DEP_1) | instskip(NEXT) | instid1(VALU_DEP_1)
	v_add_nc_u32_e32 v10, v9, v10
	v_lshrrev_b32_e32 v10, s14, v10
	s_delay_alu instid0(VALU_DEP_1) | instskip(NEXT) | instid1(VALU_DEP_1)
	v_mul_hi_u32 v11, s16, v10
	v_add_nc_u32_e32 v11, v10, v11
	s_delay_alu instid0(VALU_DEP_1) | instskip(NEXT) | instid1(VALU_DEP_1)
	v_lshrrev_b32_e32 v11, s17, v11
	v_mul_hi_u32 v12, s19, v11
	s_delay_alu instid0(VALU_DEP_1) | instskip(SKIP_1) | instid1(VALU_DEP_1)
	v_add_nc_u32_e32 v12, v11, v12
	v_mul_lo_u32 v13, v10, s12
	v_sub_nc_u32_e32 v9, v9, v13
	v_mul_lo_u32 v13, v11, s15
	s_delay_alu instid0(VALU_DEP_4) | instskip(NEXT) | instid1(VALU_DEP_3)
	v_lshrrev_b32_e32 v12, s36, v12
	v_mad_u32 v7, v9, s21, v7
	v_mad_u32 v6, v9, s20, v6
	s_delay_alu instid0(VALU_DEP_4) | instskip(NEXT) | instid1(VALU_DEP_4)
	v_sub_nc_u32_e32 v9, v10, v13
	v_mul_hi_u32 v14, s38, v12
	v_mul_lo_u32 v10, v12, s18
	s_delay_alu instid0(VALU_DEP_3) | instskip(SKIP_1) | instid1(VALU_DEP_4)
	v_mad_u32 v7, v9, s23, v7
	v_mad_u32 v6, v9, s22, v6
	v_add_nc_u32_e32 v13, v12, v14
	s_delay_alu instid0(VALU_DEP_1) | instskip(NEXT) | instid1(VALU_DEP_1)
	v_dual_sub_nc_u32 v10, v11, v10 :: v_dual_lshrrev_b32 v9, s39, v13
	v_mad_u32 v7, v10, s25, v7
	s_delay_alu instid0(VALU_DEP_4) | instskip(NEXT) | instid1(VALU_DEP_3)
	v_mad_u32 v6, v10, s24, v6
	v_mul_lo_u32 v11, v9, s37
	s_delay_alu instid0(VALU_DEP_1) | instskip(NEXT) | instid1(VALU_DEP_1)
	v_sub_nc_u32_e32 v10, v12, v11
	v_mad_u32 v7, v10, s27, v7
	s_delay_alu instid0(VALU_DEP_4)
	v_mad_u32 v6, v10, s26, v6
	s_cbranch_scc1 .LBB7_62
; %bb.63:
	s_and_b32 s6, s1, 3
	s_mov_b32 s1, 0
	s_cmp_eq_u32 s6, 0
	s_cbranch_scc0 .LBB7_67
	s_branch .LBB7_69
.LBB7_64:
	s_mov_b32 s8, -1
                                        ; implicit-def: $vgpr7
	s_branch .LBB7_69
.LBB7_65:
	v_dual_mov_b32 v7, 0 :: v_dual_mov_b32 v6, 0
	s_branch .LBB7_69
.LBB7_66:
	v_mov_b64_e32 v[6:7], 0
	v_mov_b32_e32 v9, v8
	s_mov_b32 s0, 0
	s_and_b32 s6, s1, 3
	s_mov_b32 s1, 0
	s_cmp_eq_u32 s6, 0
	s_cbranch_scc1 .LBB7_69
.LBB7_67:
	s_lshl_b32 s4, s0, 3
	s_mov_b32 s5, s1
	s_mul_u64 s[10:11], s[0:1], 12
	s_add_nc_u64 s[4:5], s[2:3], s[4:5]
	s_delay_alu instid0(SALU_CYCLE_1)
	s_add_nc_u64 s[0:1], s[4:5], 0xc4
	s_add_nc_u64 s[4:5], s[2:3], s[10:11]
.LBB7_68:                               ; =>This Inner Loop Header: Depth=1
	s_load_b96 s[12:14], s[4:5], 0x4
	s_load_b64 s[10:11], s[0:1], 0x0
	s_add_co_i32 s6, s6, -1
	s_wait_xcnt 0x0
	s_add_nc_u64 s[4:5], s[4:5], 12
	s_cmp_lg_u32 s6, 0
	s_add_nc_u64 s[0:1], s[0:1], 8
	s_wait_kmcnt 0x0
	v_mul_hi_u32 v10, s13, v9
	s_delay_alu instid0(VALU_DEP_1) | instskip(NEXT) | instid1(VALU_DEP_1)
	v_add_nc_u32_e32 v10, v9, v10
	v_lshrrev_b32_e32 v10, s14, v10
	s_delay_alu instid0(VALU_DEP_1) | instskip(NEXT) | instid1(VALU_DEP_1)
	v_mul_lo_u32 v11, v10, s12
	v_sub_nc_u32_e32 v9, v9, v11
	s_delay_alu instid0(VALU_DEP_1)
	v_mad_u32 v7, v9, s11, v7
	v_mad_u32 v6, v9, s10, v6
	v_mov_b32_e32 v9, v10
	s_cbranch_scc1 .LBB7_68
.LBB7_69:
	s_and_not1_b32 vcc_lo, exec_lo, s8
	s_cbranch_vccnz .LBB7_72
; %bb.70:
	s_clause 0x1
	s_load_b96 s[4:6], s[2:3], 0x4
	s_load_b64 s[0:1], s[2:3], 0xc4
	s_cmp_lt_u32 s28, 2
	s_wait_kmcnt 0x0
	v_mul_hi_u32 v6, s5, v8
	s_delay_alu instid0(VALU_DEP_1) | instskip(NEXT) | instid1(VALU_DEP_1)
	v_add_nc_u32_e32 v6, v8, v6
	v_lshrrev_b32_e32 v9, s6, v6
	s_delay_alu instid0(VALU_DEP_1) | instskip(NEXT) | instid1(VALU_DEP_1)
	v_mul_lo_u32 v6, v9, s4
	v_sub_nc_u32_e32 v6, v8, v6
	s_delay_alu instid0(VALU_DEP_1)
	v_mul_lo_u32 v7, v6, s1
	v_mul_lo_u32 v6, v6, s0
	s_cbranch_scc1 .LBB7_72
; %bb.71:
	s_clause 0x1
	s_load_b96 s[4:6], s[2:3], 0x10
	s_load_b64 s[0:1], s[2:3], 0xcc
	s_wait_kmcnt 0x0
	v_mul_hi_u32 v8, s5, v9
	s_delay_alu instid0(VALU_DEP_1) | instskip(NEXT) | instid1(VALU_DEP_1)
	v_add_nc_u32_e32 v8, v9, v8
	v_lshrrev_b32_e32 v8, s6, v8
	s_delay_alu instid0(VALU_DEP_1) | instskip(NEXT) | instid1(VALU_DEP_1)
	v_mul_lo_u32 v8, v8, s4
	v_sub_nc_u32_e32 v8, v9, v8
	s_delay_alu instid0(VALU_DEP_1)
	v_mad_u32 v6, v8, s0, v6
	v_mad_u32 v7, v8, s1, v7
.LBB7_72:
	s_load_b128 s[4:7], s[2:3], 0x148
	v_mov_b64_e32 v[8:9], 0x7ff0000000000000
	v_mov_b64_e32 v[10:11], 0x7ff0000000000000
	s_mov_b32 s1, exec_lo
	s_wait_kmcnt 0x0
	global_load_b64 v[12:13], v3, s[6:7]
	s_wait_loadcnt 0x0
	v_cmpx_neq_f64_e32 0, v[12:13]
	s_cbranch_execz .LBB7_80
; %bb.73:
	v_mov_b64_e32 v[10:11], 0x7ff8000000000000
	s_mov_b32 s2, exec_lo
	v_cmpx_ngt_f64_e32 0, v[12:13]
	s_cbranch_execz .LBB7_79
; %bb.74:
                                        ; implicit-def: $vgpr10_vgpr11
	s_mov_b32 s0, exec_lo
	v_cmpx_ge_f64_e32 2.0, v[12:13]
	s_xor_b32 s3, exec_lo, s0
	s_cbranch_execz .LBB7_76
; %bb.75:
	v_fma_f64 v[10:11], v[12:13], 0.5, -2.0
	s_mov_b64 s[8:9], 0xbc545cb72134d0ef
	v_mul_f64_e32 v[18:19], 0.5, v[12:13]
	s_delay_alu instid0(VALU_DEP_2) | instskip(SKIP_1) | instid1(VALU_DEP_2)
	v_fmaak_f64 v[14:15], s[8:9], v[10:11], 0x3c833362977da589
	s_mov_b64 s[8:9], 0x3fe5555555555555
	v_frexp_mant_f64_e32 v[20:21], v[18:19]
	v_cmp_neq_f64_e64 s0, 0, v[18:19]
	s_delay_alu instid0(VALU_DEP_3) | instskip(NEXT) | instid1(VALU_DEP_1)
	v_fmaak_f64 v[16:17], v[10:11], v[14:15], 0x3c545cb72134d0ef
	v_add_f64_e32 v[16:17], 0xbcb184eb721ebbb4, v[16:17]
	s_delay_alu instid0(VALU_DEP_4) | instskip(SKIP_1) | instid1(VALU_DEP_2)
	v_cmp_gt_f64_e32 vcc_lo, s[8:9], v[20:21]
	s_mov_b64 s[8:9], 0x3fc3ab76bf559e2b
	v_fma_f64 v[14:15], v[10:11], v[16:17], -v[14:15]
	v_cndmask_b32_e64 v3, 0, 1, vcc_lo
	s_delay_alu instid0(VALU_DEP_1) | instskip(SKIP_1) | instid1(VALU_DEP_4)
	v_ldexp_f64 v[20:21], v[20:21], v3
	v_frexp_exp_i32_f64_e32 v3, v[18:19]
	v_add_f64_e32 v[14:15], 0x3cdee6d893f65eba, v[14:15]
	s_delay_alu instid0(VALU_DEP_3) | instskip(SKIP_1) | instid1(VALU_DEP_4)
	v_add_f64_e32 v[22:23], 1.0, v[20:21]
	v_add_f64_e32 v[28:29], -1.0, v[20:21]
	v_subrev_co_ci_u32_e64 v3, null, 0, v3, vcc_lo
	v_cmp_neq_f64_e32 vcc_lo, 0x7ff00000, v[18:19]
	v_fma_f64 v[16:17], v[10:11], v[14:15], -v[16:17]
	v_rcp_f64_e32 v[24:25], v[22:23]
	v_add_f64_e32 v[30:31], -1.0, v[22:23]
	s_delay_alu instid0(VALU_DEP_2) | instskip(NEXT) | instid1(VALU_DEP_2)
	v_add_f64_e32 v[16:17], 0xbd0a5022c297fbeb, v[16:17]
	v_add_f64_e64 v[20:21], v[20:21], -v[30:31]
	s_delay_alu instid0(TRANS32_DEP_1) | instskip(NEXT) | instid1(VALU_DEP_3)
	v_fma_f64 v[26:27], -v[22:23], v[24:25], 1.0
	v_fma_f64 v[14:15], v[10:11], v[16:17], -v[14:15]
	s_delay_alu instid0(VALU_DEP_2) | instskip(NEXT) | instid1(VALU_DEP_2)
	v_fmac_f64_e32 v[24:25], v[26:27], v[24:25]
	v_add_f64_e32 v[14:15], 0x3d359b464b262627, v[14:15]
	s_delay_alu instid0(VALU_DEP_2) | instskip(NEXT) | instid1(VALU_DEP_2)
	v_fma_f64 v[26:27], -v[22:23], v[24:25], 1.0
	v_fma_f64 v[16:17], v[10:11], v[14:15], -v[16:17]
	s_delay_alu instid0(VALU_DEP_2) | instskip(NEXT) | instid1(VALU_DEP_2)
	v_fmac_f64_e32 v[24:25], v[26:27], v[24:25]
	v_add_f64_e32 v[16:17], 0xbd61164c62ee1af0, v[16:17]
	s_delay_alu instid0(VALU_DEP_2) | instskip(NEXT) | instid1(VALU_DEP_2)
	v_mul_f64_e32 v[26:27], v[28:29], v[24:25]
	v_fma_f64 v[14:15], v[10:11], v[16:17], -v[14:15]
	s_delay_alu instid0(VALU_DEP_2) | instskip(NEXT) | instid1(VALU_DEP_2)
	v_mul_f64_e32 v[32:33], v[22:23], v[26:27]
	v_add_f64_e32 v[14:15], 0x3d89fe2fe19bd324, v[14:15]
	s_delay_alu instid0(VALU_DEP_2) | instskip(NEXT) | instid1(VALU_DEP_2)
	v_fma_f64 v[22:23], v[26:27], v[22:23], -v[32:33]
	v_fma_f64 v[16:17], v[10:11], v[14:15], -v[16:17]
	s_delay_alu instid0(VALU_DEP_2) | instskip(NEXT) | instid1(VALU_DEP_2)
	v_fmac_f64_e32 v[22:23], v[26:27], v[20:21]
	v_add_f64_e32 v[16:17], 0xbdb2fc957a946abc, v[16:17]
	s_delay_alu instid0(VALU_DEP_2) | instskip(NEXT) | instid1(VALU_DEP_2)
	v_add_f64_e32 v[20:21], v[32:33], v[22:23]
	v_fma_f64 v[14:15], v[10:11], v[16:17], -v[14:15]
	s_delay_alu instid0(VALU_DEP_2) | instskip(NEXT) | instid1(VALU_DEP_2)
	v_add_f64_e64 v[30:31], v[28:29], -v[20:21]
	v_add_f64_e32 v[14:15], 0x3dda98becc743c10, v[14:15]
	v_add_f64_e64 v[32:33], v[20:21], -v[32:33]
	s_delay_alu instid0(VALU_DEP_3) | instskip(NEXT) | instid1(VALU_DEP_3)
	v_add_f64_e64 v[28:29], v[28:29], -v[30:31]
	v_fma_f64 v[16:17], v[10:11], v[14:15], -v[16:17]
	s_delay_alu instid0(VALU_DEP_3) | instskip(SKIP_1) | instid1(VALU_DEP_4)
	v_add_f64_e64 v[22:23], v[32:33], -v[22:23]
	v_cvt_f64_i32_e32 v[32:33], v3
	v_add_f64_e64 v[20:21], v[28:29], -v[20:21]
	s_delay_alu instid0(VALU_DEP_4) | instskip(NEXT) | instid1(VALU_DEP_3)
	v_add_f64_e32 v[16:17], 0xbe01d4fe13ae9556, v[16:17]
	v_mul_f64_e32 v[34:35], 0x3fe62e42fefa39ef, v[32:33]
	s_delay_alu instid0(VALU_DEP_3) | instskip(NEXT) | instid1(VALU_DEP_3)
	v_add_f64_e32 v[20:21], v[22:23], v[20:21]
	v_fma_f64 v[14:15], v[10:11], v[16:17], -v[14:15]
	s_delay_alu instid0(VALU_DEP_2) | instskip(NEXT) | instid1(VALU_DEP_2)
	v_add_f64_e32 v[20:21], v[30:31], v[20:21]
	v_add_f64_e32 v[14:15], 0x3e26d903a454cb34, v[14:15]
	s_delay_alu instid0(VALU_DEP_2) | instskip(NEXT) | instid1(VALU_DEP_2)
	v_mul_f64_e32 v[20:21], v[24:25], v[20:21]
	v_fma_f64 v[16:17], v[10:11], v[14:15], -v[16:17]
	s_delay_alu instid0(VALU_DEP_2) | instskip(NEXT) | instid1(VALU_DEP_2)
	v_add_f64_e32 v[22:23], v[26:27], v[20:21]
	v_add_f64_e32 v[16:17], 0xbe4beaf68c0b30ab, v[16:17]
	s_delay_alu instid0(VALU_DEP_2) | instskip(NEXT) | instid1(VALU_DEP_2)
	v_mul_f64_e32 v[24:25], v[22:23], v[22:23]
	v_fma_f64 v[14:15], v[10:11], v[16:17], -v[14:15]
	s_delay_alu instid0(VALU_DEP_2) | instskip(NEXT) | instid1(VALU_DEP_2)
	v_fmaak_f64 v[28:29], s[8:9], v[24:25], 0x3fc385386b47b09a
	v_add_f64_e32 v[14:15], 0x3e703b769d4d6435, v[14:15]
	v_mul_f64_e32 v[30:31], v[22:23], v[24:25]
	s_mov_b64 s[8:9], 0x3ca3cee1e6a7fd77
	s_delay_alu instid0(VALU_DEP_3) | instskip(NEXT) | instid1(VALU_DEP_1)
	v_fmaak_f64 v[28:29], v[24:25], v[28:29], 0x3fc7474dd7f4df2e
	v_fmaak_f64 v[28:29], v[24:25], v[28:29], 0x3fcc71c016291751
	s_delay_alu instid0(VALU_DEP_1) | instskip(NEXT) | instid1(VALU_DEP_1)
	v_fmaak_f64 v[28:29], v[24:25], v[28:29], 0x3fd249249b27acf1
	v_fmaak_f64 v[28:29], v[24:25], v[28:29], 0x3fd99999998ef7b6
	v_fma_f64 v[16:17], v[10:11], v[14:15], -v[16:17]
	s_delay_alu instid0(VALU_DEP_2) | instskip(SKIP_2) | instid1(VALU_DEP_3)
	v_fmaak_f64 v[24:25], v[24:25], v[28:29], 0x3fe5555555555780
	v_ldexp_f64 v[28:29], v[22:23], 1
	v_add_f64_e64 v[22:23], v[22:23], -v[26:27]
	v_mul_f64_e32 v[24:25], v[30:31], v[24:25]
	v_fma_f64 v[30:31], v[12:13], v[12:13], -2.0
	v_add_f64_e32 v[16:17], 0xbe91ec638f227f8d, v[16:17]
	s_delay_alu instid0(VALU_DEP_4) | instskip(NEXT) | instid1(VALU_DEP_4)
	v_add_f64_e64 v[20:21], v[20:21], -v[22:23]
	v_add_f64_e32 v[26:27], v[28:29], v[24:25]
	s_delay_alu instid0(VALU_DEP_3) | instskip(NEXT) | instid1(VALU_DEP_3)
	v_fma_f64 v[14:15], v[10:11], v[16:17], -v[14:15]
	v_ldexp_f64 v[20:21], v[20:21], 1
	s_delay_alu instid0(VALU_DEP_3) | instskip(SKIP_2) | instid1(VALU_DEP_1)
	v_add_f64_e64 v[22:23], v[26:27], -v[28:29]
	v_fmaak_f64 v[28:29], s[8:9], v[30:31], 0x3d27fb0ac384c2aa
	s_mov_b64 s[8:9], 0x3fe62e42fefa39ef
	v_fmaak_f64 v[36:37], v[30:31], v[28:29], 0xbca3cee1e6a7fd77
	v_add_f64_e32 v[14:15], 0x3eb2bf24978cf4ac, v[14:15]
	s_delay_alu instid0(VALU_DEP_4) | instskip(NEXT) | instid1(VALU_DEP_3)
	v_add_f64_e64 v[22:23], v[24:25], -v[22:23]
	v_add_f64_e32 v[24:25], 0x3da6c25c47512144, v[36:37]
	v_fma_f64 v[36:37], v[32:33], s[8:9], -v[34:35]
	s_mov_b64 s[8:9], 0x3e5ade156a5dcb37
	s_delay_alu instid0(VALU_DEP_4) | instskip(NEXT) | instid1(VALU_DEP_4)
	v_fma_f64 v[16:17], v[10:11], v[14:15], -v[16:17]
	v_add_f64_e32 v[20:21], v[20:21], v[22:23]
	s_delay_alu instid0(VALU_DEP_4) | instskip(NEXT) | instid1(VALU_DEP_4)
	v_fma_f64 v[22:23], v[30:31], v[24:25], -v[28:29]
	v_fmamk_f64 v[28:29], v[32:33], 0x3c7abc9e3b39803f, v[36:37]
	s_delay_alu instid0(VALU_DEP_1) | instskip(SKIP_3) | instid1(VALU_DEP_4)
	v_add_f64_e32 v[36:37], v[34:35], v[28:29]
	v_add_f64_e32 v[16:17], 0xbed2866fcba56427, v[16:17]
	;; [unrolled: 1-line block ×4, first 2 shown]
	v_add_f64_e64 v[34:35], v[36:37], -v[34:35]
	s_delay_alu instid0(VALU_DEP_4) | instskip(NEXT) | instid1(VALU_DEP_4)
	v_fma_f64 v[14:15], v[10:11], v[16:17], -v[14:15]
	v_add_f64_e32 v[38:39], v[36:37], v[32:33]
	s_delay_alu instid0(VALU_DEP_4) | instskip(SKIP_1) | instid1(VALU_DEP_4)
	v_fma_f64 v[24:25], v[30:31], v[22:23], -v[24:25]
	v_add_f64_e64 v[26:27], v[32:33], -v[26:27]
	v_add_f64_e32 v[14:15], 0x3ef13f58be9a2859, v[14:15]
	s_delay_alu instid0(VALU_DEP_4) | instskip(NEXT) | instid1(VALU_DEP_4)
	v_add_f64_e64 v[40:41], v[38:39], -v[36:37]
	v_add_f64_e32 v[24:25], 0x3e9102bce7f95efc, v[24:25]
	s_delay_alu instid0(VALU_DEP_4)
	v_add_f64_e64 v[20:21], v[20:21], -v[26:27]
	v_add_f64_e64 v[26:27], v[28:29], -v[34:35]
	v_mul_f64_e32 v[34:35], 0x3ff71547652b82fe, v[12:13]
	v_fma_f64 v[16:17], v[10:11], v[14:15], -v[16:17]
	v_add_f64_e64 v[42:43], v[38:39], -v[40:41]
	v_fma_f64 v[22:23], v[30:31], v[24:25], -v[22:23]
	v_add_f64_e64 v[32:33], v[32:33], -v[40:41]
	s_delay_alu instid0(VALU_DEP_4) | instskip(NEXT) | instid1(VALU_DEP_4)
	v_add_f64_e32 v[16:17], 0xbf0e2b2659c41d5a, v[16:17]
	v_add_f64_e64 v[28:29], v[36:37], -v[42:43]
	s_delay_alu instid0(VALU_DEP_4) | instskip(SKIP_1) | instid1(VALU_DEP_4)
	v_add_f64_e32 v[22:23], 0x3ef7f900fe8cfca0, v[22:23]
	v_add_f64_e32 v[36:37], v[26:27], v[20:21]
	v_fma_f64 v[14:15], v[10:11], v[16:17], -v[14:15]
	s_delay_alu instid0(VALU_DEP_4) | instskip(NEXT) | instid1(VALU_DEP_4)
	v_add_f64_e32 v[28:29], v[32:33], v[28:29]
	v_fma_f64 v[24:25], v[30:31], v[22:23], -v[24:25]
	v_rndne_f64_e32 v[32:33], v[34:35]
	v_add_f64_e64 v[34:35], v[36:37], -v[26:27]
	v_add_f64_e32 v[14:15], 0x3f28b51b74107cab, v[14:15]
	v_add_f64_e32 v[28:29], v[36:37], v[28:29]
	;; [unrolled: 1-line block ×3, first 2 shown]
	v_fmamk_f64 v[12:13], v[32:33], 0xbfe62e42fefa39ef, v[12:13]
	v_add_f64_e64 v[36:37], v[36:37], -v[34:35]
	v_add_f64_e64 v[20:21], v[20:21], -v[34:35]
	v_cvt_i32_f64_e32 v3, v[32:33]
	s_delay_alu instid0(VALU_DEP_4) | instskip(NEXT) | instid1(VALU_DEP_1)
	v_fmamk_f64 v[12:13], v[32:33], 0xbc7abc9e3b39803f, v[12:13]
	v_fmaak_f64 v[42:43], s[8:9], v[12:13], 0x3e928af3fca7ab0c
	s_delay_alu instid0(VALU_DEP_1) | instskip(SKIP_1) | instid1(VALU_DEP_2)
	v_fmaak_f64 v[42:43], v[12:13], v[42:43], 0x3ec71dee623fde64
	v_fma_f64 v[16:17], v[10:11], v[14:15], -v[16:17]
	v_fmaak_f64 v[42:43], v[12:13], v[42:43], 0x3efa01997c89e6b0
	v_add_f64_e32 v[40:41], v[38:39], v[28:29]
	v_fma_f64 v[22:23], v[30:31], v[24:25], -v[22:23]
	v_add_f64_e64 v[26:27], v[26:27], -v[36:37]
	s_delay_alu instid0(VALU_DEP_4) | instskip(NEXT) | instid1(VALU_DEP_1)
	v_fmaak_f64 v[42:43], v[12:13], v[42:43], 0x3f2a01a014761f6e
	v_fmaak_f64 v[36:37], v[12:13], v[42:43], 0x3f56c16c1852b7b0
	v_add_f64_e32 v[16:17], 0xbf42e2fd1f15eb52, v[16:17]
	v_add_f64_e64 v[34:35], v[40:41], -v[38:39]
	v_add_f64_e32 v[22:23], 0x3fa26bf6554a9085, v[22:23]
	v_add_f64_e32 v[20:21], v[20:21], v[26:27]
	s_delay_alu instid0(VALU_DEP_4) | instskip(NEXT) | instid1(VALU_DEP_4)
	v_fma_f64 v[14:15], v[10:11], v[16:17], -v[14:15]
	v_add_f64_e64 v[26:27], v[28:29], -v[34:35]
	s_delay_alu instid0(VALU_DEP_4) | instskip(NEXT) | instid1(VALU_DEP_3)
	v_fma_f64 v[24:25], v[30:31], v[22:23], -v[24:25]
	v_add_f64_e32 v[14:15], 0x3f5adc758a12100e, v[14:15]
	s_delay_alu instid0(VALU_DEP_3) | instskip(NEXT) | instid1(VALU_DEP_3)
	v_add_f64_e32 v[20:21], v[20:21], v[26:27]
	v_add_f64_e32 v[24:25], 0x3fd608d881213db9, v[24:25]
	s_delay_alu instid0(VALU_DEP_3) | instskip(NEXT) | instid1(VALU_DEP_1)
	v_fma_f64 v[16:17], v[10:11], v[14:15], -v[16:17]
	v_add_f64_e32 v[16:17], 0xbf71b65e201aa849, v[16:17]
	s_delay_alu instid0(VALU_DEP_1) | instskip(NEXT) | instid1(VALU_DEP_1)
	v_fma_f64 v[14:15], v[10:11], v[16:17], -v[14:15]
	v_add_f64_e32 v[14:15], 0x3f859961f3dde3dd, v[14:15]
	s_delay_alu instid0(VALU_DEP_1) | instskip(NEXT) | instid1(VALU_DEP_1)
	;; [unrolled: 3-line block ×6, first 2 shown]
	v_fma_f64 v[16:17], v[10:11], v[14:15], -v[16:17]
	v_add_f64_e32 v[16:17], 0xbfd37febc057cd8d, v[16:17]
	s_delay_alu instid0(VALU_DEP_1) | instskip(SKIP_1) | instid1(VALU_DEP_1)
	v_fma_f64 v[10:11], v[10:11], v[16:17], -v[14:15]
	v_fmaak_f64 v[16:17], v[12:13], v[36:37], 0x3f81111111122322
	v_fmaak_f64 v[16:17], v[12:13], v[16:17], 0x3fa55555555502a1
	s_delay_alu instid0(VALU_DEP_1) | instskip(NEXT) | instid1(VALU_DEP_1)
	v_fmaak_f64 v[16:17], v[12:13], v[16:17], 0x3fc5555555555511
	v_fmaak_f64 v[16:17], v[12:13], v[16:17], 0x3fe000000000000b
	s_delay_alu instid0(VALU_DEP_1) | instskip(SKIP_1) | instid1(VALU_DEP_2)
	v_fma_f64 v[16:17], v[12:13], v[16:17], 1.0
	v_add_f64_e32 v[10:11], 0x3fe5a84e9035a22a, v[10:11]
	v_fma_f64 v[12:13], v[12:13], v[16:17], 1.0
	v_fma_f64 v[16:17], v[30:31], v[24:25], -v[22:23]
	s_delay_alu instid0(VALU_DEP_3) | instskip(SKIP_1) | instid1(VALU_DEP_4)
	v_add_f64_e64 v[10:11], v[10:11], -v[14:15]
	v_add_f64_e32 v[14:15], v[40:41], v[20:21]
	v_ldexp_f64 v[12:13], v[12:13], v3
	s_delay_alu instid0(VALU_DEP_4) | instskip(NEXT) | instid1(VALU_DEP_4)
	v_add_f64_e32 v[16:17], 0xbfe12166e9d2f61f, v[16:17]
	v_mul_f64_e32 v[10:11], 0.5, v[10:11]
	s_delay_alu instid0(VALU_DEP_4) | instskip(SKIP_2) | instid1(VALU_DEP_2)
	v_cndmask_b32_e32 v3, 0x7ff00000, v15, vcc_lo
	s_and_b32 vcc_lo, s0, vcc_lo
	v_cndmask_b32_e32 v14, 0, v14, vcc_lo
	v_cndmask_b32_e64 v15, 0xfff00000, v3, s0
	v_add_f64_e64 v[16:17], v[16:17], -v[22:23]
	v_mul_f64_e32 v[10:11], v[12:13], v[10:11]
	s_delay_alu instid0(VALU_DEP_1) | instskip(NEXT) | instid1(VALU_DEP_1)
	v_mul_f64_e32 v[10:11], v[14:15], v[10:11]
	v_fma_f64 v[10:11], v[16:17], 0.5, -v[10:11]
	s_delay_alu instid0(VALU_DEP_1)
	v_mul_f64_e32 v[10:11], v[12:13], v[10:11]
                                        ; implicit-def: $vgpr12_vgpr13
.LBB7_76:
	s_and_not1_saveexec_b32 s0, s3
	s_cbranch_execz .LBB7_78
; %bb.77:
	v_div_scale_f64 v[10:11], null, v[12:13], v[12:13], 0x40200000
	v_div_scale_f64 v[18:19], vcc_lo, 0x40200000, v[12:13], 0x40200000
	s_mov_b64 s[8:9], 0x3c5871a5cf8c9ee1
	v_rcp_f64_e32 v[14:15], v[10:11]
	v_nop
	s_delay_alu instid0(TRANS32_DEP_1) | instskip(NEXT) | instid1(VALU_DEP_1)
	v_fma_f64 v[16:17], -v[10:11], v[14:15], 1.0
	v_fmac_f64_e32 v[14:15], v[14:15], v[16:17]
	s_delay_alu instid0(VALU_DEP_1) | instskip(NEXT) | instid1(VALU_DEP_1)
	v_fma_f64 v[16:17], -v[10:11], v[14:15], 1.0
	v_fmac_f64_e32 v[14:15], v[14:15], v[16:17]
	s_delay_alu instid0(VALU_DEP_1) | instskip(NEXT) | instid1(VALU_DEP_1)
	v_mul_f64_e32 v[16:17], v[18:19], v[14:15]
	v_fma_f64 v[10:11], -v[10:11], v[16:17], v[18:19]
	s_delay_alu instid0(VALU_DEP_1) | instskip(SKIP_1) | instid1(VALU_DEP_2)
	v_div_fmas_f64 v[10:11], v[10:11], v[14:15], v[16:17]
	v_cmp_gt_f64_e32 vcc_lo, 0x10000000, v[12:13]
	v_div_fixup_f64 v[10:11], v[10:11], v[12:13], 0x40200000
	v_cndmask_b32_e64 v3, 0, 0x100, vcc_lo
	s_delay_alu instid0(VALU_DEP_1) | instskip(SKIP_1) | instid1(VALU_DEP_2)
	v_ldexp_f64 v[12:13], v[12:13], v3
	v_cndmask_b32_e64 v3, 0, 0xffffff80, vcc_lo
	v_cmp_class_f64_e64 vcc_lo, v[12:13], 0x260
	v_add_f64_e32 v[10:11], -2.0, v[10:11]
	v_rsq_f64_e32 v[18:19], v[12:13]
	s_delay_alu instid0(VALU_DEP_1) | instskip(NEXT) | instid1(TRANS32_DEP_1)
	v_fmaak_f64 v[14:15], s[8:9], v[10:11], 0xbc72fecc93812603
	v_mul_f64_e32 v[20:21], v[12:13], v[18:19]
	s_delay_alu instid0(VALU_DEP_2) | instskip(SKIP_1) | instid1(VALU_DEP_2)
	v_fmaak_f64 v[16:17], v[10:11], v[14:15], 0xbc5871a5cf8c9ee1
	v_mul_f64_e32 v[18:19], 0.5, v[18:19]
	v_add_f64_e32 v[16:17], 0x3c8e092e41a8cdf4, v[16:17]
	s_delay_alu instid0(VALU_DEP_2) | instskip(NEXT) | instid1(VALU_DEP_2)
	v_fma_f64 v[22:23], -v[18:19], v[20:21], 0.5
	v_fma_f64 v[14:15], v[10:11], v[16:17], -v[14:15]
	s_delay_alu instid0(VALU_DEP_2) | instskip(SKIP_1) | instid1(VALU_DEP_3)
	v_fmac_f64_e32 v[20:21], v[20:21], v[22:23]
	v_fmac_f64_e32 v[18:19], v[18:19], v[22:23]
	v_add_f64_e32 v[14:15], 0xbca82f9474d77641, v[14:15]
	s_delay_alu instid0(VALU_DEP_3) | instskip(NEXT) | instid1(VALU_DEP_2)
	v_fma_f64 v[22:23], -v[20:21], v[20:21], v[12:13]
	v_fma_f64 v[16:17], v[10:11], v[14:15], -v[16:17]
	s_delay_alu instid0(VALU_DEP_2) | instskip(NEXT) | instid1(VALU_DEP_2)
	v_fmac_f64_e32 v[20:21], v[22:23], v[18:19]
	v_add_f64_e32 v[16:17], 0x3cc3dbf96b94785b, v[16:17]
	s_delay_alu instid0(VALU_DEP_1) | instskip(NEXT) | instid1(VALU_DEP_1)
	v_fma_f64 v[14:15], v[10:11], v[16:17], -v[14:15]
	v_add_f64_e32 v[14:15], 0xbce0a690ecfadd36, v[14:15]
	s_delay_alu instid0(VALU_DEP_1) | instskip(NEXT) | instid1(VALU_DEP_1)
	v_fma_f64 v[16:17], v[10:11], v[14:15], -v[16:17]
	;; [unrolled: 3-line block ×19, first 2 shown]
	v_add_f64_e32 v[14:15], 0xbfa019f72d4ff71e, v[14:15]
	s_delay_alu instid0(VALU_DEP_1) | instskip(SKIP_1) | instid1(VALU_DEP_2)
	v_fma_f64 v[10:11], v[10:11], v[14:15], -v[16:17]
	v_fma_f64 v[14:15], -v[20:21], v[20:21], v[12:13]
	v_add_f64_e32 v[10:11], 0x400385bd9f4e6907, v[10:11]
	s_delay_alu instid0(VALU_DEP_2) | instskip(NEXT) | instid1(VALU_DEP_2)
	v_fmac_f64_e32 v[20:21], v[14:15], v[18:19]
	v_add_f64_e64 v[10:11], v[10:11], -v[16:17]
	s_delay_alu instid0(VALU_DEP_2) | instskip(NEXT) | instid1(VALU_DEP_1)
	v_ldexp_f64 v[14:15], v[20:21], v3
	v_dual_mul_f64 v[10:11], 0.5, v[10:11] :: v_dual_cndmask_b32 v13, v15, v13, vcc_lo
	s_delay_alu instid0(VALU_DEP_2) | instskip(NEXT) | instid1(VALU_DEP_1)
	v_cndmask_b32_e32 v12, v14, v12, vcc_lo
	v_div_scale_f64 v[14:15], null, v[12:13], v[12:13], v[10:11]
	s_delay_alu instid0(VALU_DEP_1) | instskip(SKIP_1) | instid1(TRANS32_DEP_1)
	v_rcp_f64_e32 v[16:17], v[14:15]
	v_nop
	v_fma_f64 v[18:19], -v[14:15], v[16:17], 1.0
	s_delay_alu instid0(VALU_DEP_1) | instskip(NEXT) | instid1(VALU_DEP_1)
	v_fmac_f64_e32 v[16:17], v[16:17], v[18:19]
	v_fma_f64 v[18:19], -v[14:15], v[16:17], 1.0
	s_delay_alu instid0(VALU_DEP_1) | instskip(SKIP_1) | instid1(VALU_DEP_1)
	v_fmac_f64_e32 v[16:17], v[16:17], v[18:19]
	v_div_scale_f64 v[18:19], vcc_lo, v[10:11], v[12:13], v[10:11]
	v_mul_f64_e32 v[20:21], v[18:19], v[16:17]
	s_delay_alu instid0(VALU_DEP_1) | instskip(NEXT) | instid1(VALU_DEP_1)
	v_fma_f64 v[14:15], -v[14:15], v[20:21], v[18:19]
	v_div_fmas_f64 v[14:15], v[14:15], v[16:17], v[20:21]
	s_delay_alu instid0(VALU_DEP_1)
	v_div_fixup_f64 v[10:11], v[14:15], v[12:13], v[10:11]
.LBB7_78:
	s_or_b32 exec_lo, exec_lo, s0
.LBB7_79:
	s_delay_alu instid0(SALU_CYCLE_1)
	s_or_b32 exec_lo, exec_lo, s2
.LBB7_80:
	s_delay_alu instid0(SALU_CYCLE_1)
	s_or_b32 exec_lo, exec_lo, s1
	global_load_b64 v[12:13], v5, s[6:7]
	s_mov_b32 s1, exec_lo
	s_wait_loadcnt 0x0
	v_cmpx_neq_f64_e32 0, v[12:13]
	s_cbranch_execz .LBB7_88
; %bb.81:
	v_mov_b64_e32 v[8:9], 0x7ff8000000000000
	s_mov_b32 s2, exec_lo
	v_cmpx_ngt_f64_e32 0, v[12:13]
	s_cbranch_execz .LBB7_87
; %bb.82:
                                        ; implicit-def: $vgpr8_vgpr9
	s_mov_b32 s0, exec_lo
	v_cmpx_ge_f64_e32 2.0, v[12:13]
	s_xor_b32 s3, exec_lo, s0
	s_cbranch_execz .LBB7_84
; %bb.83:
	v_fma_f64 v[8:9], v[12:13], 0.5, -2.0
	s_mov_b64 s[8:9], 0xbc545cb72134d0ef
	v_mul_f64_e32 v[18:19], 0.5, v[12:13]
	s_delay_alu instid0(VALU_DEP_2) | instskip(SKIP_1) | instid1(VALU_DEP_2)
	v_fmaak_f64 v[14:15], s[8:9], v[8:9], 0x3c833362977da589
	s_mov_b64 s[8:9], 0x3fe5555555555555
	v_frexp_mant_f64_e32 v[20:21], v[18:19]
	v_cmp_neq_f64_e64 s0, 0, v[18:19]
	s_delay_alu instid0(VALU_DEP_3) | instskip(NEXT) | instid1(VALU_DEP_1)
	v_fmaak_f64 v[16:17], v[8:9], v[14:15], 0x3c545cb72134d0ef
	v_add_f64_e32 v[16:17], 0xbcb184eb721ebbb4, v[16:17]
	s_delay_alu instid0(VALU_DEP_4) | instskip(SKIP_1) | instid1(VALU_DEP_2)
	v_cmp_gt_f64_e32 vcc_lo, s[8:9], v[20:21]
	s_mov_b64 s[8:9], 0x3fc3ab76bf559e2b
	v_fma_f64 v[14:15], v[8:9], v[16:17], -v[14:15]
	v_cndmask_b32_e64 v3, 0, 1, vcc_lo
	s_delay_alu instid0(VALU_DEP_1) | instskip(SKIP_1) | instid1(VALU_DEP_4)
	v_ldexp_f64 v[20:21], v[20:21], v3
	v_frexp_exp_i32_f64_e32 v3, v[18:19]
	v_add_f64_e32 v[14:15], 0x3cdee6d893f65eba, v[14:15]
	s_delay_alu instid0(VALU_DEP_3) | instskip(SKIP_1) | instid1(VALU_DEP_4)
	v_add_f64_e32 v[22:23], 1.0, v[20:21]
	v_add_f64_e32 v[28:29], -1.0, v[20:21]
	v_subrev_co_ci_u32_e64 v3, null, 0, v3, vcc_lo
	v_cmp_neq_f64_e32 vcc_lo, 0x7ff00000, v[18:19]
	v_fma_f64 v[16:17], v[8:9], v[14:15], -v[16:17]
	v_rcp_f64_e32 v[24:25], v[22:23]
	v_add_f64_e32 v[30:31], -1.0, v[22:23]
	s_delay_alu instid0(VALU_DEP_2) | instskip(NEXT) | instid1(VALU_DEP_2)
	v_add_f64_e32 v[16:17], 0xbd0a5022c297fbeb, v[16:17]
	v_add_f64_e64 v[20:21], v[20:21], -v[30:31]
	s_delay_alu instid0(TRANS32_DEP_1) | instskip(NEXT) | instid1(VALU_DEP_3)
	v_fma_f64 v[26:27], -v[22:23], v[24:25], 1.0
	v_fma_f64 v[14:15], v[8:9], v[16:17], -v[14:15]
	s_delay_alu instid0(VALU_DEP_2) | instskip(NEXT) | instid1(VALU_DEP_2)
	v_fmac_f64_e32 v[24:25], v[26:27], v[24:25]
	v_add_f64_e32 v[14:15], 0x3d359b464b262627, v[14:15]
	s_delay_alu instid0(VALU_DEP_2) | instskip(NEXT) | instid1(VALU_DEP_2)
	v_fma_f64 v[26:27], -v[22:23], v[24:25], 1.0
	v_fma_f64 v[16:17], v[8:9], v[14:15], -v[16:17]
	s_delay_alu instid0(VALU_DEP_2) | instskip(NEXT) | instid1(VALU_DEP_2)
	v_fmac_f64_e32 v[24:25], v[26:27], v[24:25]
	v_add_f64_e32 v[16:17], 0xbd61164c62ee1af0, v[16:17]
	s_delay_alu instid0(VALU_DEP_2) | instskip(NEXT) | instid1(VALU_DEP_2)
	v_mul_f64_e32 v[26:27], v[28:29], v[24:25]
	v_fma_f64 v[14:15], v[8:9], v[16:17], -v[14:15]
	s_delay_alu instid0(VALU_DEP_2) | instskip(NEXT) | instid1(VALU_DEP_2)
	v_mul_f64_e32 v[32:33], v[22:23], v[26:27]
	v_add_f64_e32 v[14:15], 0x3d89fe2fe19bd324, v[14:15]
	s_delay_alu instid0(VALU_DEP_2) | instskip(NEXT) | instid1(VALU_DEP_2)
	v_fma_f64 v[22:23], v[26:27], v[22:23], -v[32:33]
	v_fma_f64 v[16:17], v[8:9], v[14:15], -v[16:17]
	s_delay_alu instid0(VALU_DEP_2) | instskip(NEXT) | instid1(VALU_DEP_2)
	v_fmac_f64_e32 v[22:23], v[26:27], v[20:21]
	v_add_f64_e32 v[16:17], 0xbdb2fc957a946abc, v[16:17]
	s_delay_alu instid0(VALU_DEP_2) | instskip(NEXT) | instid1(VALU_DEP_2)
	v_add_f64_e32 v[20:21], v[32:33], v[22:23]
	v_fma_f64 v[14:15], v[8:9], v[16:17], -v[14:15]
	s_delay_alu instid0(VALU_DEP_2) | instskip(NEXT) | instid1(VALU_DEP_2)
	v_add_f64_e64 v[30:31], v[28:29], -v[20:21]
	v_add_f64_e32 v[14:15], 0x3dda98becc743c10, v[14:15]
	v_add_f64_e64 v[32:33], v[20:21], -v[32:33]
	s_delay_alu instid0(VALU_DEP_3) | instskip(NEXT) | instid1(VALU_DEP_3)
	v_add_f64_e64 v[28:29], v[28:29], -v[30:31]
	v_fma_f64 v[16:17], v[8:9], v[14:15], -v[16:17]
	s_delay_alu instid0(VALU_DEP_3) | instskip(SKIP_1) | instid1(VALU_DEP_4)
	v_add_f64_e64 v[22:23], v[32:33], -v[22:23]
	v_cvt_f64_i32_e32 v[32:33], v3
	v_add_f64_e64 v[20:21], v[28:29], -v[20:21]
	s_delay_alu instid0(VALU_DEP_4) | instskip(NEXT) | instid1(VALU_DEP_3)
	v_add_f64_e32 v[16:17], 0xbe01d4fe13ae9556, v[16:17]
	v_mul_f64_e32 v[34:35], 0x3fe62e42fefa39ef, v[32:33]
	s_delay_alu instid0(VALU_DEP_3) | instskip(NEXT) | instid1(VALU_DEP_3)
	v_add_f64_e32 v[20:21], v[22:23], v[20:21]
	v_fma_f64 v[14:15], v[8:9], v[16:17], -v[14:15]
	s_delay_alu instid0(VALU_DEP_2) | instskip(NEXT) | instid1(VALU_DEP_2)
	v_add_f64_e32 v[20:21], v[30:31], v[20:21]
	v_add_f64_e32 v[14:15], 0x3e26d903a454cb34, v[14:15]
	s_delay_alu instid0(VALU_DEP_2) | instskip(NEXT) | instid1(VALU_DEP_2)
	v_mul_f64_e32 v[20:21], v[24:25], v[20:21]
	v_fma_f64 v[16:17], v[8:9], v[14:15], -v[16:17]
	s_delay_alu instid0(VALU_DEP_2) | instskip(NEXT) | instid1(VALU_DEP_2)
	v_add_f64_e32 v[22:23], v[26:27], v[20:21]
	v_add_f64_e32 v[16:17], 0xbe4beaf68c0b30ab, v[16:17]
	s_delay_alu instid0(VALU_DEP_2) | instskip(NEXT) | instid1(VALU_DEP_2)
	v_mul_f64_e32 v[24:25], v[22:23], v[22:23]
	v_fma_f64 v[14:15], v[8:9], v[16:17], -v[14:15]
	s_delay_alu instid0(VALU_DEP_2) | instskip(NEXT) | instid1(VALU_DEP_2)
	v_fmaak_f64 v[28:29], s[8:9], v[24:25], 0x3fc385386b47b09a
	v_add_f64_e32 v[14:15], 0x3e703b769d4d6435, v[14:15]
	v_mul_f64_e32 v[30:31], v[22:23], v[24:25]
	s_mov_b64 s[8:9], 0x3ca3cee1e6a7fd77
	s_delay_alu instid0(VALU_DEP_3) | instskip(NEXT) | instid1(VALU_DEP_1)
	v_fmaak_f64 v[28:29], v[24:25], v[28:29], 0x3fc7474dd7f4df2e
	v_fmaak_f64 v[28:29], v[24:25], v[28:29], 0x3fcc71c016291751
	s_delay_alu instid0(VALU_DEP_1) | instskip(NEXT) | instid1(VALU_DEP_1)
	v_fmaak_f64 v[28:29], v[24:25], v[28:29], 0x3fd249249b27acf1
	v_fmaak_f64 v[28:29], v[24:25], v[28:29], 0x3fd99999998ef7b6
	v_fma_f64 v[16:17], v[8:9], v[14:15], -v[16:17]
	s_delay_alu instid0(VALU_DEP_2) | instskip(SKIP_2) | instid1(VALU_DEP_3)
	v_fmaak_f64 v[24:25], v[24:25], v[28:29], 0x3fe5555555555780
	v_ldexp_f64 v[28:29], v[22:23], 1
	v_add_f64_e64 v[22:23], v[22:23], -v[26:27]
	v_mul_f64_e32 v[24:25], v[30:31], v[24:25]
	v_fma_f64 v[30:31], v[12:13], v[12:13], -2.0
	v_add_f64_e32 v[16:17], 0xbe91ec638f227f8d, v[16:17]
	s_delay_alu instid0(VALU_DEP_4) | instskip(NEXT) | instid1(VALU_DEP_4)
	v_add_f64_e64 v[20:21], v[20:21], -v[22:23]
	v_add_f64_e32 v[26:27], v[28:29], v[24:25]
	s_delay_alu instid0(VALU_DEP_3) | instskip(NEXT) | instid1(VALU_DEP_3)
	v_fma_f64 v[14:15], v[8:9], v[16:17], -v[14:15]
	v_ldexp_f64 v[20:21], v[20:21], 1
	s_delay_alu instid0(VALU_DEP_3) | instskip(SKIP_2) | instid1(VALU_DEP_1)
	v_add_f64_e64 v[22:23], v[26:27], -v[28:29]
	v_fmaak_f64 v[28:29], s[8:9], v[30:31], 0x3d27fb0ac384c2aa
	s_mov_b64 s[8:9], 0x3fe62e42fefa39ef
	v_fmaak_f64 v[36:37], v[30:31], v[28:29], 0xbca3cee1e6a7fd77
	v_add_f64_e32 v[14:15], 0x3eb2bf24978cf4ac, v[14:15]
	s_delay_alu instid0(VALU_DEP_4) | instskip(NEXT) | instid1(VALU_DEP_3)
	v_add_f64_e64 v[22:23], v[24:25], -v[22:23]
	v_add_f64_e32 v[24:25], 0x3da6c25c47512144, v[36:37]
	v_fma_f64 v[36:37], v[32:33], s[8:9], -v[34:35]
	s_mov_b64 s[8:9], 0x3e5ade156a5dcb37
	s_delay_alu instid0(VALU_DEP_4) | instskip(NEXT) | instid1(VALU_DEP_4)
	v_fma_f64 v[16:17], v[8:9], v[14:15], -v[16:17]
	v_add_f64_e32 v[20:21], v[20:21], v[22:23]
	s_delay_alu instid0(VALU_DEP_4) | instskip(NEXT) | instid1(VALU_DEP_4)
	v_fma_f64 v[22:23], v[30:31], v[24:25], -v[28:29]
	v_fmamk_f64 v[28:29], v[32:33], 0x3c7abc9e3b39803f, v[36:37]
	s_delay_alu instid0(VALU_DEP_1) | instskip(SKIP_3) | instid1(VALU_DEP_4)
	v_add_f64_e32 v[36:37], v[34:35], v[28:29]
	v_add_f64_e32 v[16:17], 0xbed2866fcba56427, v[16:17]
	;; [unrolled: 1-line block ×4, first 2 shown]
	v_add_f64_e64 v[34:35], v[36:37], -v[34:35]
	s_delay_alu instid0(VALU_DEP_4) | instskip(NEXT) | instid1(VALU_DEP_4)
	v_fma_f64 v[14:15], v[8:9], v[16:17], -v[14:15]
	v_add_f64_e32 v[38:39], v[36:37], v[32:33]
	s_delay_alu instid0(VALU_DEP_4) | instskip(SKIP_1) | instid1(VALU_DEP_4)
	v_fma_f64 v[24:25], v[30:31], v[22:23], -v[24:25]
	v_add_f64_e64 v[26:27], v[32:33], -v[26:27]
	v_add_f64_e32 v[14:15], 0x3ef13f58be9a2859, v[14:15]
	s_delay_alu instid0(VALU_DEP_4) | instskip(NEXT) | instid1(VALU_DEP_4)
	v_add_f64_e64 v[40:41], v[38:39], -v[36:37]
	v_add_f64_e32 v[24:25], 0x3e9102bce7f95efc, v[24:25]
	s_delay_alu instid0(VALU_DEP_4)
	v_add_f64_e64 v[20:21], v[20:21], -v[26:27]
	v_add_f64_e64 v[26:27], v[28:29], -v[34:35]
	v_mul_f64_e32 v[34:35], 0x3ff71547652b82fe, v[12:13]
	v_fma_f64 v[16:17], v[8:9], v[14:15], -v[16:17]
	v_add_f64_e64 v[42:43], v[38:39], -v[40:41]
	v_fma_f64 v[22:23], v[30:31], v[24:25], -v[22:23]
	v_add_f64_e64 v[32:33], v[32:33], -v[40:41]
	s_delay_alu instid0(VALU_DEP_4) | instskip(NEXT) | instid1(VALU_DEP_4)
	v_add_f64_e32 v[16:17], 0xbf0e2b2659c41d5a, v[16:17]
	v_add_f64_e64 v[28:29], v[36:37], -v[42:43]
	s_delay_alu instid0(VALU_DEP_4) | instskip(SKIP_1) | instid1(VALU_DEP_4)
	v_add_f64_e32 v[22:23], 0x3ef7f900fe8cfca0, v[22:23]
	v_add_f64_e32 v[36:37], v[26:27], v[20:21]
	v_fma_f64 v[14:15], v[8:9], v[16:17], -v[14:15]
	s_delay_alu instid0(VALU_DEP_4) | instskip(NEXT) | instid1(VALU_DEP_4)
	v_add_f64_e32 v[28:29], v[32:33], v[28:29]
	v_fma_f64 v[24:25], v[30:31], v[22:23], -v[24:25]
	v_rndne_f64_e32 v[32:33], v[34:35]
	v_add_f64_e64 v[34:35], v[36:37], -v[26:27]
	v_add_f64_e32 v[14:15], 0x3f28b51b74107cab, v[14:15]
	v_add_f64_e32 v[28:29], v[36:37], v[28:29]
	;; [unrolled: 1-line block ×3, first 2 shown]
	v_fmamk_f64 v[12:13], v[32:33], 0xbfe62e42fefa39ef, v[12:13]
	v_add_f64_e64 v[36:37], v[36:37], -v[34:35]
	v_add_f64_e64 v[20:21], v[20:21], -v[34:35]
	v_cvt_i32_f64_e32 v3, v[32:33]
	s_delay_alu instid0(VALU_DEP_4) | instskip(NEXT) | instid1(VALU_DEP_1)
	v_fmamk_f64 v[12:13], v[32:33], 0xbc7abc9e3b39803f, v[12:13]
	v_fmaak_f64 v[42:43], s[8:9], v[12:13], 0x3e928af3fca7ab0c
	s_delay_alu instid0(VALU_DEP_1) | instskip(SKIP_1) | instid1(VALU_DEP_2)
	v_fmaak_f64 v[42:43], v[12:13], v[42:43], 0x3ec71dee623fde64
	v_fma_f64 v[16:17], v[8:9], v[14:15], -v[16:17]
	v_fmaak_f64 v[42:43], v[12:13], v[42:43], 0x3efa01997c89e6b0
	v_add_f64_e32 v[40:41], v[38:39], v[28:29]
	v_fma_f64 v[22:23], v[30:31], v[24:25], -v[22:23]
	v_add_f64_e64 v[26:27], v[26:27], -v[36:37]
	s_delay_alu instid0(VALU_DEP_4) | instskip(NEXT) | instid1(VALU_DEP_1)
	v_fmaak_f64 v[42:43], v[12:13], v[42:43], 0x3f2a01a014761f6e
	v_fmaak_f64 v[36:37], v[12:13], v[42:43], 0x3f56c16c1852b7b0
	v_add_f64_e32 v[16:17], 0xbf42e2fd1f15eb52, v[16:17]
	v_add_f64_e64 v[34:35], v[40:41], -v[38:39]
	v_add_f64_e32 v[22:23], 0x3fa26bf6554a9085, v[22:23]
	v_add_f64_e32 v[20:21], v[20:21], v[26:27]
	s_delay_alu instid0(VALU_DEP_4) | instskip(NEXT) | instid1(VALU_DEP_4)
	v_fma_f64 v[14:15], v[8:9], v[16:17], -v[14:15]
	v_add_f64_e64 v[26:27], v[28:29], -v[34:35]
	s_delay_alu instid0(VALU_DEP_4) | instskip(NEXT) | instid1(VALU_DEP_3)
	v_fma_f64 v[24:25], v[30:31], v[22:23], -v[24:25]
	v_add_f64_e32 v[14:15], 0x3f5adc758a12100e, v[14:15]
	s_delay_alu instid0(VALU_DEP_3) | instskip(NEXT) | instid1(VALU_DEP_3)
	v_add_f64_e32 v[20:21], v[20:21], v[26:27]
	v_add_f64_e32 v[24:25], 0x3fd608d881213db9, v[24:25]
	s_delay_alu instid0(VALU_DEP_3) | instskip(NEXT) | instid1(VALU_DEP_1)
	v_fma_f64 v[16:17], v[8:9], v[14:15], -v[16:17]
	v_add_f64_e32 v[16:17], 0xbf71b65e201aa849, v[16:17]
	s_delay_alu instid0(VALU_DEP_1) | instskip(NEXT) | instid1(VALU_DEP_1)
	v_fma_f64 v[14:15], v[8:9], v[16:17], -v[14:15]
	v_add_f64_e32 v[14:15], 0x3f859961f3dde3dd, v[14:15]
	s_delay_alu instid0(VALU_DEP_1) | instskip(NEXT) | instid1(VALU_DEP_1)
	;; [unrolled: 3-line block ×6, first 2 shown]
	v_fma_f64 v[16:17], v[8:9], v[14:15], -v[16:17]
	v_add_f64_e32 v[16:17], 0xbfd37febc057cd8d, v[16:17]
	s_delay_alu instid0(VALU_DEP_1) | instskip(SKIP_1) | instid1(VALU_DEP_1)
	v_fma_f64 v[8:9], v[8:9], v[16:17], -v[14:15]
	v_fmaak_f64 v[16:17], v[12:13], v[36:37], 0x3f81111111122322
	v_fmaak_f64 v[16:17], v[12:13], v[16:17], 0x3fa55555555502a1
	s_delay_alu instid0(VALU_DEP_1) | instskip(NEXT) | instid1(VALU_DEP_1)
	v_fmaak_f64 v[16:17], v[12:13], v[16:17], 0x3fc5555555555511
	v_fmaak_f64 v[16:17], v[12:13], v[16:17], 0x3fe000000000000b
	s_delay_alu instid0(VALU_DEP_1) | instskip(SKIP_1) | instid1(VALU_DEP_2)
	v_fma_f64 v[16:17], v[12:13], v[16:17], 1.0
	v_add_f64_e32 v[8:9], 0x3fe5a84e9035a22a, v[8:9]
	v_fma_f64 v[12:13], v[12:13], v[16:17], 1.0
	v_fma_f64 v[16:17], v[30:31], v[24:25], -v[22:23]
	s_delay_alu instid0(VALU_DEP_3) | instskip(SKIP_1) | instid1(VALU_DEP_4)
	v_add_f64_e64 v[8:9], v[8:9], -v[14:15]
	v_add_f64_e32 v[14:15], v[40:41], v[20:21]
	v_ldexp_f64 v[12:13], v[12:13], v3
	s_delay_alu instid0(VALU_DEP_4) | instskip(NEXT) | instid1(VALU_DEP_4)
	v_add_f64_e32 v[16:17], 0xbfe12166e9d2f61f, v[16:17]
	v_mul_f64_e32 v[8:9], 0.5, v[8:9]
	s_delay_alu instid0(VALU_DEP_4) | instskip(SKIP_2) | instid1(VALU_DEP_2)
	v_cndmask_b32_e32 v3, 0x7ff00000, v15, vcc_lo
	s_and_b32 vcc_lo, s0, vcc_lo
	v_cndmask_b32_e32 v14, 0, v14, vcc_lo
	v_cndmask_b32_e64 v15, 0xfff00000, v3, s0
	v_add_f64_e64 v[16:17], v[16:17], -v[22:23]
	v_mul_f64_e32 v[8:9], v[12:13], v[8:9]
	s_delay_alu instid0(VALU_DEP_1) | instskip(NEXT) | instid1(VALU_DEP_1)
	v_mul_f64_e32 v[8:9], v[14:15], v[8:9]
	v_fma_f64 v[8:9], v[16:17], 0.5, -v[8:9]
	s_delay_alu instid0(VALU_DEP_1)
	v_mul_f64_e32 v[8:9], v[12:13], v[8:9]
                                        ; implicit-def: $vgpr12_vgpr13
.LBB7_84:
	s_and_not1_saveexec_b32 s0, s3
	s_cbranch_execz .LBB7_86
; %bb.85:
	v_div_scale_f64 v[8:9], null, v[12:13], v[12:13], 0x40200000
	v_div_scale_f64 v[18:19], vcc_lo, 0x40200000, v[12:13], 0x40200000
	s_mov_b64 s[8:9], 0x3c5871a5cf8c9ee1
	v_rcp_f64_e32 v[14:15], v[8:9]
	v_nop
	s_delay_alu instid0(TRANS32_DEP_1) | instskip(NEXT) | instid1(VALU_DEP_1)
	v_fma_f64 v[16:17], -v[8:9], v[14:15], 1.0
	v_fmac_f64_e32 v[14:15], v[14:15], v[16:17]
	s_delay_alu instid0(VALU_DEP_1) | instskip(NEXT) | instid1(VALU_DEP_1)
	v_fma_f64 v[16:17], -v[8:9], v[14:15], 1.0
	v_fmac_f64_e32 v[14:15], v[14:15], v[16:17]
	s_delay_alu instid0(VALU_DEP_1) | instskip(NEXT) | instid1(VALU_DEP_1)
	v_mul_f64_e32 v[16:17], v[18:19], v[14:15]
	v_fma_f64 v[8:9], -v[8:9], v[16:17], v[18:19]
	s_delay_alu instid0(VALU_DEP_1) | instskip(SKIP_1) | instid1(VALU_DEP_2)
	v_div_fmas_f64 v[8:9], v[8:9], v[14:15], v[16:17]
	v_cmp_gt_f64_e32 vcc_lo, 0x10000000, v[12:13]
	v_div_fixup_f64 v[8:9], v[8:9], v[12:13], 0x40200000
	v_cndmask_b32_e64 v3, 0, 0x100, vcc_lo
	s_delay_alu instid0(VALU_DEP_1) | instskip(SKIP_1) | instid1(VALU_DEP_4)
	v_ldexp_f64 v[12:13], v[12:13], v3
	v_cndmask_b32_e64 v3, 0, 0xffffff80, vcc_lo
	v_add_f64_e32 v[8:9], -2.0, v[8:9]
	s_delay_alu instid0(VALU_DEP_3) | instskip(SKIP_1) | instid1(VALU_DEP_2)
	v_cmp_class_f64_e64 vcc_lo, v[12:13], 0x260
	v_rsq_f64_e32 v[18:19], v[12:13]
	v_fmaak_f64 v[14:15], s[8:9], v[8:9], 0xbc72fecc93812603
	s_delay_alu instid0(VALU_DEP_1) | instskip(NEXT) | instid1(TRANS32_DEP_1)
	v_fmaak_f64 v[16:17], v[8:9], v[14:15], 0xbc5871a5cf8c9ee1
	v_mul_f64_e32 v[20:21], v[12:13], v[18:19]
	s_delay_alu instid0(VALU_DEP_2) | instskip(SKIP_1) | instid1(VALU_DEP_2)
	v_add_f64_e32 v[16:17], 0x3c8e092e41a8cdf4, v[16:17]
	v_mul_f64_e32 v[18:19], 0.5, v[18:19]
	v_fma_f64 v[14:15], v[8:9], v[16:17], -v[14:15]
	s_delay_alu instid0(VALU_DEP_2) | instskip(NEXT) | instid1(VALU_DEP_2)
	v_fma_f64 v[22:23], -v[18:19], v[20:21], 0.5
	v_add_f64_e32 v[14:15], 0xbca82f9474d77641, v[14:15]
	s_delay_alu instid0(VALU_DEP_2) | instskip(SKIP_1) | instid1(VALU_DEP_3)
	v_fmac_f64_e32 v[20:21], v[20:21], v[22:23]
	v_fmac_f64_e32 v[18:19], v[18:19], v[22:23]
	v_fma_f64 v[16:17], v[8:9], v[14:15], -v[16:17]
	s_delay_alu instid0(VALU_DEP_3) | instskip(NEXT) | instid1(VALU_DEP_2)
	v_fma_f64 v[22:23], -v[20:21], v[20:21], v[12:13]
	v_add_f64_e32 v[16:17], 0x3cc3dbf96b94785b, v[16:17]
	s_delay_alu instid0(VALU_DEP_2) | instskip(NEXT) | instid1(VALU_DEP_2)
	v_fmac_f64_e32 v[20:21], v[22:23], v[18:19]
	v_fma_f64 v[14:15], v[8:9], v[16:17], -v[14:15]
	s_delay_alu instid0(VALU_DEP_1) | instskip(NEXT) | instid1(VALU_DEP_1)
	v_add_f64_e32 v[14:15], 0xbce0a690ecfadd36, v[14:15]
	v_fma_f64 v[16:17], v[8:9], v[14:15], -v[16:17]
	s_delay_alu instid0(VALU_DEP_1) | instskip(NEXT) | instid1(VALU_DEP_1)
	v_add_f64_e32 v[16:17], 0x3cfc8d9c4a7ddc98, v[16:17]
	;; [unrolled: 3-line block ×19, first 2 shown]
	v_fma_f64 v[8:9], v[8:9], v[14:15], -v[16:17]
	v_fma_f64 v[14:15], -v[20:21], v[20:21], v[12:13]
	s_delay_alu instid0(VALU_DEP_2) | instskip(NEXT) | instid1(VALU_DEP_2)
	v_add_f64_e32 v[8:9], 0x400385bd9f4e6907, v[8:9]
	v_fmac_f64_e32 v[20:21], v[14:15], v[18:19]
	s_delay_alu instid0(VALU_DEP_2) | instskip(NEXT) | instid1(VALU_DEP_2)
	v_add_f64_e64 v[8:9], v[8:9], -v[16:17]
	v_ldexp_f64 v[14:15], v[20:21], v3
	s_delay_alu instid0(VALU_DEP_2) | instskip(NEXT) | instid1(VALU_DEP_2)
	v_mul_f64_e32 v[8:9], 0.5, v[8:9]
	v_dual_cndmask_b32 v13, v15, v13 :: v_dual_cndmask_b32 v12, v14, v12
	s_delay_alu instid0(VALU_DEP_1) | instskip(NEXT) | instid1(VALU_DEP_1)
	v_div_scale_f64 v[14:15], null, v[12:13], v[12:13], v[8:9]
	v_rcp_f64_e32 v[16:17], v[14:15]
	v_nop
	s_delay_alu instid0(TRANS32_DEP_1) | instskip(NEXT) | instid1(VALU_DEP_1)
	v_fma_f64 v[18:19], -v[14:15], v[16:17], 1.0
	v_fmac_f64_e32 v[16:17], v[16:17], v[18:19]
	s_delay_alu instid0(VALU_DEP_1) | instskip(NEXT) | instid1(VALU_DEP_1)
	v_fma_f64 v[18:19], -v[14:15], v[16:17], 1.0
	v_fmac_f64_e32 v[16:17], v[16:17], v[18:19]
	v_div_scale_f64 v[18:19], vcc_lo, v[8:9], v[12:13], v[8:9]
	s_delay_alu instid0(VALU_DEP_1) | instskip(NEXT) | instid1(VALU_DEP_1)
	v_mul_f64_e32 v[20:21], v[18:19], v[16:17]
	v_fma_f64 v[14:15], -v[14:15], v[20:21], v[18:19]
	s_delay_alu instid0(VALU_DEP_1) | instskip(NEXT) | instid1(VALU_DEP_1)
	v_div_fmas_f64 v[14:15], v[14:15], v[16:17], v[20:21]
	v_div_fixup_f64 v[8:9], v[14:15], v[12:13], v[8:9]
.LBB7_86:
	s_or_b32 exec_lo, exec_lo, s0
.LBB7_87:
	s_delay_alu instid0(SALU_CYCLE_1)
	s_or_b32 exec_lo, exec_lo, s2
.LBB7_88:
	s_delay_alu instid0(SALU_CYCLE_1)
	s_or_b32 exec_lo, exec_lo, s1
	global_load_b64 v[16:17], v1, s[6:7]
	v_mov_b64_e32 v[12:13], 0x7ff0000000000000
	v_mov_b64_e32 v[14:15], 0x7ff0000000000000
	s_mov_b32 s1, exec_lo
	s_wait_loadcnt 0x0
	v_cmpx_neq_f64_e32 0, v[16:17]
	s_cbranch_execz .LBB7_96
; %bb.89:
	v_mov_b64_e32 v[14:15], 0x7ff8000000000000
	s_mov_b32 s2, exec_lo
	v_cmpx_ngt_f64_e32 0, v[16:17]
	s_cbranch_execz .LBB7_95
; %bb.90:
                                        ; implicit-def: $vgpr14_vgpr15
	s_mov_b32 s0, exec_lo
	v_cmpx_ge_f64_e32 2.0, v[16:17]
	s_xor_b32 s3, exec_lo, s0
	s_cbranch_execz .LBB7_92
; %bb.91:
	v_fma_f64 v[14:15], v[16:17], 0.5, -2.0
	s_mov_b64 s[8:9], 0xbc545cb72134d0ef
	v_mul_f64_e32 v[22:23], 0.5, v[16:17]
	s_delay_alu instid0(VALU_DEP_2) | instskip(SKIP_1) | instid1(VALU_DEP_2)
	v_fmaak_f64 v[18:19], s[8:9], v[14:15], 0x3c833362977da589
	s_mov_b64 s[8:9], 0x3fe5555555555555
	v_frexp_mant_f64_e32 v[24:25], v[22:23]
	v_cmp_neq_f64_e64 s0, 0, v[22:23]
	s_delay_alu instid0(VALU_DEP_3) | instskip(NEXT) | instid1(VALU_DEP_1)
	v_fmaak_f64 v[20:21], v[14:15], v[18:19], 0x3c545cb72134d0ef
	v_add_f64_e32 v[20:21], 0xbcb184eb721ebbb4, v[20:21]
	s_delay_alu instid0(VALU_DEP_4) | instskip(SKIP_1) | instid1(VALU_DEP_2)
	v_cmp_gt_f64_e32 vcc_lo, s[8:9], v[24:25]
	s_mov_b64 s[8:9], 0x3fc3ab76bf559e2b
	v_fma_f64 v[18:19], v[14:15], v[20:21], -v[18:19]
	v_cndmask_b32_e64 v1, 0, 1, vcc_lo
	s_delay_alu instid0(VALU_DEP_1) | instskip(SKIP_1) | instid1(VALU_DEP_4)
	v_ldexp_f64 v[24:25], v[24:25], v1
	v_frexp_exp_i32_f64_e32 v1, v[22:23]
	v_add_f64_e32 v[18:19], 0x3cdee6d893f65eba, v[18:19]
	s_delay_alu instid0(VALU_DEP_3) | instskip(SKIP_1) | instid1(VALU_DEP_4)
	v_add_f64_e32 v[26:27], 1.0, v[24:25]
	v_add_f64_e32 v[32:33], -1.0, v[24:25]
	v_subrev_co_ci_u32_e64 v1, null, 0, v1, vcc_lo
	v_cmp_neq_f64_e32 vcc_lo, 0x7ff00000, v[22:23]
	v_fma_f64 v[20:21], v[14:15], v[18:19], -v[20:21]
	v_rcp_f64_e32 v[28:29], v[26:27]
	v_add_f64_e32 v[34:35], -1.0, v[26:27]
	s_delay_alu instid0(VALU_DEP_2) | instskip(NEXT) | instid1(VALU_DEP_2)
	v_add_f64_e32 v[20:21], 0xbd0a5022c297fbeb, v[20:21]
	v_add_f64_e64 v[24:25], v[24:25], -v[34:35]
	s_delay_alu instid0(TRANS32_DEP_1) | instskip(NEXT) | instid1(VALU_DEP_3)
	v_fma_f64 v[30:31], -v[26:27], v[28:29], 1.0
	v_fma_f64 v[18:19], v[14:15], v[20:21], -v[18:19]
	s_delay_alu instid0(VALU_DEP_2) | instskip(NEXT) | instid1(VALU_DEP_2)
	v_fmac_f64_e32 v[28:29], v[30:31], v[28:29]
	v_add_f64_e32 v[18:19], 0x3d359b464b262627, v[18:19]
	s_delay_alu instid0(VALU_DEP_2) | instskip(NEXT) | instid1(VALU_DEP_2)
	v_fma_f64 v[30:31], -v[26:27], v[28:29], 1.0
	v_fma_f64 v[20:21], v[14:15], v[18:19], -v[20:21]
	s_delay_alu instid0(VALU_DEP_2) | instskip(NEXT) | instid1(VALU_DEP_2)
	v_fmac_f64_e32 v[28:29], v[30:31], v[28:29]
	v_add_f64_e32 v[20:21], 0xbd61164c62ee1af0, v[20:21]
	s_delay_alu instid0(VALU_DEP_2) | instskip(NEXT) | instid1(VALU_DEP_2)
	v_mul_f64_e32 v[30:31], v[32:33], v[28:29]
	v_fma_f64 v[18:19], v[14:15], v[20:21], -v[18:19]
	s_delay_alu instid0(VALU_DEP_2) | instskip(NEXT) | instid1(VALU_DEP_2)
	v_mul_f64_e32 v[36:37], v[26:27], v[30:31]
	v_add_f64_e32 v[18:19], 0x3d89fe2fe19bd324, v[18:19]
	s_delay_alu instid0(VALU_DEP_2) | instskip(NEXT) | instid1(VALU_DEP_2)
	v_fma_f64 v[26:27], v[30:31], v[26:27], -v[36:37]
	v_fma_f64 v[20:21], v[14:15], v[18:19], -v[20:21]
	s_delay_alu instid0(VALU_DEP_2) | instskip(NEXT) | instid1(VALU_DEP_2)
	v_fmac_f64_e32 v[26:27], v[30:31], v[24:25]
	v_add_f64_e32 v[20:21], 0xbdb2fc957a946abc, v[20:21]
	s_delay_alu instid0(VALU_DEP_2) | instskip(NEXT) | instid1(VALU_DEP_2)
	v_add_f64_e32 v[24:25], v[36:37], v[26:27]
	v_fma_f64 v[18:19], v[14:15], v[20:21], -v[18:19]
	s_delay_alu instid0(VALU_DEP_2) | instskip(NEXT) | instid1(VALU_DEP_2)
	v_add_f64_e64 v[34:35], v[32:33], -v[24:25]
	v_add_f64_e32 v[18:19], 0x3dda98becc743c10, v[18:19]
	v_add_f64_e64 v[36:37], v[24:25], -v[36:37]
	s_delay_alu instid0(VALU_DEP_3) | instskip(NEXT) | instid1(VALU_DEP_3)
	v_add_f64_e64 v[32:33], v[32:33], -v[34:35]
	v_fma_f64 v[20:21], v[14:15], v[18:19], -v[20:21]
	s_delay_alu instid0(VALU_DEP_3) | instskip(SKIP_1) | instid1(VALU_DEP_4)
	v_add_f64_e64 v[26:27], v[36:37], -v[26:27]
	v_cvt_f64_i32_e32 v[36:37], v1
	v_add_f64_e64 v[24:25], v[32:33], -v[24:25]
	s_delay_alu instid0(VALU_DEP_4) | instskip(NEXT) | instid1(VALU_DEP_3)
	v_add_f64_e32 v[20:21], 0xbe01d4fe13ae9556, v[20:21]
	v_mul_f64_e32 v[38:39], 0x3fe62e42fefa39ef, v[36:37]
	s_delay_alu instid0(VALU_DEP_3) | instskip(NEXT) | instid1(VALU_DEP_3)
	v_add_f64_e32 v[24:25], v[26:27], v[24:25]
	v_fma_f64 v[18:19], v[14:15], v[20:21], -v[18:19]
	s_delay_alu instid0(VALU_DEP_2) | instskip(NEXT) | instid1(VALU_DEP_2)
	v_add_f64_e32 v[24:25], v[34:35], v[24:25]
	v_add_f64_e32 v[18:19], 0x3e26d903a454cb34, v[18:19]
	s_delay_alu instid0(VALU_DEP_2) | instskip(NEXT) | instid1(VALU_DEP_2)
	v_mul_f64_e32 v[24:25], v[28:29], v[24:25]
	v_fma_f64 v[20:21], v[14:15], v[18:19], -v[20:21]
	s_delay_alu instid0(VALU_DEP_2) | instskip(NEXT) | instid1(VALU_DEP_2)
	v_add_f64_e32 v[26:27], v[30:31], v[24:25]
	v_add_f64_e32 v[20:21], 0xbe4beaf68c0b30ab, v[20:21]
	s_delay_alu instid0(VALU_DEP_2) | instskip(NEXT) | instid1(VALU_DEP_2)
	v_mul_f64_e32 v[28:29], v[26:27], v[26:27]
	v_fma_f64 v[18:19], v[14:15], v[20:21], -v[18:19]
	s_delay_alu instid0(VALU_DEP_2) | instskip(NEXT) | instid1(VALU_DEP_2)
	v_fmaak_f64 v[32:33], s[8:9], v[28:29], 0x3fc385386b47b09a
	v_add_f64_e32 v[18:19], 0x3e703b769d4d6435, v[18:19]
	v_mul_f64_e32 v[34:35], v[26:27], v[28:29]
	s_mov_b64 s[8:9], 0x3ca3cee1e6a7fd77
	s_delay_alu instid0(VALU_DEP_3) | instskip(NEXT) | instid1(VALU_DEP_1)
	v_fmaak_f64 v[32:33], v[28:29], v[32:33], 0x3fc7474dd7f4df2e
	v_fmaak_f64 v[32:33], v[28:29], v[32:33], 0x3fcc71c016291751
	s_delay_alu instid0(VALU_DEP_1) | instskip(NEXT) | instid1(VALU_DEP_1)
	v_fmaak_f64 v[32:33], v[28:29], v[32:33], 0x3fd249249b27acf1
	v_fmaak_f64 v[32:33], v[28:29], v[32:33], 0x3fd99999998ef7b6
	v_fma_f64 v[20:21], v[14:15], v[18:19], -v[20:21]
	s_delay_alu instid0(VALU_DEP_2) | instskip(SKIP_2) | instid1(VALU_DEP_3)
	v_fmaak_f64 v[28:29], v[28:29], v[32:33], 0x3fe5555555555780
	v_ldexp_f64 v[32:33], v[26:27], 1
	v_add_f64_e64 v[26:27], v[26:27], -v[30:31]
	v_mul_f64_e32 v[28:29], v[34:35], v[28:29]
	v_fma_f64 v[34:35], v[16:17], v[16:17], -2.0
	v_add_f64_e32 v[20:21], 0xbe91ec638f227f8d, v[20:21]
	s_delay_alu instid0(VALU_DEP_4) | instskip(NEXT) | instid1(VALU_DEP_4)
	v_add_f64_e64 v[24:25], v[24:25], -v[26:27]
	v_add_f64_e32 v[30:31], v[32:33], v[28:29]
	s_delay_alu instid0(VALU_DEP_3) | instskip(NEXT) | instid1(VALU_DEP_3)
	v_fma_f64 v[18:19], v[14:15], v[20:21], -v[18:19]
	v_ldexp_f64 v[24:25], v[24:25], 1
	s_delay_alu instid0(VALU_DEP_3) | instskip(SKIP_2) | instid1(VALU_DEP_1)
	v_add_f64_e64 v[26:27], v[30:31], -v[32:33]
	v_fmaak_f64 v[32:33], s[8:9], v[34:35], 0x3d27fb0ac384c2aa
	s_mov_b64 s[8:9], 0x3fe62e42fefa39ef
	v_fmaak_f64 v[40:41], v[34:35], v[32:33], 0xbca3cee1e6a7fd77
	v_add_f64_e32 v[18:19], 0x3eb2bf24978cf4ac, v[18:19]
	s_delay_alu instid0(VALU_DEP_4) | instskip(NEXT) | instid1(VALU_DEP_3)
	v_add_f64_e64 v[26:27], v[28:29], -v[26:27]
	v_add_f64_e32 v[28:29], 0x3da6c25c47512144, v[40:41]
	v_fma_f64 v[40:41], v[36:37], s[8:9], -v[38:39]
	s_mov_b64 s[8:9], 0x3e5ade156a5dcb37
	s_delay_alu instid0(VALU_DEP_4) | instskip(NEXT) | instid1(VALU_DEP_4)
	v_fma_f64 v[20:21], v[14:15], v[18:19], -v[20:21]
	v_add_f64_e32 v[24:25], v[24:25], v[26:27]
	s_delay_alu instid0(VALU_DEP_4) | instskip(NEXT) | instid1(VALU_DEP_4)
	v_fma_f64 v[26:27], v[34:35], v[28:29], -v[32:33]
	v_fmamk_f64 v[32:33], v[36:37], 0x3c7abc9e3b39803f, v[40:41]
	s_delay_alu instid0(VALU_DEP_1) | instskip(SKIP_3) | instid1(VALU_DEP_4)
	v_add_f64_e32 v[40:41], v[38:39], v[32:33]
	v_add_f64_e32 v[20:21], 0xbed2866fcba56427, v[20:21]
	;; [unrolled: 1-line block ×4, first 2 shown]
	v_add_f64_e64 v[38:39], v[40:41], -v[38:39]
	s_delay_alu instid0(VALU_DEP_4) | instskip(NEXT) | instid1(VALU_DEP_4)
	v_fma_f64 v[18:19], v[14:15], v[20:21], -v[18:19]
	v_add_f64_e32 v[42:43], v[40:41], v[36:37]
	s_delay_alu instid0(VALU_DEP_4) | instskip(SKIP_1) | instid1(VALU_DEP_4)
	v_fma_f64 v[28:29], v[34:35], v[26:27], -v[28:29]
	v_add_f64_e64 v[30:31], v[36:37], -v[30:31]
	v_add_f64_e32 v[18:19], 0x3ef13f58be9a2859, v[18:19]
	s_delay_alu instid0(VALU_DEP_4) | instskip(NEXT) | instid1(VALU_DEP_4)
	v_add_f64_e64 v[44:45], v[42:43], -v[40:41]
	v_add_f64_e32 v[28:29], 0x3e9102bce7f95efc, v[28:29]
	s_delay_alu instid0(VALU_DEP_4)
	v_add_f64_e64 v[24:25], v[24:25], -v[30:31]
	v_add_f64_e64 v[30:31], v[32:33], -v[38:39]
	v_mul_f64_e32 v[38:39], 0x3ff71547652b82fe, v[16:17]
	v_fma_f64 v[20:21], v[14:15], v[18:19], -v[20:21]
	v_add_f64_e64 v[46:47], v[42:43], -v[44:45]
	v_fma_f64 v[26:27], v[34:35], v[28:29], -v[26:27]
	v_add_f64_e64 v[36:37], v[36:37], -v[44:45]
	s_delay_alu instid0(VALU_DEP_4) | instskip(NEXT) | instid1(VALU_DEP_4)
	v_add_f64_e32 v[20:21], 0xbf0e2b2659c41d5a, v[20:21]
	v_add_f64_e64 v[32:33], v[40:41], -v[46:47]
	s_delay_alu instid0(VALU_DEP_4) | instskip(SKIP_1) | instid1(VALU_DEP_4)
	v_add_f64_e32 v[26:27], 0x3ef7f900fe8cfca0, v[26:27]
	v_add_f64_e32 v[40:41], v[30:31], v[24:25]
	v_fma_f64 v[18:19], v[14:15], v[20:21], -v[18:19]
	s_delay_alu instid0(VALU_DEP_4) | instskip(NEXT) | instid1(VALU_DEP_4)
	v_add_f64_e32 v[32:33], v[36:37], v[32:33]
	v_fma_f64 v[28:29], v[34:35], v[26:27], -v[28:29]
	v_rndne_f64_e32 v[36:37], v[38:39]
	v_add_f64_e64 v[38:39], v[40:41], -v[30:31]
	v_add_f64_e32 v[18:19], 0x3f28b51b74107cab, v[18:19]
	v_add_f64_e32 v[32:33], v[40:41], v[32:33]
	;; [unrolled: 1-line block ×3, first 2 shown]
	v_fmamk_f64 v[16:17], v[36:37], 0xbfe62e42fefa39ef, v[16:17]
	v_add_f64_e64 v[40:41], v[40:41], -v[38:39]
	v_add_f64_e64 v[24:25], v[24:25], -v[38:39]
	v_cvt_i32_f64_e32 v1, v[36:37]
	s_delay_alu instid0(VALU_DEP_4) | instskip(NEXT) | instid1(VALU_DEP_1)
	v_fmamk_f64 v[16:17], v[36:37], 0xbc7abc9e3b39803f, v[16:17]
	v_fmaak_f64 v[46:47], s[8:9], v[16:17], 0x3e928af3fca7ab0c
	s_delay_alu instid0(VALU_DEP_1) | instskip(SKIP_1) | instid1(VALU_DEP_2)
	v_fmaak_f64 v[46:47], v[16:17], v[46:47], 0x3ec71dee623fde64
	v_fma_f64 v[20:21], v[14:15], v[18:19], -v[20:21]
	v_fmaak_f64 v[46:47], v[16:17], v[46:47], 0x3efa01997c89e6b0
	v_add_f64_e32 v[44:45], v[42:43], v[32:33]
	v_fma_f64 v[26:27], v[34:35], v[28:29], -v[26:27]
	v_add_f64_e64 v[30:31], v[30:31], -v[40:41]
	s_delay_alu instid0(VALU_DEP_4) | instskip(NEXT) | instid1(VALU_DEP_1)
	v_fmaak_f64 v[46:47], v[16:17], v[46:47], 0x3f2a01a014761f6e
	v_fmaak_f64 v[40:41], v[16:17], v[46:47], 0x3f56c16c1852b7b0
	v_add_f64_e32 v[20:21], 0xbf42e2fd1f15eb52, v[20:21]
	v_add_f64_e64 v[38:39], v[44:45], -v[42:43]
	v_add_f64_e32 v[26:27], 0x3fa26bf6554a9085, v[26:27]
	v_add_f64_e32 v[24:25], v[24:25], v[30:31]
	s_delay_alu instid0(VALU_DEP_4) | instskip(NEXT) | instid1(VALU_DEP_4)
	v_fma_f64 v[18:19], v[14:15], v[20:21], -v[18:19]
	v_add_f64_e64 v[30:31], v[32:33], -v[38:39]
	s_delay_alu instid0(VALU_DEP_4) | instskip(NEXT) | instid1(VALU_DEP_3)
	v_fma_f64 v[28:29], v[34:35], v[26:27], -v[28:29]
	v_add_f64_e32 v[18:19], 0x3f5adc758a12100e, v[18:19]
	s_delay_alu instid0(VALU_DEP_3) | instskip(NEXT) | instid1(VALU_DEP_3)
	v_add_f64_e32 v[24:25], v[24:25], v[30:31]
	v_add_f64_e32 v[28:29], 0x3fd608d881213db9, v[28:29]
	s_delay_alu instid0(VALU_DEP_3) | instskip(NEXT) | instid1(VALU_DEP_1)
	v_fma_f64 v[20:21], v[14:15], v[18:19], -v[20:21]
	v_add_f64_e32 v[20:21], 0xbf71b65e201aa849, v[20:21]
	s_delay_alu instid0(VALU_DEP_1) | instskip(NEXT) | instid1(VALU_DEP_1)
	v_fma_f64 v[18:19], v[14:15], v[20:21], -v[18:19]
	v_add_f64_e32 v[18:19], 0x3f859961f3dde3dd, v[18:19]
	s_delay_alu instid0(VALU_DEP_1) | instskip(NEXT) | instid1(VALU_DEP_1)
	;; [unrolled: 3-line block ×6, first 2 shown]
	v_fma_f64 v[20:21], v[14:15], v[18:19], -v[20:21]
	v_add_f64_e32 v[20:21], 0xbfd37febc057cd8d, v[20:21]
	s_delay_alu instid0(VALU_DEP_1) | instskip(SKIP_1) | instid1(VALU_DEP_1)
	v_fma_f64 v[14:15], v[14:15], v[20:21], -v[18:19]
	v_fmaak_f64 v[20:21], v[16:17], v[40:41], 0x3f81111111122322
	v_fmaak_f64 v[20:21], v[16:17], v[20:21], 0x3fa55555555502a1
	s_delay_alu instid0(VALU_DEP_1) | instskip(NEXT) | instid1(VALU_DEP_1)
	v_fmaak_f64 v[20:21], v[16:17], v[20:21], 0x3fc5555555555511
	v_fmaak_f64 v[20:21], v[16:17], v[20:21], 0x3fe000000000000b
	s_delay_alu instid0(VALU_DEP_1) | instskip(SKIP_1) | instid1(VALU_DEP_2)
	v_fma_f64 v[20:21], v[16:17], v[20:21], 1.0
	v_add_f64_e32 v[14:15], 0x3fe5a84e9035a22a, v[14:15]
	v_fma_f64 v[16:17], v[16:17], v[20:21], 1.0
	v_fma_f64 v[20:21], v[34:35], v[28:29], -v[26:27]
	s_delay_alu instid0(VALU_DEP_3) | instskip(SKIP_1) | instid1(VALU_DEP_4)
	v_add_f64_e64 v[14:15], v[14:15], -v[18:19]
	v_add_f64_e32 v[18:19], v[44:45], v[24:25]
	v_ldexp_f64 v[16:17], v[16:17], v1
	s_delay_alu instid0(VALU_DEP_4) | instskip(NEXT) | instid1(VALU_DEP_4)
	v_add_f64_e32 v[20:21], 0xbfe12166e9d2f61f, v[20:21]
	v_mul_f64_e32 v[14:15], 0.5, v[14:15]
	s_delay_alu instid0(VALU_DEP_4) | instskip(SKIP_2) | instid1(VALU_DEP_2)
	v_cndmask_b32_e32 v1, 0x7ff00000, v19, vcc_lo
	s_and_b32 vcc_lo, s0, vcc_lo
	v_cndmask_b32_e32 v18, 0, v18, vcc_lo
	v_cndmask_b32_e64 v19, 0xfff00000, v1, s0
	v_add_f64_e64 v[20:21], v[20:21], -v[26:27]
	v_mul_f64_e32 v[14:15], v[16:17], v[14:15]
	s_delay_alu instid0(VALU_DEP_1) | instskip(NEXT) | instid1(VALU_DEP_1)
	v_mul_f64_e32 v[14:15], v[18:19], v[14:15]
	v_fma_f64 v[14:15], v[20:21], 0.5, -v[14:15]
	s_delay_alu instid0(VALU_DEP_1)
	v_mul_f64_e32 v[14:15], v[16:17], v[14:15]
                                        ; implicit-def: $vgpr16_vgpr17
.LBB7_92:
	s_and_not1_saveexec_b32 s0, s3
	s_cbranch_execz .LBB7_94
; %bb.93:
	v_div_scale_f64 v[14:15], null, v[16:17], v[16:17], 0x40200000
	v_div_scale_f64 v[22:23], vcc_lo, 0x40200000, v[16:17], 0x40200000
	s_mov_b64 s[8:9], 0x3c5871a5cf8c9ee1
	v_rcp_f64_e32 v[18:19], v[14:15]
	v_nop
	s_delay_alu instid0(TRANS32_DEP_1) | instskip(NEXT) | instid1(VALU_DEP_1)
	v_fma_f64 v[20:21], -v[14:15], v[18:19], 1.0
	v_fmac_f64_e32 v[18:19], v[18:19], v[20:21]
	s_delay_alu instid0(VALU_DEP_1) | instskip(NEXT) | instid1(VALU_DEP_1)
	v_fma_f64 v[20:21], -v[14:15], v[18:19], 1.0
	v_fmac_f64_e32 v[18:19], v[18:19], v[20:21]
	s_delay_alu instid0(VALU_DEP_1) | instskip(NEXT) | instid1(VALU_DEP_1)
	v_mul_f64_e32 v[20:21], v[22:23], v[18:19]
	v_fma_f64 v[14:15], -v[14:15], v[20:21], v[22:23]
	s_delay_alu instid0(VALU_DEP_1) | instskip(SKIP_1) | instid1(VALU_DEP_2)
	v_div_fmas_f64 v[14:15], v[14:15], v[18:19], v[20:21]
	v_cmp_gt_f64_e32 vcc_lo, 0x10000000, v[16:17]
	v_div_fixup_f64 v[14:15], v[14:15], v[16:17], 0x40200000
	v_cndmask_b32_e64 v1, 0, 0x100, vcc_lo
	s_delay_alu instid0(VALU_DEP_1) | instskip(SKIP_1) | instid1(VALU_DEP_2)
	v_ldexp_f64 v[16:17], v[16:17], v1
	v_cndmask_b32_e64 v1, 0, 0xffffff80, vcc_lo
	v_cmp_class_f64_e64 vcc_lo, v[16:17], 0x260
	v_add_f64_e32 v[14:15], -2.0, v[14:15]
	v_rsq_f64_e32 v[22:23], v[16:17]
	s_delay_alu instid0(VALU_DEP_1) | instskip(NEXT) | instid1(TRANS32_DEP_1)
	v_fmaak_f64 v[18:19], s[8:9], v[14:15], 0xbc72fecc93812603
	v_mul_f64_e32 v[24:25], v[16:17], v[22:23]
	s_delay_alu instid0(VALU_DEP_2) | instskip(SKIP_1) | instid1(VALU_DEP_2)
	v_fmaak_f64 v[20:21], v[14:15], v[18:19], 0xbc5871a5cf8c9ee1
	v_mul_f64_e32 v[22:23], 0.5, v[22:23]
	v_add_f64_e32 v[20:21], 0x3c8e092e41a8cdf4, v[20:21]
	s_delay_alu instid0(VALU_DEP_2) | instskip(NEXT) | instid1(VALU_DEP_2)
	v_fma_f64 v[26:27], -v[22:23], v[24:25], 0.5
	v_fma_f64 v[18:19], v[14:15], v[20:21], -v[18:19]
	s_delay_alu instid0(VALU_DEP_2) | instskip(SKIP_1) | instid1(VALU_DEP_3)
	v_fmac_f64_e32 v[24:25], v[24:25], v[26:27]
	v_fmac_f64_e32 v[22:23], v[22:23], v[26:27]
	v_add_f64_e32 v[18:19], 0xbca82f9474d77641, v[18:19]
	s_delay_alu instid0(VALU_DEP_3) | instskip(NEXT) | instid1(VALU_DEP_2)
	v_fma_f64 v[26:27], -v[24:25], v[24:25], v[16:17]
	v_fma_f64 v[20:21], v[14:15], v[18:19], -v[20:21]
	s_delay_alu instid0(VALU_DEP_2) | instskip(NEXT) | instid1(VALU_DEP_2)
	v_fmac_f64_e32 v[24:25], v[26:27], v[22:23]
	v_add_f64_e32 v[20:21], 0x3cc3dbf96b94785b, v[20:21]
	s_delay_alu instid0(VALU_DEP_1) | instskip(NEXT) | instid1(VALU_DEP_1)
	v_fma_f64 v[18:19], v[14:15], v[20:21], -v[18:19]
	v_add_f64_e32 v[18:19], 0xbce0a690ecfadd36, v[18:19]
	s_delay_alu instid0(VALU_DEP_1) | instskip(NEXT) | instid1(VALU_DEP_1)
	v_fma_f64 v[20:21], v[14:15], v[18:19], -v[20:21]
	;; [unrolled: 3-line block ×19, first 2 shown]
	v_add_f64_e32 v[18:19], 0xbfa019f72d4ff71e, v[18:19]
	s_delay_alu instid0(VALU_DEP_1) | instskip(SKIP_1) | instid1(VALU_DEP_2)
	v_fma_f64 v[14:15], v[14:15], v[18:19], -v[20:21]
	v_fma_f64 v[18:19], -v[24:25], v[24:25], v[16:17]
	v_add_f64_e32 v[14:15], 0x400385bd9f4e6907, v[14:15]
	s_delay_alu instid0(VALU_DEP_2) | instskip(NEXT) | instid1(VALU_DEP_2)
	v_fmac_f64_e32 v[24:25], v[18:19], v[22:23]
	v_add_f64_e64 v[14:15], v[14:15], -v[20:21]
	s_delay_alu instid0(VALU_DEP_2) | instskip(NEXT) | instid1(VALU_DEP_1)
	v_ldexp_f64 v[18:19], v[24:25], v1
	v_dual_mul_f64 v[14:15], 0.5, v[14:15] :: v_dual_cndmask_b32 v17, v19, v17, vcc_lo
	s_delay_alu instid0(VALU_DEP_2) | instskip(NEXT) | instid1(VALU_DEP_1)
	v_cndmask_b32_e32 v16, v18, v16, vcc_lo
	v_div_scale_f64 v[18:19], null, v[16:17], v[16:17], v[14:15]
	s_delay_alu instid0(VALU_DEP_1) | instskip(SKIP_1) | instid1(TRANS32_DEP_1)
	v_rcp_f64_e32 v[20:21], v[18:19]
	v_nop
	v_fma_f64 v[22:23], -v[18:19], v[20:21], 1.0
	s_delay_alu instid0(VALU_DEP_1) | instskip(NEXT) | instid1(VALU_DEP_1)
	v_fmac_f64_e32 v[20:21], v[20:21], v[22:23]
	v_fma_f64 v[22:23], -v[18:19], v[20:21], 1.0
	s_delay_alu instid0(VALU_DEP_1) | instskip(SKIP_1) | instid1(VALU_DEP_1)
	v_fmac_f64_e32 v[20:21], v[20:21], v[22:23]
	v_div_scale_f64 v[22:23], vcc_lo, v[14:15], v[16:17], v[14:15]
	v_mul_f64_e32 v[24:25], v[22:23], v[20:21]
	s_delay_alu instid0(VALU_DEP_1) | instskip(NEXT) | instid1(VALU_DEP_1)
	v_fma_f64 v[18:19], -v[18:19], v[24:25], v[22:23]
	v_div_fmas_f64 v[18:19], v[18:19], v[20:21], v[24:25]
	s_delay_alu instid0(VALU_DEP_1)
	v_div_fixup_f64 v[14:15], v[18:19], v[16:17], v[14:15]
.LBB7_94:
	s_or_b32 exec_lo, exec_lo, s0
.LBB7_95:
	s_delay_alu instid0(SALU_CYCLE_1)
	s_or_b32 exec_lo, exec_lo, s2
.LBB7_96:
	s_delay_alu instid0(SALU_CYCLE_1)
	s_or_b32 exec_lo, exec_lo, s1
	global_load_b64 v[16:17], v7, s[6:7]
	s_mov_b32 s1, exec_lo
	s_wait_loadcnt 0x0
	v_cmpx_neq_f64_e32 0, v[16:17]
	s_cbranch_execz .LBB7_104
; %bb.97:
	v_mov_b64_e32 v[12:13], 0x7ff8000000000000
	s_mov_b32 s2, exec_lo
	v_cmpx_ngt_f64_e32 0, v[16:17]
	s_cbranch_execz .LBB7_103
; %bb.98:
                                        ; implicit-def: $vgpr12_vgpr13
	s_mov_b32 s0, exec_lo
	v_cmpx_ge_f64_e32 2.0, v[16:17]
	s_xor_b32 s3, exec_lo, s0
	s_cbranch_execz .LBB7_100
; %bb.99:
	v_fma_f64 v[12:13], v[16:17], 0.5, -2.0
	s_mov_b64 s[6:7], 0xbc545cb72134d0ef
	v_mul_f64_e32 v[22:23], 0.5, v[16:17]
	s_delay_alu instid0(VALU_DEP_2) | instskip(SKIP_1) | instid1(VALU_DEP_2)
	v_fmaak_f64 v[18:19], s[6:7], v[12:13], 0x3c833362977da589
	s_mov_b64 s[6:7], 0x3fe5555555555555
	v_frexp_mant_f64_e32 v[24:25], v[22:23]
	v_cmp_neq_f64_e64 s0, 0, v[22:23]
	s_delay_alu instid0(VALU_DEP_3) | instskip(NEXT) | instid1(VALU_DEP_1)
	v_fmaak_f64 v[20:21], v[12:13], v[18:19], 0x3c545cb72134d0ef
	v_add_f64_e32 v[20:21], 0xbcb184eb721ebbb4, v[20:21]
	s_delay_alu instid0(VALU_DEP_4) | instskip(SKIP_1) | instid1(VALU_DEP_2)
	v_cmp_gt_f64_e32 vcc_lo, s[6:7], v[24:25]
	s_mov_b64 s[6:7], 0x3fc3ab76bf559e2b
	v_fma_f64 v[18:19], v[12:13], v[20:21], -v[18:19]
	v_cndmask_b32_e64 v1, 0, 1, vcc_lo
	s_delay_alu instid0(VALU_DEP_1) | instskip(SKIP_1) | instid1(VALU_DEP_4)
	v_ldexp_f64 v[24:25], v[24:25], v1
	v_frexp_exp_i32_f64_e32 v1, v[22:23]
	v_add_f64_e32 v[18:19], 0x3cdee6d893f65eba, v[18:19]
	s_delay_alu instid0(VALU_DEP_3) | instskip(SKIP_1) | instid1(VALU_DEP_4)
	v_add_f64_e32 v[26:27], 1.0, v[24:25]
	v_add_f64_e32 v[32:33], -1.0, v[24:25]
	v_subrev_co_ci_u32_e64 v1, null, 0, v1, vcc_lo
	v_cmp_neq_f64_e32 vcc_lo, 0x7ff00000, v[22:23]
	v_fma_f64 v[20:21], v[12:13], v[18:19], -v[20:21]
	v_rcp_f64_e32 v[28:29], v[26:27]
	v_add_f64_e32 v[34:35], -1.0, v[26:27]
	s_delay_alu instid0(VALU_DEP_2) | instskip(NEXT) | instid1(VALU_DEP_2)
	v_add_f64_e32 v[20:21], 0xbd0a5022c297fbeb, v[20:21]
	v_add_f64_e64 v[24:25], v[24:25], -v[34:35]
	s_delay_alu instid0(TRANS32_DEP_1) | instskip(NEXT) | instid1(VALU_DEP_3)
	v_fma_f64 v[30:31], -v[26:27], v[28:29], 1.0
	v_fma_f64 v[18:19], v[12:13], v[20:21], -v[18:19]
	s_delay_alu instid0(VALU_DEP_2) | instskip(NEXT) | instid1(VALU_DEP_2)
	v_fmac_f64_e32 v[28:29], v[30:31], v[28:29]
	v_add_f64_e32 v[18:19], 0x3d359b464b262627, v[18:19]
	s_delay_alu instid0(VALU_DEP_2) | instskip(NEXT) | instid1(VALU_DEP_2)
	v_fma_f64 v[30:31], -v[26:27], v[28:29], 1.0
	v_fma_f64 v[20:21], v[12:13], v[18:19], -v[20:21]
	s_delay_alu instid0(VALU_DEP_2) | instskip(NEXT) | instid1(VALU_DEP_2)
	v_fmac_f64_e32 v[28:29], v[30:31], v[28:29]
	v_add_f64_e32 v[20:21], 0xbd61164c62ee1af0, v[20:21]
	s_delay_alu instid0(VALU_DEP_2) | instskip(NEXT) | instid1(VALU_DEP_2)
	v_mul_f64_e32 v[30:31], v[32:33], v[28:29]
	v_fma_f64 v[18:19], v[12:13], v[20:21], -v[18:19]
	s_delay_alu instid0(VALU_DEP_2) | instskip(NEXT) | instid1(VALU_DEP_2)
	v_mul_f64_e32 v[36:37], v[26:27], v[30:31]
	v_add_f64_e32 v[18:19], 0x3d89fe2fe19bd324, v[18:19]
	s_delay_alu instid0(VALU_DEP_2) | instskip(NEXT) | instid1(VALU_DEP_2)
	v_fma_f64 v[26:27], v[30:31], v[26:27], -v[36:37]
	v_fma_f64 v[20:21], v[12:13], v[18:19], -v[20:21]
	s_delay_alu instid0(VALU_DEP_2) | instskip(NEXT) | instid1(VALU_DEP_2)
	v_fmac_f64_e32 v[26:27], v[30:31], v[24:25]
	v_add_f64_e32 v[20:21], 0xbdb2fc957a946abc, v[20:21]
	s_delay_alu instid0(VALU_DEP_2) | instskip(NEXT) | instid1(VALU_DEP_2)
	v_add_f64_e32 v[24:25], v[36:37], v[26:27]
	v_fma_f64 v[18:19], v[12:13], v[20:21], -v[18:19]
	s_delay_alu instid0(VALU_DEP_2) | instskip(NEXT) | instid1(VALU_DEP_2)
	v_add_f64_e64 v[34:35], v[32:33], -v[24:25]
	v_add_f64_e32 v[18:19], 0x3dda98becc743c10, v[18:19]
	v_add_f64_e64 v[36:37], v[24:25], -v[36:37]
	s_delay_alu instid0(VALU_DEP_3) | instskip(NEXT) | instid1(VALU_DEP_3)
	v_add_f64_e64 v[32:33], v[32:33], -v[34:35]
	v_fma_f64 v[20:21], v[12:13], v[18:19], -v[20:21]
	s_delay_alu instid0(VALU_DEP_3) | instskip(SKIP_1) | instid1(VALU_DEP_4)
	v_add_f64_e64 v[26:27], v[36:37], -v[26:27]
	v_cvt_f64_i32_e32 v[36:37], v1
	v_add_f64_e64 v[24:25], v[32:33], -v[24:25]
	s_delay_alu instid0(VALU_DEP_4) | instskip(NEXT) | instid1(VALU_DEP_3)
	v_add_f64_e32 v[20:21], 0xbe01d4fe13ae9556, v[20:21]
	v_mul_f64_e32 v[38:39], 0x3fe62e42fefa39ef, v[36:37]
	s_delay_alu instid0(VALU_DEP_3) | instskip(NEXT) | instid1(VALU_DEP_3)
	v_add_f64_e32 v[24:25], v[26:27], v[24:25]
	v_fma_f64 v[18:19], v[12:13], v[20:21], -v[18:19]
	s_delay_alu instid0(VALU_DEP_2) | instskip(NEXT) | instid1(VALU_DEP_2)
	v_add_f64_e32 v[24:25], v[34:35], v[24:25]
	v_add_f64_e32 v[18:19], 0x3e26d903a454cb34, v[18:19]
	s_delay_alu instid0(VALU_DEP_2) | instskip(NEXT) | instid1(VALU_DEP_2)
	v_mul_f64_e32 v[24:25], v[28:29], v[24:25]
	v_fma_f64 v[20:21], v[12:13], v[18:19], -v[20:21]
	s_delay_alu instid0(VALU_DEP_2) | instskip(NEXT) | instid1(VALU_DEP_2)
	v_add_f64_e32 v[26:27], v[30:31], v[24:25]
	v_add_f64_e32 v[20:21], 0xbe4beaf68c0b30ab, v[20:21]
	s_delay_alu instid0(VALU_DEP_2) | instskip(NEXT) | instid1(VALU_DEP_2)
	v_mul_f64_e32 v[28:29], v[26:27], v[26:27]
	v_fma_f64 v[18:19], v[12:13], v[20:21], -v[18:19]
	s_delay_alu instid0(VALU_DEP_2) | instskip(NEXT) | instid1(VALU_DEP_2)
	v_fmaak_f64 v[32:33], s[6:7], v[28:29], 0x3fc385386b47b09a
	v_add_f64_e32 v[18:19], 0x3e703b769d4d6435, v[18:19]
	v_mul_f64_e32 v[34:35], v[26:27], v[28:29]
	s_mov_b64 s[6:7], 0x3ca3cee1e6a7fd77
	s_delay_alu instid0(VALU_DEP_3) | instskip(NEXT) | instid1(VALU_DEP_1)
	v_fmaak_f64 v[32:33], v[28:29], v[32:33], 0x3fc7474dd7f4df2e
	v_fmaak_f64 v[32:33], v[28:29], v[32:33], 0x3fcc71c016291751
	s_delay_alu instid0(VALU_DEP_1) | instskip(NEXT) | instid1(VALU_DEP_1)
	v_fmaak_f64 v[32:33], v[28:29], v[32:33], 0x3fd249249b27acf1
	v_fmaak_f64 v[32:33], v[28:29], v[32:33], 0x3fd99999998ef7b6
	v_fma_f64 v[20:21], v[12:13], v[18:19], -v[20:21]
	s_delay_alu instid0(VALU_DEP_2) | instskip(SKIP_2) | instid1(VALU_DEP_3)
	v_fmaak_f64 v[28:29], v[28:29], v[32:33], 0x3fe5555555555780
	v_ldexp_f64 v[32:33], v[26:27], 1
	v_add_f64_e64 v[26:27], v[26:27], -v[30:31]
	v_mul_f64_e32 v[28:29], v[34:35], v[28:29]
	v_fma_f64 v[34:35], v[16:17], v[16:17], -2.0
	v_add_f64_e32 v[20:21], 0xbe91ec638f227f8d, v[20:21]
	s_delay_alu instid0(VALU_DEP_4) | instskip(NEXT) | instid1(VALU_DEP_4)
	v_add_f64_e64 v[24:25], v[24:25], -v[26:27]
	v_add_f64_e32 v[30:31], v[32:33], v[28:29]
	s_delay_alu instid0(VALU_DEP_3) | instskip(NEXT) | instid1(VALU_DEP_3)
	v_fma_f64 v[18:19], v[12:13], v[20:21], -v[18:19]
	v_ldexp_f64 v[24:25], v[24:25], 1
	s_delay_alu instid0(VALU_DEP_3) | instskip(SKIP_2) | instid1(VALU_DEP_1)
	v_add_f64_e64 v[26:27], v[30:31], -v[32:33]
	v_fmaak_f64 v[32:33], s[6:7], v[34:35], 0x3d27fb0ac384c2aa
	s_mov_b64 s[6:7], 0x3fe62e42fefa39ef
	v_fmaak_f64 v[40:41], v[34:35], v[32:33], 0xbca3cee1e6a7fd77
	v_add_f64_e32 v[18:19], 0x3eb2bf24978cf4ac, v[18:19]
	s_delay_alu instid0(VALU_DEP_4) | instskip(NEXT) | instid1(VALU_DEP_3)
	v_add_f64_e64 v[26:27], v[28:29], -v[26:27]
	v_add_f64_e32 v[28:29], 0x3da6c25c47512144, v[40:41]
	v_fma_f64 v[40:41], v[36:37], s[6:7], -v[38:39]
	s_mov_b64 s[6:7], 0x3e5ade156a5dcb37
	s_delay_alu instid0(VALU_DEP_4) | instskip(NEXT) | instid1(VALU_DEP_4)
	v_fma_f64 v[20:21], v[12:13], v[18:19], -v[20:21]
	v_add_f64_e32 v[24:25], v[24:25], v[26:27]
	s_delay_alu instid0(VALU_DEP_4) | instskip(NEXT) | instid1(VALU_DEP_4)
	v_fma_f64 v[26:27], v[34:35], v[28:29], -v[32:33]
	v_fmamk_f64 v[32:33], v[36:37], 0x3c7abc9e3b39803f, v[40:41]
	s_delay_alu instid0(VALU_DEP_1) | instskip(SKIP_3) | instid1(VALU_DEP_4)
	v_add_f64_e32 v[40:41], v[38:39], v[32:33]
	v_add_f64_e32 v[20:21], 0xbed2866fcba56427, v[20:21]
	v_add_f64_e32 v[36:37], v[30:31], v[24:25]
	v_add_f64_e32 v[26:27], 0x3e205c1367e58a13, v[26:27]
	v_add_f64_e64 v[38:39], v[40:41], -v[38:39]
	s_delay_alu instid0(VALU_DEP_4) | instskip(NEXT) | instid1(VALU_DEP_4)
	v_fma_f64 v[18:19], v[12:13], v[20:21], -v[18:19]
	v_add_f64_e32 v[42:43], v[40:41], v[36:37]
	s_delay_alu instid0(VALU_DEP_4) | instskip(SKIP_1) | instid1(VALU_DEP_4)
	v_fma_f64 v[28:29], v[34:35], v[26:27], -v[28:29]
	v_add_f64_e64 v[30:31], v[36:37], -v[30:31]
	v_add_f64_e32 v[18:19], 0x3ef13f58be9a2859, v[18:19]
	s_delay_alu instid0(VALU_DEP_4) | instskip(NEXT) | instid1(VALU_DEP_4)
	v_add_f64_e64 v[44:45], v[42:43], -v[40:41]
	v_add_f64_e32 v[28:29], 0x3e9102bce7f95efc, v[28:29]
	s_delay_alu instid0(VALU_DEP_4)
	v_add_f64_e64 v[24:25], v[24:25], -v[30:31]
	v_add_f64_e64 v[30:31], v[32:33], -v[38:39]
	v_mul_f64_e32 v[38:39], 0x3ff71547652b82fe, v[16:17]
	v_fma_f64 v[20:21], v[12:13], v[18:19], -v[20:21]
	v_add_f64_e64 v[46:47], v[42:43], -v[44:45]
	v_fma_f64 v[26:27], v[34:35], v[28:29], -v[26:27]
	v_add_f64_e64 v[36:37], v[36:37], -v[44:45]
	s_delay_alu instid0(VALU_DEP_4) | instskip(NEXT) | instid1(VALU_DEP_4)
	v_add_f64_e32 v[20:21], 0xbf0e2b2659c41d5a, v[20:21]
	v_add_f64_e64 v[32:33], v[40:41], -v[46:47]
	s_delay_alu instid0(VALU_DEP_4) | instskip(SKIP_1) | instid1(VALU_DEP_4)
	v_add_f64_e32 v[26:27], 0x3ef7f900fe8cfca0, v[26:27]
	v_add_f64_e32 v[40:41], v[30:31], v[24:25]
	v_fma_f64 v[18:19], v[12:13], v[20:21], -v[18:19]
	s_delay_alu instid0(VALU_DEP_4) | instskip(NEXT) | instid1(VALU_DEP_4)
	v_add_f64_e32 v[32:33], v[36:37], v[32:33]
	v_fma_f64 v[28:29], v[34:35], v[26:27], -v[28:29]
	v_rndne_f64_e32 v[36:37], v[38:39]
	v_add_f64_e64 v[38:39], v[40:41], -v[30:31]
	v_add_f64_e32 v[18:19], 0x3f28b51b74107cab, v[18:19]
	v_add_f64_e32 v[32:33], v[40:41], v[32:33]
	;; [unrolled: 1-line block ×3, first 2 shown]
	v_fmamk_f64 v[16:17], v[36:37], 0xbfe62e42fefa39ef, v[16:17]
	v_add_f64_e64 v[40:41], v[40:41], -v[38:39]
	v_add_f64_e64 v[24:25], v[24:25], -v[38:39]
	v_cvt_i32_f64_e32 v1, v[36:37]
	s_delay_alu instid0(VALU_DEP_4) | instskip(NEXT) | instid1(VALU_DEP_1)
	v_fmamk_f64 v[16:17], v[36:37], 0xbc7abc9e3b39803f, v[16:17]
	v_fmaak_f64 v[46:47], s[6:7], v[16:17], 0x3e928af3fca7ab0c
	s_delay_alu instid0(VALU_DEP_1) | instskip(SKIP_1) | instid1(VALU_DEP_2)
	v_fmaak_f64 v[46:47], v[16:17], v[46:47], 0x3ec71dee623fde64
	v_fma_f64 v[20:21], v[12:13], v[18:19], -v[20:21]
	v_fmaak_f64 v[46:47], v[16:17], v[46:47], 0x3efa01997c89e6b0
	v_add_f64_e32 v[44:45], v[42:43], v[32:33]
	v_fma_f64 v[26:27], v[34:35], v[28:29], -v[26:27]
	v_add_f64_e64 v[30:31], v[30:31], -v[40:41]
	s_delay_alu instid0(VALU_DEP_4) | instskip(NEXT) | instid1(VALU_DEP_1)
	v_fmaak_f64 v[46:47], v[16:17], v[46:47], 0x3f2a01a014761f6e
	v_fmaak_f64 v[40:41], v[16:17], v[46:47], 0x3f56c16c1852b7b0
	v_add_f64_e32 v[20:21], 0xbf42e2fd1f15eb52, v[20:21]
	v_add_f64_e64 v[38:39], v[44:45], -v[42:43]
	v_add_f64_e32 v[26:27], 0x3fa26bf6554a9085, v[26:27]
	v_add_f64_e32 v[24:25], v[24:25], v[30:31]
	s_delay_alu instid0(VALU_DEP_4) | instskip(NEXT) | instid1(VALU_DEP_4)
	v_fma_f64 v[18:19], v[12:13], v[20:21], -v[18:19]
	v_add_f64_e64 v[30:31], v[32:33], -v[38:39]
	s_delay_alu instid0(VALU_DEP_4) | instskip(NEXT) | instid1(VALU_DEP_3)
	v_fma_f64 v[28:29], v[34:35], v[26:27], -v[28:29]
	v_add_f64_e32 v[18:19], 0x3f5adc758a12100e, v[18:19]
	s_delay_alu instid0(VALU_DEP_3) | instskip(NEXT) | instid1(VALU_DEP_3)
	v_add_f64_e32 v[24:25], v[24:25], v[30:31]
	v_add_f64_e32 v[28:29], 0x3fd608d881213db9, v[28:29]
	s_delay_alu instid0(VALU_DEP_3) | instskip(NEXT) | instid1(VALU_DEP_1)
	v_fma_f64 v[20:21], v[12:13], v[18:19], -v[20:21]
	v_add_f64_e32 v[20:21], 0xbf71b65e201aa849, v[20:21]
	s_delay_alu instid0(VALU_DEP_1) | instskip(NEXT) | instid1(VALU_DEP_1)
	v_fma_f64 v[18:19], v[12:13], v[20:21], -v[18:19]
	v_add_f64_e32 v[18:19], 0x3f859961f3dde3dd, v[18:19]
	s_delay_alu instid0(VALU_DEP_1) | instskip(NEXT) | instid1(VALU_DEP_1)
	v_fma_f64 v[20:21], v[12:13], v[18:19], -v[20:21]
	v_add_f64_e32 v[20:21], 0xbf984e9ef121b6f0, v[20:21]
	s_delay_alu instid0(VALU_DEP_1) | instskip(NEXT) | instid1(VALU_DEP_1)
	v_fma_f64 v[18:19], v[12:13], v[20:21], -v[18:19]
	v_add_f64_e32 v[18:19], 0x3fa93e8acea8a32d, v[18:19]
	s_delay_alu instid0(VALU_DEP_1) | instskip(NEXT) | instid1(VALU_DEP_1)
	v_fma_f64 v[20:21], v[12:13], v[18:19], -v[20:21]
	v_add_f64_e32 v[20:21], 0xbfb84b70342d06ea, v[20:21]
	s_delay_alu instid0(VALU_DEP_1) | instskip(NEXT) | instid1(VALU_DEP_1)
	v_fma_f64 v[18:19], v[12:13], v[20:21], -v[18:19]
	v_add_f64_e32 v[18:19], 0x3fc5f7ac77ac88c0, v[18:19]
	s_delay_alu instid0(VALU_DEP_1) | instskip(NEXT) | instid1(VALU_DEP_1)
	v_fma_f64 v[20:21], v[12:13], v[18:19], -v[20:21]
	v_add_f64_e32 v[20:21], 0xbfd37febc057cd8d, v[20:21]
	s_delay_alu instid0(VALU_DEP_1) | instskip(SKIP_1) | instid1(VALU_DEP_1)
	v_fma_f64 v[12:13], v[12:13], v[20:21], -v[18:19]
	v_fmaak_f64 v[20:21], v[16:17], v[40:41], 0x3f81111111122322
	v_fmaak_f64 v[20:21], v[16:17], v[20:21], 0x3fa55555555502a1
	s_delay_alu instid0(VALU_DEP_1) | instskip(NEXT) | instid1(VALU_DEP_1)
	v_fmaak_f64 v[20:21], v[16:17], v[20:21], 0x3fc5555555555511
	v_fmaak_f64 v[20:21], v[16:17], v[20:21], 0x3fe000000000000b
	s_delay_alu instid0(VALU_DEP_1) | instskip(SKIP_1) | instid1(VALU_DEP_2)
	v_fma_f64 v[20:21], v[16:17], v[20:21], 1.0
	v_add_f64_e32 v[12:13], 0x3fe5a84e9035a22a, v[12:13]
	v_fma_f64 v[16:17], v[16:17], v[20:21], 1.0
	v_fma_f64 v[20:21], v[34:35], v[28:29], -v[26:27]
	s_delay_alu instid0(VALU_DEP_3) | instskip(SKIP_1) | instid1(VALU_DEP_4)
	v_add_f64_e64 v[12:13], v[12:13], -v[18:19]
	v_add_f64_e32 v[18:19], v[44:45], v[24:25]
	v_ldexp_f64 v[16:17], v[16:17], v1
	s_delay_alu instid0(VALU_DEP_4) | instskip(NEXT) | instid1(VALU_DEP_4)
	v_add_f64_e32 v[20:21], 0xbfe12166e9d2f61f, v[20:21]
	v_mul_f64_e32 v[12:13], 0.5, v[12:13]
	s_delay_alu instid0(VALU_DEP_4) | instskip(SKIP_2) | instid1(VALU_DEP_2)
	v_cndmask_b32_e32 v1, 0x7ff00000, v19, vcc_lo
	s_and_b32 vcc_lo, s0, vcc_lo
	v_cndmask_b32_e32 v18, 0, v18, vcc_lo
	v_cndmask_b32_e64 v19, 0xfff00000, v1, s0
	v_add_f64_e64 v[20:21], v[20:21], -v[26:27]
	v_mul_f64_e32 v[12:13], v[16:17], v[12:13]
	s_delay_alu instid0(VALU_DEP_1) | instskip(NEXT) | instid1(VALU_DEP_1)
	v_mul_f64_e32 v[12:13], v[18:19], v[12:13]
	v_fma_f64 v[12:13], v[20:21], 0.5, -v[12:13]
	s_delay_alu instid0(VALU_DEP_1)
	v_mul_f64_e32 v[12:13], v[16:17], v[12:13]
                                        ; implicit-def: $vgpr16_vgpr17
.LBB7_100:
	s_and_not1_saveexec_b32 s0, s3
	s_cbranch_execz .LBB7_102
; %bb.101:
	v_div_scale_f64 v[12:13], null, v[16:17], v[16:17], 0x40200000
	v_div_scale_f64 v[22:23], vcc_lo, 0x40200000, v[16:17], 0x40200000
	s_mov_b64 s[6:7], 0x3c5871a5cf8c9ee1
	v_rcp_f64_e32 v[18:19], v[12:13]
	v_nop
	s_delay_alu instid0(TRANS32_DEP_1) | instskip(NEXT) | instid1(VALU_DEP_1)
	v_fma_f64 v[20:21], -v[12:13], v[18:19], 1.0
	v_fmac_f64_e32 v[18:19], v[18:19], v[20:21]
	s_delay_alu instid0(VALU_DEP_1) | instskip(NEXT) | instid1(VALU_DEP_1)
	v_fma_f64 v[20:21], -v[12:13], v[18:19], 1.0
	v_fmac_f64_e32 v[18:19], v[18:19], v[20:21]
	s_delay_alu instid0(VALU_DEP_1) | instskip(NEXT) | instid1(VALU_DEP_1)
	v_mul_f64_e32 v[20:21], v[22:23], v[18:19]
	v_fma_f64 v[12:13], -v[12:13], v[20:21], v[22:23]
	s_delay_alu instid0(VALU_DEP_1) | instskip(SKIP_1) | instid1(VALU_DEP_2)
	v_div_fmas_f64 v[12:13], v[12:13], v[18:19], v[20:21]
	v_cmp_gt_f64_e32 vcc_lo, 0x10000000, v[16:17]
	v_div_fixup_f64 v[12:13], v[12:13], v[16:17], 0x40200000
	v_cndmask_b32_e64 v1, 0, 0x100, vcc_lo
	s_delay_alu instid0(VALU_DEP_1) | instskip(SKIP_1) | instid1(VALU_DEP_4)
	v_ldexp_f64 v[16:17], v[16:17], v1
	v_cndmask_b32_e64 v1, 0, 0xffffff80, vcc_lo
	v_add_f64_e32 v[12:13], -2.0, v[12:13]
	s_delay_alu instid0(VALU_DEP_3) | instskip(SKIP_1) | instid1(VALU_DEP_2)
	v_cmp_class_f64_e64 vcc_lo, v[16:17], 0x260
	v_rsq_f64_e32 v[22:23], v[16:17]
	v_fmaak_f64 v[18:19], s[6:7], v[12:13], 0xbc72fecc93812603
	s_delay_alu instid0(VALU_DEP_1) | instskip(NEXT) | instid1(TRANS32_DEP_1)
	v_fmaak_f64 v[20:21], v[12:13], v[18:19], 0xbc5871a5cf8c9ee1
	v_mul_f64_e32 v[24:25], v[16:17], v[22:23]
	s_delay_alu instid0(VALU_DEP_2) | instskip(SKIP_1) | instid1(VALU_DEP_2)
	v_add_f64_e32 v[20:21], 0x3c8e092e41a8cdf4, v[20:21]
	v_mul_f64_e32 v[22:23], 0.5, v[22:23]
	v_fma_f64 v[18:19], v[12:13], v[20:21], -v[18:19]
	s_delay_alu instid0(VALU_DEP_2) | instskip(NEXT) | instid1(VALU_DEP_2)
	v_fma_f64 v[26:27], -v[22:23], v[24:25], 0.5
	v_add_f64_e32 v[18:19], 0xbca82f9474d77641, v[18:19]
	s_delay_alu instid0(VALU_DEP_2) | instskip(SKIP_1) | instid1(VALU_DEP_3)
	v_fmac_f64_e32 v[24:25], v[24:25], v[26:27]
	v_fmac_f64_e32 v[22:23], v[22:23], v[26:27]
	v_fma_f64 v[20:21], v[12:13], v[18:19], -v[20:21]
	s_delay_alu instid0(VALU_DEP_3) | instskip(NEXT) | instid1(VALU_DEP_2)
	v_fma_f64 v[26:27], -v[24:25], v[24:25], v[16:17]
	v_add_f64_e32 v[20:21], 0x3cc3dbf96b94785b, v[20:21]
	s_delay_alu instid0(VALU_DEP_2) | instskip(NEXT) | instid1(VALU_DEP_2)
	v_fmac_f64_e32 v[24:25], v[26:27], v[22:23]
	v_fma_f64 v[18:19], v[12:13], v[20:21], -v[18:19]
	s_delay_alu instid0(VALU_DEP_1) | instskip(NEXT) | instid1(VALU_DEP_1)
	v_add_f64_e32 v[18:19], 0xbce0a690ecfadd36, v[18:19]
	v_fma_f64 v[20:21], v[12:13], v[18:19], -v[20:21]
	s_delay_alu instid0(VALU_DEP_1) | instskip(NEXT) | instid1(VALU_DEP_1)
	v_add_f64_e32 v[20:21], 0x3cfc8d9c4a7ddc98, v[20:21]
	;; [unrolled: 3-line block ×19, first 2 shown]
	v_fma_f64 v[12:13], v[12:13], v[18:19], -v[20:21]
	v_fma_f64 v[18:19], -v[24:25], v[24:25], v[16:17]
	s_delay_alu instid0(VALU_DEP_2) | instskip(NEXT) | instid1(VALU_DEP_2)
	v_add_f64_e32 v[12:13], 0x400385bd9f4e6907, v[12:13]
	v_fmac_f64_e32 v[24:25], v[18:19], v[22:23]
	s_delay_alu instid0(VALU_DEP_2) | instskip(NEXT) | instid1(VALU_DEP_2)
	v_add_f64_e64 v[12:13], v[12:13], -v[20:21]
	v_ldexp_f64 v[18:19], v[24:25], v1
	s_delay_alu instid0(VALU_DEP_2) | instskip(NEXT) | instid1(VALU_DEP_2)
	v_mul_f64_e32 v[12:13], 0.5, v[12:13]
	v_dual_cndmask_b32 v17, v19, v17 :: v_dual_cndmask_b32 v16, v18, v16
	s_delay_alu instid0(VALU_DEP_1) | instskip(NEXT) | instid1(VALU_DEP_1)
	v_div_scale_f64 v[18:19], null, v[16:17], v[16:17], v[12:13]
	v_rcp_f64_e32 v[20:21], v[18:19]
	v_nop
	s_delay_alu instid0(TRANS32_DEP_1) | instskip(NEXT) | instid1(VALU_DEP_1)
	v_fma_f64 v[22:23], -v[18:19], v[20:21], 1.0
	v_fmac_f64_e32 v[20:21], v[20:21], v[22:23]
	s_delay_alu instid0(VALU_DEP_1) | instskip(NEXT) | instid1(VALU_DEP_1)
	v_fma_f64 v[22:23], -v[18:19], v[20:21], 1.0
	v_fmac_f64_e32 v[20:21], v[20:21], v[22:23]
	v_div_scale_f64 v[22:23], vcc_lo, v[12:13], v[16:17], v[12:13]
	s_delay_alu instid0(VALU_DEP_1) | instskip(NEXT) | instid1(VALU_DEP_1)
	v_mul_f64_e32 v[24:25], v[22:23], v[20:21]
	v_fma_f64 v[18:19], -v[18:19], v[24:25], v[22:23]
	s_delay_alu instid0(VALU_DEP_1) | instskip(NEXT) | instid1(VALU_DEP_1)
	v_div_fmas_f64 v[18:19], v[18:19], v[20:21], v[24:25]
	v_div_fixup_f64 v[12:13], v[18:19], v[16:17], v[12:13]
.LBB7_102:
	s_or_b32 exec_lo, exec_lo, s0
.LBB7_103:
	s_delay_alu instid0(SALU_CYCLE_1)
	s_or_b32 exec_lo, exec_lo, s2
.LBB7_104:
	s_delay_alu instid0(SALU_CYCLE_1)
	s_or_b32 exec_lo, exec_lo, s1
	s_clause 0x3
	global_store_b64 v2, v[10:11], s[4:5]
	global_store_b64 v4, v[8:9], s[4:5]
	global_store_b64 v0, v[14:15], s[4:5]
	global_store_b64 v6, v[12:13], s[4:5]
	s_endpgm
.LBB7_105:
	v_dual_mov_b32 v3, 0 :: v_dual_mov_b32 v2, 0
	s_branch .LBB7_111
.LBB7_106:
	v_dual_mov_b32 v3, 0 :: v_dual_mov_b32 v2, 0
	s_branch .LBB7_135
.LBB7_107:
	v_mov_b64_e32 v[2:3], 0
	v_mov_b32_e32 v1, v0
	s_mov_b32 s22, 0
.LBB7_108:
	s_and_b32 s0, s0, 3
	s_mov_b32 s23, 0
	s_cmp_eq_u32 s0, 0
	s_cbranch_scc1 .LBB7_111
; %bb.109:
	s_lshl_b32 s24, s22, 3
	s_mov_b32 s25, s23
	s_mul_u64 s[26:27], s[22:23], 12
	s_add_nc_u64 s[24:25], s[2:3], s[24:25]
	s_delay_alu instid0(SALU_CYCLE_1)
	s_add_nc_u64 s[22:23], s[24:25], 0xc4
	s_add_nc_u64 s[24:25], s[2:3], s[26:27]
.LBB7_110:                              ; =>This Inner Loop Header: Depth=1
	s_load_b96 s[40:42], s[24:25], 0x4
	s_load_b64 s[26:27], s[22:23], 0x0
	s_add_co_i32 s0, s0, -1
	s_wait_xcnt 0x0
	s_add_nc_u64 s[24:25], s[24:25], 12
	s_cmp_lg_u32 s0, 0
	s_add_nc_u64 s[22:23], s[22:23], 8
	s_wait_kmcnt 0x0
	v_mul_hi_u32 v4, s41, v1
	s_delay_alu instid0(VALU_DEP_1) | instskip(NEXT) | instid1(VALU_DEP_1)
	v_add_nc_u32_e32 v4, v1, v4
	v_lshrrev_b32_e32 v4, s42, v4
	s_delay_alu instid0(VALU_DEP_1) | instskip(NEXT) | instid1(VALU_DEP_1)
	v_mul_lo_u32 v5, v4, s40
	v_sub_nc_u32_e32 v1, v1, v5
	s_delay_alu instid0(VALU_DEP_1)
	v_mad_u32 v3, v1, s27, v3
	v_mad_u32 v2, v1, s26, v2
	v_mov_b32_e32 v1, v4
	s_cbranch_scc1 .LBB7_110
.LBB7_111:
	s_cbranch_execnz .LBB7_114
.LBB7_112:
	v_mov_b32_e32 v1, 0
	s_and_not1_b32 vcc_lo, exec_lo, s33
	s_delay_alu instid0(VALU_DEP_1) | instskip(NEXT) | instid1(VALU_DEP_1)
	v_mul_u64_e32 v[2:3], s[16:17], v[0:1]
	v_add_nc_u32_e32 v2, v0, v3
	s_delay_alu instid0(VALU_DEP_1) | instskip(NEXT) | instid1(VALU_DEP_1)
	v_lshrrev_b32_e32 v4, s10, v2
	v_mul_lo_u32 v2, v4, s8
	s_delay_alu instid0(VALU_DEP_1) | instskip(NEXT) | instid1(VALU_DEP_1)
	v_sub_nc_u32_e32 v2, v0, v2
	v_mul_lo_u32 v3, v2, s13
	v_mul_lo_u32 v2, v2, s12
	s_cbranch_vccnz .LBB7_114
; %bb.113:
	v_mov_b32_e32 v5, v1
	s_delay_alu instid0(VALU_DEP_1) | instskip(NEXT) | instid1(VALU_DEP_1)
	v_mul_u64_e32 v[6:7], s[18:19], v[4:5]
	v_add_nc_u32_e32 v1, v4, v7
	s_delay_alu instid0(VALU_DEP_1) | instskip(NEXT) | instid1(VALU_DEP_1)
	v_lshrrev_b32_e32 v1, s1, v1
	v_mul_lo_u32 v1, v1, s11
	s_delay_alu instid0(VALU_DEP_1) | instskip(NEXT) | instid1(VALU_DEP_1)
	v_sub_nc_u32_e32 v1, v4, v1
	v_mad_u32 v2, v1, s14, v2
	v_mad_u32 v3, v1, s15, v3
.LBB7_114:
	global_load_b64 v[4:5], v3, s[6:7]
	v_mov_b64_e32 v[6:7], 0x7ff0000000000000
	s_mov_b32 s22, exec_lo
	s_wait_loadcnt 0x0
	v_cmpx_neq_f64_e32 0, v[4:5]
	s_cbranch_execz .LBB7_122
; %bb.115:
	v_mov_b64_e32 v[6:7], 0x7ff8000000000000
	s_mov_b32 s23, exec_lo
	v_cmpx_ngt_f64_e32 0, v[4:5]
	s_cbranch_execz .LBB7_121
; %bb.116:
                                        ; implicit-def: $vgpr6_vgpr7
	s_mov_b32 s0, exec_lo
	v_cmpx_ge_f64_e32 2.0, v[4:5]
	s_xor_b32 s24, exec_lo, s0
	s_cbranch_execz .LBB7_118
; %bb.117:
	v_fma_f64 v[6:7], v[4:5], 0.5, -2.0
	s_mov_b64 s[26:27], 0xbc545cb72134d0ef
	v_mul_f64_e32 v[12:13], 0.5, v[4:5]
	s_delay_alu instid0(VALU_DEP_2) | instskip(SKIP_1) | instid1(VALU_DEP_2)
	v_fmaak_f64 v[8:9], s[26:27], v[6:7], 0x3c833362977da589
	s_mov_b64 s[26:27], 0x3fe5555555555555
	v_frexp_mant_f64_e32 v[14:15], v[12:13]
	v_cmp_neq_f64_e64 s0, 0, v[12:13]
	s_delay_alu instid0(VALU_DEP_3) | instskip(NEXT) | instid1(VALU_DEP_1)
	v_fmaak_f64 v[10:11], v[6:7], v[8:9], 0x3c545cb72134d0ef
	v_add_f64_e32 v[10:11], 0xbcb184eb721ebbb4, v[10:11]
	s_delay_alu instid0(VALU_DEP_4) | instskip(SKIP_1) | instid1(VALU_DEP_2)
	v_cmp_gt_f64_e32 vcc_lo, s[26:27], v[14:15]
	s_mov_b64 s[26:27], 0x3fc3ab76bf559e2b
	v_fma_f64 v[8:9], v[6:7], v[10:11], -v[8:9]
	v_cndmask_b32_e64 v1, 0, 1, vcc_lo
	s_delay_alu instid0(VALU_DEP_1) | instskip(SKIP_1) | instid1(VALU_DEP_4)
	v_ldexp_f64 v[14:15], v[14:15], v1
	v_frexp_exp_i32_f64_e32 v1, v[12:13]
	v_add_f64_e32 v[8:9], 0x3cdee6d893f65eba, v[8:9]
	s_delay_alu instid0(VALU_DEP_3) | instskip(SKIP_1) | instid1(VALU_DEP_4)
	v_add_f64_e32 v[16:17], 1.0, v[14:15]
	v_add_f64_e32 v[22:23], -1.0, v[14:15]
	v_subrev_co_ci_u32_e64 v1, null, 0, v1, vcc_lo
	v_cmp_neq_f64_e32 vcc_lo, 0x7ff00000, v[12:13]
	v_fma_f64 v[10:11], v[6:7], v[8:9], -v[10:11]
	v_rcp_f64_e32 v[18:19], v[16:17]
	v_add_f64_e32 v[24:25], -1.0, v[16:17]
	s_delay_alu instid0(VALU_DEP_2) | instskip(NEXT) | instid1(VALU_DEP_2)
	v_add_f64_e32 v[10:11], 0xbd0a5022c297fbeb, v[10:11]
	v_add_f64_e64 v[14:15], v[14:15], -v[24:25]
	s_delay_alu instid0(TRANS32_DEP_1) | instskip(NEXT) | instid1(VALU_DEP_3)
	v_fma_f64 v[20:21], -v[16:17], v[18:19], 1.0
	v_fma_f64 v[8:9], v[6:7], v[10:11], -v[8:9]
	s_delay_alu instid0(VALU_DEP_2) | instskip(NEXT) | instid1(VALU_DEP_2)
	v_fmac_f64_e32 v[18:19], v[20:21], v[18:19]
	v_add_f64_e32 v[8:9], 0x3d359b464b262627, v[8:9]
	s_delay_alu instid0(VALU_DEP_2) | instskip(NEXT) | instid1(VALU_DEP_2)
	v_fma_f64 v[20:21], -v[16:17], v[18:19], 1.0
	v_fma_f64 v[10:11], v[6:7], v[8:9], -v[10:11]
	s_delay_alu instid0(VALU_DEP_2) | instskip(NEXT) | instid1(VALU_DEP_2)
	v_fmac_f64_e32 v[18:19], v[20:21], v[18:19]
	v_add_f64_e32 v[10:11], 0xbd61164c62ee1af0, v[10:11]
	s_delay_alu instid0(VALU_DEP_2) | instskip(NEXT) | instid1(VALU_DEP_2)
	v_mul_f64_e32 v[20:21], v[22:23], v[18:19]
	v_fma_f64 v[8:9], v[6:7], v[10:11], -v[8:9]
	s_delay_alu instid0(VALU_DEP_2) | instskip(NEXT) | instid1(VALU_DEP_2)
	v_mul_f64_e32 v[26:27], v[16:17], v[20:21]
	v_add_f64_e32 v[8:9], 0x3d89fe2fe19bd324, v[8:9]
	s_delay_alu instid0(VALU_DEP_2) | instskip(NEXT) | instid1(VALU_DEP_2)
	v_fma_f64 v[16:17], v[20:21], v[16:17], -v[26:27]
	v_fma_f64 v[10:11], v[6:7], v[8:9], -v[10:11]
	s_delay_alu instid0(VALU_DEP_2) | instskip(NEXT) | instid1(VALU_DEP_2)
	v_fmac_f64_e32 v[16:17], v[20:21], v[14:15]
	v_add_f64_e32 v[10:11], 0xbdb2fc957a946abc, v[10:11]
	s_delay_alu instid0(VALU_DEP_2) | instskip(NEXT) | instid1(VALU_DEP_2)
	v_add_f64_e32 v[14:15], v[26:27], v[16:17]
	v_fma_f64 v[8:9], v[6:7], v[10:11], -v[8:9]
	s_delay_alu instid0(VALU_DEP_2) | instskip(NEXT) | instid1(VALU_DEP_2)
	v_add_f64_e64 v[24:25], v[22:23], -v[14:15]
	v_add_f64_e32 v[8:9], 0x3dda98becc743c10, v[8:9]
	v_add_f64_e64 v[26:27], v[14:15], -v[26:27]
	s_delay_alu instid0(VALU_DEP_3) | instskip(NEXT) | instid1(VALU_DEP_3)
	v_add_f64_e64 v[22:23], v[22:23], -v[24:25]
	v_fma_f64 v[10:11], v[6:7], v[8:9], -v[10:11]
	s_delay_alu instid0(VALU_DEP_3) | instskip(SKIP_1) | instid1(VALU_DEP_4)
	v_add_f64_e64 v[16:17], v[26:27], -v[16:17]
	v_cvt_f64_i32_e32 v[26:27], v1
	v_add_f64_e64 v[14:15], v[22:23], -v[14:15]
	s_delay_alu instid0(VALU_DEP_4) | instskip(NEXT) | instid1(VALU_DEP_3)
	v_add_f64_e32 v[10:11], 0xbe01d4fe13ae9556, v[10:11]
	v_mul_f64_e32 v[28:29], 0x3fe62e42fefa39ef, v[26:27]
	s_delay_alu instid0(VALU_DEP_3) | instskip(NEXT) | instid1(VALU_DEP_3)
	v_add_f64_e32 v[14:15], v[16:17], v[14:15]
	v_fma_f64 v[8:9], v[6:7], v[10:11], -v[8:9]
	s_delay_alu instid0(VALU_DEP_2) | instskip(NEXT) | instid1(VALU_DEP_2)
	v_add_f64_e32 v[14:15], v[24:25], v[14:15]
	v_add_f64_e32 v[8:9], 0x3e26d903a454cb34, v[8:9]
	s_delay_alu instid0(VALU_DEP_2) | instskip(NEXT) | instid1(VALU_DEP_2)
	v_mul_f64_e32 v[14:15], v[18:19], v[14:15]
	v_fma_f64 v[10:11], v[6:7], v[8:9], -v[10:11]
	s_delay_alu instid0(VALU_DEP_2) | instskip(NEXT) | instid1(VALU_DEP_2)
	v_add_f64_e32 v[16:17], v[20:21], v[14:15]
	v_add_f64_e32 v[10:11], 0xbe4beaf68c0b30ab, v[10:11]
	s_delay_alu instid0(VALU_DEP_2) | instskip(NEXT) | instid1(VALU_DEP_2)
	v_mul_f64_e32 v[18:19], v[16:17], v[16:17]
	v_fma_f64 v[8:9], v[6:7], v[10:11], -v[8:9]
	s_delay_alu instid0(VALU_DEP_2) | instskip(NEXT) | instid1(VALU_DEP_2)
	v_fmaak_f64 v[22:23], s[26:27], v[18:19], 0x3fc385386b47b09a
	v_add_f64_e32 v[8:9], 0x3e703b769d4d6435, v[8:9]
	v_mul_f64_e32 v[24:25], v[16:17], v[18:19]
	s_mov_b64 s[26:27], 0x3ca3cee1e6a7fd77
	s_delay_alu instid0(VALU_DEP_3) | instskip(NEXT) | instid1(VALU_DEP_1)
	v_fmaak_f64 v[22:23], v[18:19], v[22:23], 0x3fc7474dd7f4df2e
	v_fmaak_f64 v[22:23], v[18:19], v[22:23], 0x3fcc71c016291751
	s_delay_alu instid0(VALU_DEP_1) | instskip(NEXT) | instid1(VALU_DEP_1)
	v_fmaak_f64 v[22:23], v[18:19], v[22:23], 0x3fd249249b27acf1
	v_fmaak_f64 v[22:23], v[18:19], v[22:23], 0x3fd99999998ef7b6
	v_fma_f64 v[10:11], v[6:7], v[8:9], -v[10:11]
	s_delay_alu instid0(VALU_DEP_2) | instskip(SKIP_2) | instid1(VALU_DEP_3)
	v_fmaak_f64 v[18:19], v[18:19], v[22:23], 0x3fe5555555555780
	v_ldexp_f64 v[22:23], v[16:17], 1
	v_add_f64_e64 v[16:17], v[16:17], -v[20:21]
	v_mul_f64_e32 v[18:19], v[24:25], v[18:19]
	v_fma_f64 v[24:25], v[4:5], v[4:5], -2.0
	v_add_f64_e32 v[10:11], 0xbe91ec638f227f8d, v[10:11]
	s_delay_alu instid0(VALU_DEP_4) | instskip(NEXT) | instid1(VALU_DEP_4)
	v_add_f64_e64 v[14:15], v[14:15], -v[16:17]
	v_add_f64_e32 v[20:21], v[22:23], v[18:19]
	s_delay_alu instid0(VALU_DEP_3) | instskip(NEXT) | instid1(VALU_DEP_3)
	v_fma_f64 v[8:9], v[6:7], v[10:11], -v[8:9]
	v_ldexp_f64 v[14:15], v[14:15], 1
	s_delay_alu instid0(VALU_DEP_3) | instskip(SKIP_2) | instid1(VALU_DEP_1)
	v_add_f64_e64 v[16:17], v[20:21], -v[22:23]
	v_fmaak_f64 v[22:23], s[26:27], v[24:25], 0x3d27fb0ac384c2aa
	s_mov_b64 s[26:27], 0x3fe62e42fefa39ef
	v_fmaak_f64 v[30:31], v[24:25], v[22:23], 0xbca3cee1e6a7fd77
	v_add_f64_e32 v[8:9], 0x3eb2bf24978cf4ac, v[8:9]
	s_delay_alu instid0(VALU_DEP_4) | instskip(NEXT) | instid1(VALU_DEP_3)
	v_add_f64_e64 v[16:17], v[18:19], -v[16:17]
	v_add_f64_e32 v[18:19], 0x3da6c25c47512144, v[30:31]
	v_fma_f64 v[30:31], v[26:27], s[26:27], -v[28:29]
	s_mov_b64 s[26:27], 0x3e5ade156a5dcb37
	s_delay_alu instid0(VALU_DEP_4) | instskip(NEXT) | instid1(VALU_DEP_4)
	v_fma_f64 v[10:11], v[6:7], v[8:9], -v[10:11]
	v_add_f64_e32 v[14:15], v[14:15], v[16:17]
	s_delay_alu instid0(VALU_DEP_4) | instskip(NEXT) | instid1(VALU_DEP_4)
	v_fma_f64 v[16:17], v[24:25], v[18:19], -v[22:23]
	v_fmamk_f64 v[22:23], v[26:27], 0x3c7abc9e3b39803f, v[30:31]
	s_delay_alu instid0(VALU_DEP_1) | instskip(SKIP_3) | instid1(VALU_DEP_4)
	v_add_f64_e32 v[30:31], v[28:29], v[22:23]
	v_add_f64_e32 v[10:11], 0xbed2866fcba56427, v[10:11]
	;; [unrolled: 1-line block ×4, first 2 shown]
	v_add_f64_e64 v[28:29], v[30:31], -v[28:29]
	s_delay_alu instid0(VALU_DEP_4) | instskip(NEXT) | instid1(VALU_DEP_4)
	v_fma_f64 v[8:9], v[6:7], v[10:11], -v[8:9]
	v_add_f64_e32 v[32:33], v[30:31], v[26:27]
	s_delay_alu instid0(VALU_DEP_4) | instskip(SKIP_1) | instid1(VALU_DEP_4)
	v_fma_f64 v[18:19], v[24:25], v[16:17], -v[18:19]
	v_add_f64_e64 v[20:21], v[26:27], -v[20:21]
	v_add_f64_e32 v[8:9], 0x3ef13f58be9a2859, v[8:9]
	s_delay_alu instid0(VALU_DEP_4) | instskip(NEXT) | instid1(VALU_DEP_4)
	v_add_f64_e64 v[34:35], v[32:33], -v[30:31]
	v_add_f64_e32 v[18:19], 0x3e9102bce7f95efc, v[18:19]
	s_delay_alu instid0(VALU_DEP_4)
	v_add_f64_e64 v[14:15], v[14:15], -v[20:21]
	v_add_f64_e64 v[20:21], v[22:23], -v[28:29]
	v_mul_f64_e32 v[28:29], 0x3ff71547652b82fe, v[4:5]
	v_fma_f64 v[10:11], v[6:7], v[8:9], -v[10:11]
	v_add_f64_e64 v[36:37], v[32:33], -v[34:35]
	v_fma_f64 v[16:17], v[24:25], v[18:19], -v[16:17]
	v_add_f64_e64 v[26:27], v[26:27], -v[34:35]
	s_delay_alu instid0(VALU_DEP_4) | instskip(NEXT) | instid1(VALU_DEP_4)
	v_add_f64_e32 v[10:11], 0xbf0e2b2659c41d5a, v[10:11]
	v_add_f64_e64 v[22:23], v[30:31], -v[36:37]
	s_delay_alu instid0(VALU_DEP_4) | instskip(SKIP_1) | instid1(VALU_DEP_4)
	v_add_f64_e32 v[16:17], 0x3ef7f900fe8cfca0, v[16:17]
	v_add_f64_e32 v[30:31], v[20:21], v[14:15]
	v_fma_f64 v[8:9], v[6:7], v[10:11], -v[8:9]
	s_delay_alu instid0(VALU_DEP_4) | instskip(NEXT) | instid1(VALU_DEP_4)
	v_add_f64_e32 v[22:23], v[26:27], v[22:23]
	v_fma_f64 v[18:19], v[24:25], v[16:17], -v[18:19]
	v_rndne_f64_e32 v[26:27], v[28:29]
	v_add_f64_e64 v[28:29], v[30:31], -v[20:21]
	v_add_f64_e32 v[8:9], 0x3f28b51b74107cab, v[8:9]
	v_add_f64_e32 v[22:23], v[30:31], v[22:23]
	;; [unrolled: 1-line block ×3, first 2 shown]
	v_fmamk_f64 v[4:5], v[26:27], 0xbfe62e42fefa39ef, v[4:5]
	v_add_f64_e64 v[30:31], v[30:31], -v[28:29]
	v_add_f64_e64 v[14:15], v[14:15], -v[28:29]
	v_cvt_i32_f64_e32 v1, v[26:27]
	s_delay_alu instid0(VALU_DEP_4) | instskip(NEXT) | instid1(VALU_DEP_1)
	v_fmamk_f64 v[4:5], v[26:27], 0xbc7abc9e3b39803f, v[4:5]
	v_fmaak_f64 v[36:37], s[26:27], v[4:5], 0x3e928af3fca7ab0c
	s_delay_alu instid0(VALU_DEP_1) | instskip(SKIP_1) | instid1(VALU_DEP_2)
	v_fmaak_f64 v[36:37], v[4:5], v[36:37], 0x3ec71dee623fde64
	v_fma_f64 v[10:11], v[6:7], v[8:9], -v[10:11]
	v_fmaak_f64 v[36:37], v[4:5], v[36:37], 0x3efa01997c89e6b0
	v_add_f64_e32 v[34:35], v[32:33], v[22:23]
	v_fma_f64 v[16:17], v[24:25], v[18:19], -v[16:17]
	v_add_f64_e64 v[20:21], v[20:21], -v[30:31]
	s_delay_alu instid0(VALU_DEP_4) | instskip(NEXT) | instid1(VALU_DEP_1)
	v_fmaak_f64 v[36:37], v[4:5], v[36:37], 0x3f2a01a014761f6e
	v_fmaak_f64 v[30:31], v[4:5], v[36:37], 0x3f56c16c1852b7b0
	v_add_f64_e32 v[10:11], 0xbf42e2fd1f15eb52, v[10:11]
	v_add_f64_e64 v[28:29], v[34:35], -v[32:33]
	v_add_f64_e32 v[16:17], 0x3fa26bf6554a9085, v[16:17]
	v_add_f64_e32 v[14:15], v[14:15], v[20:21]
	s_delay_alu instid0(VALU_DEP_4) | instskip(NEXT) | instid1(VALU_DEP_4)
	v_fma_f64 v[8:9], v[6:7], v[10:11], -v[8:9]
	v_add_f64_e64 v[20:21], v[22:23], -v[28:29]
	s_delay_alu instid0(VALU_DEP_4) | instskip(NEXT) | instid1(VALU_DEP_3)
	v_fma_f64 v[18:19], v[24:25], v[16:17], -v[18:19]
	v_add_f64_e32 v[8:9], 0x3f5adc758a12100e, v[8:9]
	s_delay_alu instid0(VALU_DEP_3) | instskip(NEXT) | instid1(VALU_DEP_3)
	v_add_f64_e32 v[14:15], v[14:15], v[20:21]
	v_add_f64_e32 v[18:19], 0x3fd608d881213db9, v[18:19]
	s_delay_alu instid0(VALU_DEP_3) | instskip(NEXT) | instid1(VALU_DEP_1)
	v_fma_f64 v[10:11], v[6:7], v[8:9], -v[10:11]
	v_add_f64_e32 v[10:11], 0xbf71b65e201aa849, v[10:11]
	s_delay_alu instid0(VALU_DEP_1) | instskip(NEXT) | instid1(VALU_DEP_1)
	v_fma_f64 v[8:9], v[6:7], v[10:11], -v[8:9]
	v_add_f64_e32 v[8:9], 0x3f859961f3dde3dd, v[8:9]
	s_delay_alu instid0(VALU_DEP_1) | instskip(NEXT) | instid1(VALU_DEP_1)
	;; [unrolled: 3-line block ×6, first 2 shown]
	v_fma_f64 v[10:11], v[6:7], v[8:9], -v[10:11]
	v_add_f64_e32 v[10:11], 0xbfd37febc057cd8d, v[10:11]
	s_delay_alu instid0(VALU_DEP_1) | instskip(SKIP_1) | instid1(VALU_DEP_1)
	v_fma_f64 v[6:7], v[6:7], v[10:11], -v[8:9]
	v_fmaak_f64 v[10:11], v[4:5], v[30:31], 0x3f81111111122322
	v_fmaak_f64 v[10:11], v[4:5], v[10:11], 0x3fa55555555502a1
	s_delay_alu instid0(VALU_DEP_1) | instskip(NEXT) | instid1(VALU_DEP_1)
	v_fmaak_f64 v[10:11], v[4:5], v[10:11], 0x3fc5555555555511
	v_fmaak_f64 v[10:11], v[4:5], v[10:11], 0x3fe000000000000b
	s_delay_alu instid0(VALU_DEP_1) | instskip(SKIP_1) | instid1(VALU_DEP_2)
	v_fma_f64 v[10:11], v[4:5], v[10:11], 1.0
	v_add_f64_e32 v[6:7], 0x3fe5a84e9035a22a, v[6:7]
	v_fma_f64 v[4:5], v[4:5], v[10:11], 1.0
	v_fma_f64 v[10:11], v[24:25], v[18:19], -v[16:17]
	s_delay_alu instid0(VALU_DEP_3) | instskip(SKIP_1) | instid1(VALU_DEP_4)
	v_add_f64_e64 v[6:7], v[6:7], -v[8:9]
	v_add_f64_e32 v[8:9], v[34:35], v[14:15]
	v_ldexp_f64 v[4:5], v[4:5], v1
	s_delay_alu instid0(VALU_DEP_4) | instskip(NEXT) | instid1(VALU_DEP_4)
	v_add_f64_e32 v[10:11], 0xbfe12166e9d2f61f, v[10:11]
	v_mul_f64_e32 v[6:7], 0.5, v[6:7]
	s_delay_alu instid0(VALU_DEP_4) | instskip(SKIP_2) | instid1(VALU_DEP_2)
	v_cndmask_b32_e32 v1, 0x7ff00000, v9, vcc_lo
	s_and_b32 vcc_lo, s0, vcc_lo
	v_cndmask_b32_e32 v8, 0, v8, vcc_lo
	v_cndmask_b32_e64 v9, 0xfff00000, v1, s0
	v_add_f64_e64 v[10:11], v[10:11], -v[16:17]
	v_mul_f64_e32 v[6:7], v[4:5], v[6:7]
	s_delay_alu instid0(VALU_DEP_1) | instskip(NEXT) | instid1(VALU_DEP_1)
	v_mul_f64_e32 v[6:7], v[8:9], v[6:7]
	v_fma_f64 v[6:7], v[10:11], 0.5, -v[6:7]
	s_delay_alu instid0(VALU_DEP_1)
	v_mul_f64_e32 v[6:7], v[4:5], v[6:7]
                                        ; implicit-def: $vgpr4_vgpr5
.LBB7_118:
	s_and_not1_saveexec_b32 s0, s24
	s_cbranch_execz .LBB7_120
; %bb.119:
	v_div_scale_f64 v[6:7], null, v[4:5], v[4:5], 0x40200000
	v_div_scale_f64 v[12:13], vcc_lo, 0x40200000, v[4:5], 0x40200000
	s_mov_b64 s[24:25], 0x3c5871a5cf8c9ee1
	v_rcp_f64_e32 v[8:9], v[6:7]
	v_nop
	s_delay_alu instid0(TRANS32_DEP_1) | instskip(NEXT) | instid1(VALU_DEP_1)
	v_fma_f64 v[10:11], -v[6:7], v[8:9], 1.0
	v_fmac_f64_e32 v[8:9], v[8:9], v[10:11]
	s_delay_alu instid0(VALU_DEP_1) | instskip(NEXT) | instid1(VALU_DEP_1)
	v_fma_f64 v[10:11], -v[6:7], v[8:9], 1.0
	v_fmac_f64_e32 v[8:9], v[8:9], v[10:11]
	s_delay_alu instid0(VALU_DEP_1) | instskip(NEXT) | instid1(VALU_DEP_1)
	v_mul_f64_e32 v[10:11], v[12:13], v[8:9]
	v_fma_f64 v[6:7], -v[6:7], v[10:11], v[12:13]
	s_delay_alu instid0(VALU_DEP_1) | instskip(SKIP_1) | instid1(VALU_DEP_2)
	v_div_fmas_f64 v[6:7], v[6:7], v[8:9], v[10:11]
	v_cmp_gt_f64_e32 vcc_lo, 0x10000000, v[4:5]
	v_div_fixup_f64 v[6:7], v[6:7], v[4:5], 0x40200000
	v_cndmask_b32_e64 v1, 0, 0x100, vcc_lo
	s_delay_alu instid0(VALU_DEP_1) | instskip(SKIP_1) | instid1(VALU_DEP_2)
	v_ldexp_f64 v[4:5], v[4:5], v1
	v_cndmask_b32_e64 v1, 0, 0xffffff80, vcc_lo
	v_cmp_class_f64_e64 vcc_lo, v[4:5], 0x260
	v_add_f64_e32 v[6:7], -2.0, v[6:7]
	v_rsq_f64_e32 v[12:13], v[4:5]
	s_delay_alu instid0(VALU_DEP_1) | instskip(NEXT) | instid1(TRANS32_DEP_1)
	v_fmaak_f64 v[8:9], s[24:25], v[6:7], 0xbc72fecc93812603
	v_mul_f64_e32 v[14:15], v[4:5], v[12:13]
	s_delay_alu instid0(VALU_DEP_2) | instskip(SKIP_1) | instid1(VALU_DEP_2)
	v_fmaak_f64 v[10:11], v[6:7], v[8:9], 0xbc5871a5cf8c9ee1
	v_mul_f64_e32 v[12:13], 0.5, v[12:13]
	v_add_f64_e32 v[10:11], 0x3c8e092e41a8cdf4, v[10:11]
	s_delay_alu instid0(VALU_DEP_2) | instskip(NEXT) | instid1(VALU_DEP_2)
	v_fma_f64 v[16:17], -v[12:13], v[14:15], 0.5
	v_fma_f64 v[8:9], v[6:7], v[10:11], -v[8:9]
	s_delay_alu instid0(VALU_DEP_2) | instskip(SKIP_1) | instid1(VALU_DEP_3)
	v_fmac_f64_e32 v[14:15], v[14:15], v[16:17]
	v_fmac_f64_e32 v[12:13], v[12:13], v[16:17]
	v_add_f64_e32 v[8:9], 0xbca82f9474d77641, v[8:9]
	s_delay_alu instid0(VALU_DEP_3) | instskip(NEXT) | instid1(VALU_DEP_2)
	v_fma_f64 v[16:17], -v[14:15], v[14:15], v[4:5]
	v_fma_f64 v[10:11], v[6:7], v[8:9], -v[10:11]
	s_delay_alu instid0(VALU_DEP_2) | instskip(NEXT) | instid1(VALU_DEP_2)
	v_fmac_f64_e32 v[14:15], v[16:17], v[12:13]
	v_add_f64_e32 v[10:11], 0x3cc3dbf96b94785b, v[10:11]
	s_delay_alu instid0(VALU_DEP_1) | instskip(NEXT) | instid1(VALU_DEP_1)
	v_fma_f64 v[8:9], v[6:7], v[10:11], -v[8:9]
	v_add_f64_e32 v[8:9], 0xbce0a690ecfadd36, v[8:9]
	s_delay_alu instid0(VALU_DEP_1) | instskip(NEXT) | instid1(VALU_DEP_1)
	v_fma_f64 v[10:11], v[6:7], v[8:9], -v[10:11]
	;; [unrolled: 3-line block ×19, first 2 shown]
	v_add_f64_e32 v[8:9], 0xbfa019f72d4ff71e, v[8:9]
	s_delay_alu instid0(VALU_DEP_1) | instskip(SKIP_1) | instid1(VALU_DEP_2)
	v_fma_f64 v[6:7], v[6:7], v[8:9], -v[10:11]
	v_fma_f64 v[8:9], -v[14:15], v[14:15], v[4:5]
	v_add_f64_e32 v[6:7], 0x400385bd9f4e6907, v[6:7]
	s_delay_alu instid0(VALU_DEP_2) | instskip(NEXT) | instid1(VALU_DEP_2)
	v_fmac_f64_e32 v[14:15], v[8:9], v[12:13]
	v_add_f64_e64 v[6:7], v[6:7], -v[10:11]
	s_delay_alu instid0(VALU_DEP_2) | instskip(NEXT) | instid1(VALU_DEP_1)
	v_ldexp_f64 v[8:9], v[14:15], v1
	v_dual_mul_f64 v[6:7], 0.5, v[6:7] :: v_dual_cndmask_b32 v5, v9, v5, vcc_lo
	s_delay_alu instid0(VALU_DEP_2) | instskip(NEXT) | instid1(VALU_DEP_1)
	v_cndmask_b32_e32 v4, v8, v4, vcc_lo
	v_div_scale_f64 v[8:9], null, v[4:5], v[4:5], v[6:7]
	s_delay_alu instid0(VALU_DEP_1) | instskip(SKIP_1) | instid1(TRANS32_DEP_1)
	v_rcp_f64_e32 v[10:11], v[8:9]
	v_nop
	v_fma_f64 v[12:13], -v[8:9], v[10:11], 1.0
	s_delay_alu instid0(VALU_DEP_1) | instskip(NEXT) | instid1(VALU_DEP_1)
	v_fmac_f64_e32 v[10:11], v[10:11], v[12:13]
	v_fma_f64 v[12:13], -v[8:9], v[10:11], 1.0
	s_delay_alu instid0(VALU_DEP_1) | instskip(SKIP_1) | instid1(VALU_DEP_1)
	v_fmac_f64_e32 v[10:11], v[10:11], v[12:13]
	v_div_scale_f64 v[12:13], vcc_lo, v[6:7], v[4:5], v[6:7]
	v_mul_f64_e32 v[14:15], v[12:13], v[10:11]
	s_delay_alu instid0(VALU_DEP_1) | instskip(NEXT) | instid1(VALU_DEP_1)
	v_fma_f64 v[8:9], -v[8:9], v[14:15], v[12:13]
	v_div_fmas_f64 v[8:9], v[8:9], v[10:11], v[14:15]
	s_delay_alu instid0(VALU_DEP_1)
	v_div_fixup_f64 v[6:7], v[8:9], v[4:5], v[6:7]
.LBB7_120:
	s_or_b32 exec_lo, exec_lo, s0
.LBB7_121:
	s_delay_alu instid0(SALU_CYCLE_1)
	s_or_b32 exec_lo, exec_lo, s23
.LBB7_122:
	s_delay_alu instid0(SALU_CYCLE_1) | instskip(SKIP_4) | instid1(SALU_CYCLE_1)
	s_or_b32 exec_lo, exec_lo, s22
	v_add_nc_u32_e32 v0, 0x80, v0
	global_store_b64 v2, v[6:7], s[4:5]
	s_wait_xcnt 0x0
	s_or_b32 exec_lo, exec_lo, s9
	s_mov_b32 s9, exec_lo
	v_cmpx_gt_i32_e64 s34, v0
	s_cbranch_execnz .LBB7_15
.LBB7_123:
	s_or_b32 exec_lo, exec_lo, s9
	s_delay_alu instid0(SALU_CYCLE_1)
	s_mov_b32 s9, exec_lo
	v_cmpx_gt_i32_e64 s34, v0
	s_cbranch_execz .LBB7_147
.LBB7_124:
	s_and_not1_b32 vcc_lo, exec_lo, s30
	s_cbranch_vccnz .LBB7_129
; %bb.125:
	s_and_not1_b32 vcc_lo, exec_lo, s36
	s_cbranch_vccnz .LBB7_130
; %bb.126:
	s_add_co_i32 s0, s35, 1
	s_cmp_eq_u32 s29, 2
	s_cbranch_scc1 .LBB7_150
; %bb.127:
	v_dual_mov_b32 v2, 0 :: v_dual_mov_b32 v3, 0
	v_mov_b32_e32 v1, v0
	s_and_b32 s22, s0, 28
	s_mov_b32 s23, 0
	s_mov_b64 s[24:25], s[2:3]
	s_mov_b64 s[26:27], s[20:21]
.LBB7_128:                              ; =>This Inner Loop Header: Depth=1
	s_clause 0x1
	s_load_b256 s[40:47], s[24:25], 0x4
	s_load_b128 s[56:59], s[24:25], 0x24
	s_load_b256 s[48:55], s[26:27], 0x0
	s_add_co_i32 s23, s23, 4
	s_wait_xcnt 0x0
	s_add_nc_u64 s[24:25], s[24:25], 48
	s_cmp_eq_u32 s22, s23
	s_add_nc_u64 s[26:27], s[26:27], 32
	s_wait_kmcnt 0x0
	v_mul_hi_u32 v4, s41, v1
	s_delay_alu instid0(VALU_DEP_1) | instskip(NEXT) | instid1(VALU_DEP_1)
	v_add_nc_u32_e32 v4, v1, v4
	v_lshrrev_b32_e32 v4, s42, v4
	s_delay_alu instid0(VALU_DEP_1) | instskip(NEXT) | instid1(VALU_DEP_1)
	v_mul_hi_u32 v5, s44, v4
	v_add_nc_u32_e32 v5, v4, v5
	s_delay_alu instid0(VALU_DEP_1) | instskip(NEXT) | instid1(VALU_DEP_1)
	v_lshrrev_b32_e32 v5, s45, v5
	v_mul_hi_u32 v6, s47, v5
	s_delay_alu instid0(VALU_DEP_1) | instskip(SKIP_1) | instid1(VALU_DEP_1)
	v_add_nc_u32_e32 v6, v5, v6
	v_mul_lo_u32 v7, v4, s40
	v_sub_nc_u32_e32 v1, v1, v7
	v_mul_lo_u32 v7, v5, s43
	s_delay_alu instid0(VALU_DEP_4) | instskip(NEXT) | instid1(VALU_DEP_3)
	v_lshrrev_b32_e32 v6, s56, v6
	v_mad_u32 v3, v1, s49, v3
	v_mad_u32 v1, v1, s48, v2
	s_delay_alu instid0(VALU_DEP_4) | instskip(NEXT) | instid1(VALU_DEP_4)
	v_sub_nc_u32_e32 v2, v4, v7
	v_mul_hi_u32 v8, s58, v6
	v_mul_lo_u32 v4, v6, s46
	s_delay_alu instid0(VALU_DEP_3) | instskip(SKIP_1) | instid1(VALU_DEP_4)
	v_mad_u32 v3, v2, s51, v3
	v_mad_u32 v2, v2, s50, v1
	v_add_nc_u32_e32 v7, v6, v8
	s_delay_alu instid0(VALU_DEP_1) | instskip(NEXT) | instid1(VALU_DEP_1)
	v_dual_sub_nc_u32 v4, v5, v4 :: v_dual_lshrrev_b32 v1, s59, v7
	v_mad_u32 v3, v4, s53, v3
	s_delay_alu instid0(VALU_DEP_4) | instskip(NEXT) | instid1(VALU_DEP_3)
	v_mad_u32 v2, v4, s52, v2
	v_mul_lo_u32 v5, v1, s57
	s_delay_alu instid0(VALU_DEP_1) | instskip(NEXT) | instid1(VALU_DEP_1)
	v_sub_nc_u32_e32 v4, v6, v5
	v_mad_u32 v3, v4, s55, v3
	s_delay_alu instid0(VALU_DEP_4)
	v_mad_u32 v2, v4, s54, v2
	s_cbranch_scc0 .LBB7_128
	s_branch .LBB7_151
.LBB7_129:
                                        ; implicit-def: $vgpr3
	s_branch .LBB7_155
.LBB7_130:
	v_dual_mov_b32 v3, 0 :: v_dual_mov_b32 v2, 0
	s_branch .LBB7_154
.LBB7_131:
	v_mov_b64_e32 v[2:3], 0
	v_mov_b32_e32 v1, v0
	s_mov_b32 s22, 0
.LBB7_132:
	s_and_b32 s0, s0, 3
	s_mov_b32 s23, 0
	s_cmp_eq_u32 s0, 0
	s_cbranch_scc1 .LBB7_135
; %bb.133:
	s_lshl_b32 s24, s22, 3
	s_mov_b32 s25, s23
	s_mul_u64 s[26:27], s[22:23], 12
	s_add_nc_u64 s[24:25], s[2:3], s[24:25]
	s_delay_alu instid0(SALU_CYCLE_1)
	s_add_nc_u64 s[22:23], s[24:25], 0xc4
	s_add_nc_u64 s[24:25], s[2:3], s[26:27]
.LBB7_134:                              ; =>This Inner Loop Header: Depth=1
	s_load_b96 s[40:42], s[24:25], 0x4
	s_load_b64 s[26:27], s[22:23], 0x0
	s_add_co_i32 s0, s0, -1
	s_wait_xcnt 0x0
	s_add_nc_u64 s[24:25], s[24:25], 12
	s_cmp_lg_u32 s0, 0
	s_add_nc_u64 s[22:23], s[22:23], 8
	s_wait_kmcnt 0x0
	v_mul_hi_u32 v4, s41, v1
	s_delay_alu instid0(VALU_DEP_1) | instskip(NEXT) | instid1(VALU_DEP_1)
	v_add_nc_u32_e32 v4, v1, v4
	v_lshrrev_b32_e32 v4, s42, v4
	s_delay_alu instid0(VALU_DEP_1) | instskip(NEXT) | instid1(VALU_DEP_1)
	v_mul_lo_u32 v5, v4, s40
	v_sub_nc_u32_e32 v1, v1, v5
	s_delay_alu instid0(VALU_DEP_1)
	v_mad_u32 v3, v1, s27, v3
	v_mad_u32 v2, v1, s26, v2
	v_mov_b32_e32 v1, v4
	s_cbranch_scc1 .LBB7_134
.LBB7_135:
	s_cbranch_execnz .LBB7_138
.LBB7_136:
	v_mov_b32_e32 v1, 0
	s_and_not1_b32 vcc_lo, exec_lo, s33
	s_delay_alu instid0(VALU_DEP_1) | instskip(NEXT) | instid1(VALU_DEP_1)
	v_mul_u64_e32 v[2:3], s[16:17], v[0:1]
	v_add_nc_u32_e32 v2, v0, v3
	s_delay_alu instid0(VALU_DEP_1) | instskip(NEXT) | instid1(VALU_DEP_1)
	v_lshrrev_b32_e32 v4, s10, v2
	v_mul_lo_u32 v2, v4, s8
	s_delay_alu instid0(VALU_DEP_1) | instskip(NEXT) | instid1(VALU_DEP_1)
	v_sub_nc_u32_e32 v2, v0, v2
	v_mul_lo_u32 v3, v2, s13
	v_mul_lo_u32 v2, v2, s12
	s_cbranch_vccnz .LBB7_138
; %bb.137:
	v_mov_b32_e32 v5, v1
	s_delay_alu instid0(VALU_DEP_1) | instskip(NEXT) | instid1(VALU_DEP_1)
	v_mul_u64_e32 v[6:7], s[18:19], v[4:5]
	v_add_nc_u32_e32 v1, v4, v7
	s_delay_alu instid0(VALU_DEP_1) | instskip(NEXT) | instid1(VALU_DEP_1)
	v_lshrrev_b32_e32 v1, s1, v1
	v_mul_lo_u32 v1, v1, s11
	s_delay_alu instid0(VALU_DEP_1) | instskip(NEXT) | instid1(VALU_DEP_1)
	v_sub_nc_u32_e32 v1, v4, v1
	v_mad_u32 v2, v1, s14, v2
	v_mad_u32 v3, v1, s15, v3
.LBB7_138:
	global_load_b64 v[4:5], v3, s[6:7]
	v_mov_b64_e32 v[6:7], 0x7ff0000000000000
	s_mov_b32 s22, exec_lo
	s_wait_loadcnt 0x0
	v_cmpx_neq_f64_e32 0, v[4:5]
	s_cbranch_execz .LBB7_146
; %bb.139:
	v_mov_b64_e32 v[6:7], 0x7ff8000000000000
	s_mov_b32 s23, exec_lo
	v_cmpx_ngt_f64_e32 0, v[4:5]
	s_cbranch_execz .LBB7_145
; %bb.140:
                                        ; implicit-def: $vgpr6_vgpr7
	s_mov_b32 s0, exec_lo
	v_cmpx_ge_f64_e32 2.0, v[4:5]
	s_xor_b32 s24, exec_lo, s0
	s_cbranch_execz .LBB7_142
; %bb.141:
	v_fma_f64 v[6:7], v[4:5], 0.5, -2.0
	s_mov_b64 s[26:27], 0xbc545cb72134d0ef
	v_mul_f64_e32 v[12:13], 0.5, v[4:5]
	s_delay_alu instid0(VALU_DEP_2) | instskip(SKIP_1) | instid1(VALU_DEP_2)
	v_fmaak_f64 v[8:9], s[26:27], v[6:7], 0x3c833362977da589
	s_mov_b64 s[26:27], 0x3fe5555555555555
	v_frexp_mant_f64_e32 v[14:15], v[12:13]
	v_cmp_neq_f64_e64 s0, 0, v[12:13]
	s_delay_alu instid0(VALU_DEP_3) | instskip(NEXT) | instid1(VALU_DEP_1)
	v_fmaak_f64 v[10:11], v[6:7], v[8:9], 0x3c545cb72134d0ef
	v_add_f64_e32 v[10:11], 0xbcb184eb721ebbb4, v[10:11]
	s_delay_alu instid0(VALU_DEP_4) | instskip(SKIP_1) | instid1(VALU_DEP_2)
	v_cmp_gt_f64_e32 vcc_lo, s[26:27], v[14:15]
	s_mov_b64 s[26:27], 0x3fc3ab76bf559e2b
	v_fma_f64 v[8:9], v[6:7], v[10:11], -v[8:9]
	v_cndmask_b32_e64 v1, 0, 1, vcc_lo
	s_delay_alu instid0(VALU_DEP_1) | instskip(SKIP_1) | instid1(VALU_DEP_4)
	v_ldexp_f64 v[14:15], v[14:15], v1
	v_frexp_exp_i32_f64_e32 v1, v[12:13]
	v_add_f64_e32 v[8:9], 0x3cdee6d893f65eba, v[8:9]
	s_delay_alu instid0(VALU_DEP_3) | instskip(SKIP_1) | instid1(VALU_DEP_4)
	v_add_f64_e32 v[16:17], 1.0, v[14:15]
	v_add_f64_e32 v[22:23], -1.0, v[14:15]
	v_subrev_co_ci_u32_e64 v1, null, 0, v1, vcc_lo
	v_cmp_neq_f64_e32 vcc_lo, 0x7ff00000, v[12:13]
	v_fma_f64 v[10:11], v[6:7], v[8:9], -v[10:11]
	v_rcp_f64_e32 v[18:19], v[16:17]
	v_add_f64_e32 v[24:25], -1.0, v[16:17]
	s_delay_alu instid0(VALU_DEP_2) | instskip(NEXT) | instid1(VALU_DEP_2)
	v_add_f64_e32 v[10:11], 0xbd0a5022c297fbeb, v[10:11]
	v_add_f64_e64 v[14:15], v[14:15], -v[24:25]
	s_delay_alu instid0(TRANS32_DEP_1) | instskip(NEXT) | instid1(VALU_DEP_3)
	v_fma_f64 v[20:21], -v[16:17], v[18:19], 1.0
	v_fma_f64 v[8:9], v[6:7], v[10:11], -v[8:9]
	s_delay_alu instid0(VALU_DEP_2) | instskip(NEXT) | instid1(VALU_DEP_2)
	v_fmac_f64_e32 v[18:19], v[20:21], v[18:19]
	v_add_f64_e32 v[8:9], 0x3d359b464b262627, v[8:9]
	s_delay_alu instid0(VALU_DEP_2) | instskip(NEXT) | instid1(VALU_DEP_2)
	v_fma_f64 v[20:21], -v[16:17], v[18:19], 1.0
	v_fma_f64 v[10:11], v[6:7], v[8:9], -v[10:11]
	s_delay_alu instid0(VALU_DEP_2) | instskip(NEXT) | instid1(VALU_DEP_2)
	v_fmac_f64_e32 v[18:19], v[20:21], v[18:19]
	v_add_f64_e32 v[10:11], 0xbd61164c62ee1af0, v[10:11]
	s_delay_alu instid0(VALU_DEP_2) | instskip(NEXT) | instid1(VALU_DEP_2)
	v_mul_f64_e32 v[20:21], v[22:23], v[18:19]
	v_fma_f64 v[8:9], v[6:7], v[10:11], -v[8:9]
	s_delay_alu instid0(VALU_DEP_2) | instskip(NEXT) | instid1(VALU_DEP_2)
	v_mul_f64_e32 v[26:27], v[16:17], v[20:21]
	v_add_f64_e32 v[8:9], 0x3d89fe2fe19bd324, v[8:9]
	s_delay_alu instid0(VALU_DEP_2) | instskip(NEXT) | instid1(VALU_DEP_2)
	v_fma_f64 v[16:17], v[20:21], v[16:17], -v[26:27]
	v_fma_f64 v[10:11], v[6:7], v[8:9], -v[10:11]
	s_delay_alu instid0(VALU_DEP_2) | instskip(NEXT) | instid1(VALU_DEP_2)
	v_fmac_f64_e32 v[16:17], v[20:21], v[14:15]
	v_add_f64_e32 v[10:11], 0xbdb2fc957a946abc, v[10:11]
	s_delay_alu instid0(VALU_DEP_2) | instskip(NEXT) | instid1(VALU_DEP_2)
	v_add_f64_e32 v[14:15], v[26:27], v[16:17]
	v_fma_f64 v[8:9], v[6:7], v[10:11], -v[8:9]
	s_delay_alu instid0(VALU_DEP_2) | instskip(NEXT) | instid1(VALU_DEP_2)
	v_add_f64_e64 v[24:25], v[22:23], -v[14:15]
	v_add_f64_e32 v[8:9], 0x3dda98becc743c10, v[8:9]
	v_add_f64_e64 v[26:27], v[14:15], -v[26:27]
	s_delay_alu instid0(VALU_DEP_3) | instskip(NEXT) | instid1(VALU_DEP_3)
	v_add_f64_e64 v[22:23], v[22:23], -v[24:25]
	v_fma_f64 v[10:11], v[6:7], v[8:9], -v[10:11]
	s_delay_alu instid0(VALU_DEP_3) | instskip(SKIP_1) | instid1(VALU_DEP_4)
	v_add_f64_e64 v[16:17], v[26:27], -v[16:17]
	v_cvt_f64_i32_e32 v[26:27], v1
	v_add_f64_e64 v[14:15], v[22:23], -v[14:15]
	s_delay_alu instid0(VALU_DEP_4) | instskip(NEXT) | instid1(VALU_DEP_3)
	v_add_f64_e32 v[10:11], 0xbe01d4fe13ae9556, v[10:11]
	v_mul_f64_e32 v[28:29], 0x3fe62e42fefa39ef, v[26:27]
	s_delay_alu instid0(VALU_DEP_3) | instskip(NEXT) | instid1(VALU_DEP_3)
	v_add_f64_e32 v[14:15], v[16:17], v[14:15]
	v_fma_f64 v[8:9], v[6:7], v[10:11], -v[8:9]
	s_delay_alu instid0(VALU_DEP_2) | instskip(NEXT) | instid1(VALU_DEP_2)
	v_add_f64_e32 v[14:15], v[24:25], v[14:15]
	v_add_f64_e32 v[8:9], 0x3e26d903a454cb34, v[8:9]
	s_delay_alu instid0(VALU_DEP_2) | instskip(NEXT) | instid1(VALU_DEP_2)
	v_mul_f64_e32 v[14:15], v[18:19], v[14:15]
	v_fma_f64 v[10:11], v[6:7], v[8:9], -v[10:11]
	s_delay_alu instid0(VALU_DEP_2) | instskip(NEXT) | instid1(VALU_DEP_2)
	v_add_f64_e32 v[16:17], v[20:21], v[14:15]
	v_add_f64_e32 v[10:11], 0xbe4beaf68c0b30ab, v[10:11]
	s_delay_alu instid0(VALU_DEP_2) | instskip(NEXT) | instid1(VALU_DEP_2)
	v_mul_f64_e32 v[18:19], v[16:17], v[16:17]
	v_fma_f64 v[8:9], v[6:7], v[10:11], -v[8:9]
	s_delay_alu instid0(VALU_DEP_2) | instskip(NEXT) | instid1(VALU_DEP_2)
	v_fmaak_f64 v[22:23], s[26:27], v[18:19], 0x3fc385386b47b09a
	v_add_f64_e32 v[8:9], 0x3e703b769d4d6435, v[8:9]
	v_mul_f64_e32 v[24:25], v[16:17], v[18:19]
	s_mov_b64 s[26:27], 0x3ca3cee1e6a7fd77
	s_delay_alu instid0(VALU_DEP_3) | instskip(NEXT) | instid1(VALU_DEP_1)
	v_fmaak_f64 v[22:23], v[18:19], v[22:23], 0x3fc7474dd7f4df2e
	v_fmaak_f64 v[22:23], v[18:19], v[22:23], 0x3fcc71c016291751
	s_delay_alu instid0(VALU_DEP_1) | instskip(NEXT) | instid1(VALU_DEP_1)
	v_fmaak_f64 v[22:23], v[18:19], v[22:23], 0x3fd249249b27acf1
	v_fmaak_f64 v[22:23], v[18:19], v[22:23], 0x3fd99999998ef7b6
	v_fma_f64 v[10:11], v[6:7], v[8:9], -v[10:11]
	s_delay_alu instid0(VALU_DEP_2) | instskip(SKIP_2) | instid1(VALU_DEP_3)
	v_fmaak_f64 v[18:19], v[18:19], v[22:23], 0x3fe5555555555780
	v_ldexp_f64 v[22:23], v[16:17], 1
	v_add_f64_e64 v[16:17], v[16:17], -v[20:21]
	v_mul_f64_e32 v[18:19], v[24:25], v[18:19]
	v_fma_f64 v[24:25], v[4:5], v[4:5], -2.0
	v_add_f64_e32 v[10:11], 0xbe91ec638f227f8d, v[10:11]
	s_delay_alu instid0(VALU_DEP_4) | instskip(NEXT) | instid1(VALU_DEP_4)
	v_add_f64_e64 v[14:15], v[14:15], -v[16:17]
	v_add_f64_e32 v[20:21], v[22:23], v[18:19]
	s_delay_alu instid0(VALU_DEP_3) | instskip(NEXT) | instid1(VALU_DEP_3)
	v_fma_f64 v[8:9], v[6:7], v[10:11], -v[8:9]
	v_ldexp_f64 v[14:15], v[14:15], 1
	s_delay_alu instid0(VALU_DEP_3) | instskip(SKIP_2) | instid1(VALU_DEP_1)
	v_add_f64_e64 v[16:17], v[20:21], -v[22:23]
	v_fmaak_f64 v[22:23], s[26:27], v[24:25], 0x3d27fb0ac384c2aa
	s_mov_b64 s[26:27], 0x3fe62e42fefa39ef
	v_fmaak_f64 v[30:31], v[24:25], v[22:23], 0xbca3cee1e6a7fd77
	v_add_f64_e32 v[8:9], 0x3eb2bf24978cf4ac, v[8:9]
	s_delay_alu instid0(VALU_DEP_4) | instskip(NEXT) | instid1(VALU_DEP_3)
	v_add_f64_e64 v[16:17], v[18:19], -v[16:17]
	v_add_f64_e32 v[18:19], 0x3da6c25c47512144, v[30:31]
	v_fma_f64 v[30:31], v[26:27], s[26:27], -v[28:29]
	s_mov_b64 s[26:27], 0x3e5ade156a5dcb37
	s_delay_alu instid0(VALU_DEP_4) | instskip(NEXT) | instid1(VALU_DEP_4)
	v_fma_f64 v[10:11], v[6:7], v[8:9], -v[10:11]
	v_add_f64_e32 v[14:15], v[14:15], v[16:17]
	s_delay_alu instid0(VALU_DEP_4) | instskip(NEXT) | instid1(VALU_DEP_4)
	v_fma_f64 v[16:17], v[24:25], v[18:19], -v[22:23]
	v_fmamk_f64 v[22:23], v[26:27], 0x3c7abc9e3b39803f, v[30:31]
	s_delay_alu instid0(VALU_DEP_1) | instskip(SKIP_3) | instid1(VALU_DEP_4)
	v_add_f64_e32 v[30:31], v[28:29], v[22:23]
	v_add_f64_e32 v[10:11], 0xbed2866fcba56427, v[10:11]
	;; [unrolled: 1-line block ×4, first 2 shown]
	v_add_f64_e64 v[28:29], v[30:31], -v[28:29]
	s_delay_alu instid0(VALU_DEP_4) | instskip(NEXT) | instid1(VALU_DEP_4)
	v_fma_f64 v[8:9], v[6:7], v[10:11], -v[8:9]
	v_add_f64_e32 v[32:33], v[30:31], v[26:27]
	s_delay_alu instid0(VALU_DEP_4) | instskip(SKIP_1) | instid1(VALU_DEP_4)
	v_fma_f64 v[18:19], v[24:25], v[16:17], -v[18:19]
	v_add_f64_e64 v[20:21], v[26:27], -v[20:21]
	v_add_f64_e32 v[8:9], 0x3ef13f58be9a2859, v[8:9]
	s_delay_alu instid0(VALU_DEP_4) | instskip(NEXT) | instid1(VALU_DEP_4)
	v_add_f64_e64 v[34:35], v[32:33], -v[30:31]
	v_add_f64_e32 v[18:19], 0x3e9102bce7f95efc, v[18:19]
	s_delay_alu instid0(VALU_DEP_4)
	v_add_f64_e64 v[14:15], v[14:15], -v[20:21]
	v_add_f64_e64 v[20:21], v[22:23], -v[28:29]
	v_mul_f64_e32 v[28:29], 0x3ff71547652b82fe, v[4:5]
	v_fma_f64 v[10:11], v[6:7], v[8:9], -v[10:11]
	v_add_f64_e64 v[36:37], v[32:33], -v[34:35]
	v_fma_f64 v[16:17], v[24:25], v[18:19], -v[16:17]
	v_add_f64_e64 v[26:27], v[26:27], -v[34:35]
	s_delay_alu instid0(VALU_DEP_4) | instskip(NEXT) | instid1(VALU_DEP_4)
	v_add_f64_e32 v[10:11], 0xbf0e2b2659c41d5a, v[10:11]
	v_add_f64_e64 v[22:23], v[30:31], -v[36:37]
	s_delay_alu instid0(VALU_DEP_4) | instskip(SKIP_1) | instid1(VALU_DEP_4)
	v_add_f64_e32 v[16:17], 0x3ef7f900fe8cfca0, v[16:17]
	v_add_f64_e32 v[30:31], v[20:21], v[14:15]
	v_fma_f64 v[8:9], v[6:7], v[10:11], -v[8:9]
	s_delay_alu instid0(VALU_DEP_4) | instskip(NEXT) | instid1(VALU_DEP_4)
	v_add_f64_e32 v[22:23], v[26:27], v[22:23]
	v_fma_f64 v[18:19], v[24:25], v[16:17], -v[18:19]
	v_rndne_f64_e32 v[26:27], v[28:29]
	v_add_f64_e64 v[28:29], v[30:31], -v[20:21]
	v_add_f64_e32 v[8:9], 0x3f28b51b74107cab, v[8:9]
	v_add_f64_e32 v[22:23], v[30:31], v[22:23]
	;; [unrolled: 1-line block ×3, first 2 shown]
	v_fmamk_f64 v[4:5], v[26:27], 0xbfe62e42fefa39ef, v[4:5]
	v_add_f64_e64 v[30:31], v[30:31], -v[28:29]
	v_add_f64_e64 v[14:15], v[14:15], -v[28:29]
	v_cvt_i32_f64_e32 v1, v[26:27]
	s_delay_alu instid0(VALU_DEP_4) | instskip(NEXT) | instid1(VALU_DEP_1)
	v_fmamk_f64 v[4:5], v[26:27], 0xbc7abc9e3b39803f, v[4:5]
	v_fmaak_f64 v[36:37], s[26:27], v[4:5], 0x3e928af3fca7ab0c
	s_delay_alu instid0(VALU_DEP_1) | instskip(SKIP_1) | instid1(VALU_DEP_2)
	v_fmaak_f64 v[36:37], v[4:5], v[36:37], 0x3ec71dee623fde64
	v_fma_f64 v[10:11], v[6:7], v[8:9], -v[10:11]
	v_fmaak_f64 v[36:37], v[4:5], v[36:37], 0x3efa01997c89e6b0
	v_add_f64_e32 v[34:35], v[32:33], v[22:23]
	v_fma_f64 v[16:17], v[24:25], v[18:19], -v[16:17]
	v_add_f64_e64 v[20:21], v[20:21], -v[30:31]
	s_delay_alu instid0(VALU_DEP_4) | instskip(NEXT) | instid1(VALU_DEP_1)
	v_fmaak_f64 v[36:37], v[4:5], v[36:37], 0x3f2a01a014761f6e
	v_fmaak_f64 v[30:31], v[4:5], v[36:37], 0x3f56c16c1852b7b0
	v_add_f64_e32 v[10:11], 0xbf42e2fd1f15eb52, v[10:11]
	v_add_f64_e64 v[28:29], v[34:35], -v[32:33]
	v_add_f64_e32 v[16:17], 0x3fa26bf6554a9085, v[16:17]
	v_add_f64_e32 v[14:15], v[14:15], v[20:21]
	s_delay_alu instid0(VALU_DEP_4) | instskip(NEXT) | instid1(VALU_DEP_4)
	v_fma_f64 v[8:9], v[6:7], v[10:11], -v[8:9]
	v_add_f64_e64 v[20:21], v[22:23], -v[28:29]
	s_delay_alu instid0(VALU_DEP_4) | instskip(NEXT) | instid1(VALU_DEP_3)
	v_fma_f64 v[18:19], v[24:25], v[16:17], -v[18:19]
	v_add_f64_e32 v[8:9], 0x3f5adc758a12100e, v[8:9]
	s_delay_alu instid0(VALU_DEP_3) | instskip(NEXT) | instid1(VALU_DEP_3)
	v_add_f64_e32 v[14:15], v[14:15], v[20:21]
	v_add_f64_e32 v[18:19], 0x3fd608d881213db9, v[18:19]
	s_delay_alu instid0(VALU_DEP_3) | instskip(NEXT) | instid1(VALU_DEP_1)
	v_fma_f64 v[10:11], v[6:7], v[8:9], -v[10:11]
	v_add_f64_e32 v[10:11], 0xbf71b65e201aa849, v[10:11]
	s_delay_alu instid0(VALU_DEP_1) | instskip(NEXT) | instid1(VALU_DEP_1)
	v_fma_f64 v[8:9], v[6:7], v[10:11], -v[8:9]
	v_add_f64_e32 v[8:9], 0x3f859961f3dde3dd, v[8:9]
	s_delay_alu instid0(VALU_DEP_1) | instskip(NEXT) | instid1(VALU_DEP_1)
	;; [unrolled: 3-line block ×6, first 2 shown]
	v_fma_f64 v[10:11], v[6:7], v[8:9], -v[10:11]
	v_add_f64_e32 v[10:11], 0xbfd37febc057cd8d, v[10:11]
	s_delay_alu instid0(VALU_DEP_1) | instskip(SKIP_1) | instid1(VALU_DEP_1)
	v_fma_f64 v[6:7], v[6:7], v[10:11], -v[8:9]
	v_fmaak_f64 v[10:11], v[4:5], v[30:31], 0x3f81111111122322
	v_fmaak_f64 v[10:11], v[4:5], v[10:11], 0x3fa55555555502a1
	s_delay_alu instid0(VALU_DEP_1) | instskip(NEXT) | instid1(VALU_DEP_1)
	v_fmaak_f64 v[10:11], v[4:5], v[10:11], 0x3fc5555555555511
	v_fmaak_f64 v[10:11], v[4:5], v[10:11], 0x3fe000000000000b
	s_delay_alu instid0(VALU_DEP_1) | instskip(SKIP_1) | instid1(VALU_DEP_2)
	v_fma_f64 v[10:11], v[4:5], v[10:11], 1.0
	v_add_f64_e32 v[6:7], 0x3fe5a84e9035a22a, v[6:7]
	v_fma_f64 v[4:5], v[4:5], v[10:11], 1.0
	v_fma_f64 v[10:11], v[24:25], v[18:19], -v[16:17]
	s_delay_alu instid0(VALU_DEP_3) | instskip(SKIP_1) | instid1(VALU_DEP_4)
	v_add_f64_e64 v[6:7], v[6:7], -v[8:9]
	v_add_f64_e32 v[8:9], v[34:35], v[14:15]
	v_ldexp_f64 v[4:5], v[4:5], v1
	s_delay_alu instid0(VALU_DEP_4) | instskip(NEXT) | instid1(VALU_DEP_4)
	v_add_f64_e32 v[10:11], 0xbfe12166e9d2f61f, v[10:11]
	v_mul_f64_e32 v[6:7], 0.5, v[6:7]
	s_delay_alu instid0(VALU_DEP_4) | instskip(SKIP_2) | instid1(VALU_DEP_2)
	v_cndmask_b32_e32 v1, 0x7ff00000, v9, vcc_lo
	s_and_b32 vcc_lo, s0, vcc_lo
	v_cndmask_b32_e32 v8, 0, v8, vcc_lo
	v_cndmask_b32_e64 v9, 0xfff00000, v1, s0
	v_add_f64_e64 v[10:11], v[10:11], -v[16:17]
	v_mul_f64_e32 v[6:7], v[4:5], v[6:7]
	s_delay_alu instid0(VALU_DEP_1) | instskip(NEXT) | instid1(VALU_DEP_1)
	v_mul_f64_e32 v[6:7], v[8:9], v[6:7]
	v_fma_f64 v[6:7], v[10:11], 0.5, -v[6:7]
	s_delay_alu instid0(VALU_DEP_1)
	v_mul_f64_e32 v[6:7], v[4:5], v[6:7]
                                        ; implicit-def: $vgpr4_vgpr5
.LBB7_142:
	s_and_not1_saveexec_b32 s0, s24
	s_cbranch_execz .LBB7_144
; %bb.143:
	v_div_scale_f64 v[6:7], null, v[4:5], v[4:5], 0x40200000
	v_div_scale_f64 v[12:13], vcc_lo, 0x40200000, v[4:5], 0x40200000
	s_mov_b64 s[24:25], 0x3c5871a5cf8c9ee1
	v_rcp_f64_e32 v[8:9], v[6:7]
	v_nop
	s_delay_alu instid0(TRANS32_DEP_1) | instskip(NEXT) | instid1(VALU_DEP_1)
	v_fma_f64 v[10:11], -v[6:7], v[8:9], 1.0
	v_fmac_f64_e32 v[8:9], v[8:9], v[10:11]
	s_delay_alu instid0(VALU_DEP_1) | instskip(NEXT) | instid1(VALU_DEP_1)
	v_fma_f64 v[10:11], -v[6:7], v[8:9], 1.0
	v_fmac_f64_e32 v[8:9], v[8:9], v[10:11]
	s_delay_alu instid0(VALU_DEP_1) | instskip(NEXT) | instid1(VALU_DEP_1)
	v_mul_f64_e32 v[10:11], v[12:13], v[8:9]
	v_fma_f64 v[6:7], -v[6:7], v[10:11], v[12:13]
	s_delay_alu instid0(VALU_DEP_1) | instskip(SKIP_1) | instid1(VALU_DEP_2)
	v_div_fmas_f64 v[6:7], v[6:7], v[8:9], v[10:11]
	v_cmp_gt_f64_e32 vcc_lo, 0x10000000, v[4:5]
	v_div_fixup_f64 v[6:7], v[6:7], v[4:5], 0x40200000
	v_cndmask_b32_e64 v1, 0, 0x100, vcc_lo
	s_delay_alu instid0(VALU_DEP_1) | instskip(SKIP_1) | instid1(VALU_DEP_2)
	v_ldexp_f64 v[4:5], v[4:5], v1
	v_cndmask_b32_e64 v1, 0, 0xffffff80, vcc_lo
	v_cmp_class_f64_e64 vcc_lo, v[4:5], 0x260
	v_add_f64_e32 v[6:7], -2.0, v[6:7]
	v_rsq_f64_e32 v[12:13], v[4:5]
	s_delay_alu instid0(VALU_DEP_1) | instskip(NEXT) | instid1(TRANS32_DEP_1)
	v_fmaak_f64 v[8:9], s[24:25], v[6:7], 0xbc72fecc93812603
	v_mul_f64_e32 v[14:15], v[4:5], v[12:13]
	s_delay_alu instid0(VALU_DEP_2) | instskip(SKIP_1) | instid1(VALU_DEP_2)
	v_fmaak_f64 v[10:11], v[6:7], v[8:9], 0xbc5871a5cf8c9ee1
	v_mul_f64_e32 v[12:13], 0.5, v[12:13]
	v_add_f64_e32 v[10:11], 0x3c8e092e41a8cdf4, v[10:11]
	s_delay_alu instid0(VALU_DEP_2) | instskip(NEXT) | instid1(VALU_DEP_2)
	v_fma_f64 v[16:17], -v[12:13], v[14:15], 0.5
	v_fma_f64 v[8:9], v[6:7], v[10:11], -v[8:9]
	s_delay_alu instid0(VALU_DEP_2) | instskip(SKIP_1) | instid1(VALU_DEP_3)
	v_fmac_f64_e32 v[14:15], v[14:15], v[16:17]
	v_fmac_f64_e32 v[12:13], v[12:13], v[16:17]
	v_add_f64_e32 v[8:9], 0xbca82f9474d77641, v[8:9]
	s_delay_alu instid0(VALU_DEP_3) | instskip(NEXT) | instid1(VALU_DEP_2)
	v_fma_f64 v[16:17], -v[14:15], v[14:15], v[4:5]
	v_fma_f64 v[10:11], v[6:7], v[8:9], -v[10:11]
	s_delay_alu instid0(VALU_DEP_2) | instskip(NEXT) | instid1(VALU_DEP_2)
	v_fmac_f64_e32 v[14:15], v[16:17], v[12:13]
	v_add_f64_e32 v[10:11], 0x3cc3dbf96b94785b, v[10:11]
	s_delay_alu instid0(VALU_DEP_1) | instskip(NEXT) | instid1(VALU_DEP_1)
	v_fma_f64 v[8:9], v[6:7], v[10:11], -v[8:9]
	v_add_f64_e32 v[8:9], 0xbce0a690ecfadd36, v[8:9]
	s_delay_alu instid0(VALU_DEP_1) | instskip(NEXT) | instid1(VALU_DEP_1)
	v_fma_f64 v[10:11], v[6:7], v[8:9], -v[10:11]
	;; [unrolled: 3-line block ×19, first 2 shown]
	v_add_f64_e32 v[8:9], 0xbfa019f72d4ff71e, v[8:9]
	s_delay_alu instid0(VALU_DEP_1) | instskip(SKIP_1) | instid1(VALU_DEP_2)
	v_fma_f64 v[6:7], v[6:7], v[8:9], -v[10:11]
	v_fma_f64 v[8:9], -v[14:15], v[14:15], v[4:5]
	v_add_f64_e32 v[6:7], 0x400385bd9f4e6907, v[6:7]
	s_delay_alu instid0(VALU_DEP_2) | instskip(NEXT) | instid1(VALU_DEP_2)
	v_fmac_f64_e32 v[14:15], v[8:9], v[12:13]
	v_add_f64_e64 v[6:7], v[6:7], -v[10:11]
	s_delay_alu instid0(VALU_DEP_2) | instskip(NEXT) | instid1(VALU_DEP_1)
	v_ldexp_f64 v[8:9], v[14:15], v1
	v_dual_mul_f64 v[6:7], 0.5, v[6:7] :: v_dual_cndmask_b32 v5, v9, v5, vcc_lo
	s_delay_alu instid0(VALU_DEP_2) | instskip(NEXT) | instid1(VALU_DEP_1)
	v_cndmask_b32_e32 v4, v8, v4, vcc_lo
	v_div_scale_f64 v[8:9], null, v[4:5], v[4:5], v[6:7]
	s_delay_alu instid0(VALU_DEP_1) | instskip(SKIP_1) | instid1(TRANS32_DEP_1)
	v_rcp_f64_e32 v[10:11], v[8:9]
	v_nop
	v_fma_f64 v[12:13], -v[8:9], v[10:11], 1.0
	s_delay_alu instid0(VALU_DEP_1) | instskip(NEXT) | instid1(VALU_DEP_1)
	v_fmac_f64_e32 v[10:11], v[10:11], v[12:13]
	v_fma_f64 v[12:13], -v[8:9], v[10:11], 1.0
	s_delay_alu instid0(VALU_DEP_1) | instskip(SKIP_1) | instid1(VALU_DEP_1)
	v_fmac_f64_e32 v[10:11], v[10:11], v[12:13]
	v_div_scale_f64 v[12:13], vcc_lo, v[6:7], v[4:5], v[6:7]
	v_mul_f64_e32 v[14:15], v[12:13], v[10:11]
	s_delay_alu instid0(VALU_DEP_1) | instskip(NEXT) | instid1(VALU_DEP_1)
	v_fma_f64 v[8:9], -v[8:9], v[14:15], v[12:13]
	v_div_fmas_f64 v[8:9], v[8:9], v[10:11], v[14:15]
	s_delay_alu instid0(VALU_DEP_1)
	v_div_fixup_f64 v[6:7], v[8:9], v[4:5], v[6:7]
.LBB7_144:
	s_or_b32 exec_lo, exec_lo, s0
.LBB7_145:
	s_delay_alu instid0(SALU_CYCLE_1)
	s_or_b32 exec_lo, exec_lo, s23
.LBB7_146:
	s_delay_alu instid0(SALU_CYCLE_1) | instskip(SKIP_4) | instid1(SALU_CYCLE_1)
	s_or_b32 exec_lo, exec_lo, s22
	v_add_nc_u32_e32 v0, 0x80, v0
	global_store_b64 v2, v[6:7], s[4:5]
	s_wait_xcnt 0x0
	s_or_b32 exec_lo, exec_lo, s9
	s_mov_b32 s9, exec_lo
	v_cmpx_gt_i32_e64 s34, v0
	s_cbranch_execnz .LBB7_124
.LBB7_147:
	s_or_b32 exec_lo, exec_lo, s9
	s_delay_alu instid0(SALU_CYCLE_1)
	s_mov_b32 s9, exec_lo
	v_cmpx_gt_i32_e64 s34, v0
	s_cbranch_execnz .LBB7_166
.LBB7_148:
	s_or_b32 exec_lo, exec_lo, s9
                                        ; implicit-def: $vgpr8
                                        ; implicit-def: $vgpr0
	s_and_not1_saveexec_b32 s0, s31
	s_cbranch_execnz .LBB7_8
.LBB7_149:
	s_endpgm
.LBB7_150:
	v_mov_b64_e32 v[2:3], 0
	v_mov_b32_e32 v1, v0
	s_mov_b32 s22, 0
.LBB7_151:
	s_and_b32 s0, s0, 3
	s_mov_b32 s23, 0
	s_cmp_eq_u32 s0, 0
	s_cbranch_scc1 .LBB7_154
; %bb.152:
	s_lshl_b32 s24, s22, 3
	s_mov_b32 s25, s23
	s_mul_u64 s[26:27], s[22:23], 12
	s_add_nc_u64 s[24:25], s[2:3], s[24:25]
	s_delay_alu instid0(SALU_CYCLE_1)
	s_add_nc_u64 s[22:23], s[24:25], 0xc4
	s_add_nc_u64 s[24:25], s[2:3], s[26:27]
.LBB7_153:                              ; =>This Inner Loop Header: Depth=1
	s_load_b96 s[40:42], s[24:25], 0x4
	s_load_b64 s[26:27], s[22:23], 0x0
	s_add_co_i32 s0, s0, -1
	s_wait_xcnt 0x0
	s_add_nc_u64 s[24:25], s[24:25], 12
	s_cmp_lg_u32 s0, 0
	s_add_nc_u64 s[22:23], s[22:23], 8
	s_wait_kmcnt 0x0
	v_mul_hi_u32 v4, s41, v1
	s_delay_alu instid0(VALU_DEP_1) | instskip(NEXT) | instid1(VALU_DEP_1)
	v_add_nc_u32_e32 v4, v1, v4
	v_lshrrev_b32_e32 v4, s42, v4
	s_delay_alu instid0(VALU_DEP_1) | instskip(NEXT) | instid1(VALU_DEP_1)
	v_mul_lo_u32 v5, v4, s40
	v_sub_nc_u32_e32 v1, v1, v5
	s_delay_alu instid0(VALU_DEP_1)
	v_mad_u32 v3, v1, s27, v3
	v_mad_u32 v2, v1, s26, v2
	v_mov_b32_e32 v1, v4
	s_cbranch_scc1 .LBB7_153
.LBB7_154:
	s_cbranch_execnz .LBB7_157
.LBB7_155:
	v_mov_b32_e32 v1, 0
	s_and_not1_b32 vcc_lo, exec_lo, s33
	s_delay_alu instid0(VALU_DEP_1) | instskip(NEXT) | instid1(VALU_DEP_1)
	v_mul_u64_e32 v[2:3], s[16:17], v[0:1]
	v_add_nc_u32_e32 v2, v0, v3
	s_delay_alu instid0(VALU_DEP_1) | instskip(NEXT) | instid1(VALU_DEP_1)
	v_lshrrev_b32_e32 v4, s10, v2
	v_mul_lo_u32 v2, v4, s8
	s_delay_alu instid0(VALU_DEP_1) | instskip(NEXT) | instid1(VALU_DEP_1)
	v_sub_nc_u32_e32 v2, v0, v2
	v_mul_lo_u32 v3, v2, s13
	v_mul_lo_u32 v2, v2, s12
	s_cbranch_vccnz .LBB7_157
; %bb.156:
	v_mov_b32_e32 v5, v1
	s_delay_alu instid0(VALU_DEP_1) | instskip(NEXT) | instid1(VALU_DEP_1)
	v_mul_u64_e32 v[6:7], s[18:19], v[4:5]
	v_add_nc_u32_e32 v1, v4, v7
	s_delay_alu instid0(VALU_DEP_1) | instskip(NEXT) | instid1(VALU_DEP_1)
	v_lshrrev_b32_e32 v1, s1, v1
	v_mul_lo_u32 v1, v1, s11
	s_delay_alu instid0(VALU_DEP_1) | instskip(NEXT) | instid1(VALU_DEP_1)
	v_sub_nc_u32_e32 v1, v4, v1
	v_mad_u32 v2, v1, s14, v2
	v_mad_u32 v3, v1, s15, v3
.LBB7_157:
	global_load_b64 v[4:5], v3, s[6:7]
	v_mov_b64_e32 v[6:7], 0x7ff0000000000000
	s_mov_b32 s22, exec_lo
	s_wait_loadcnt 0x0
	v_cmpx_neq_f64_e32 0, v[4:5]
	s_cbranch_execz .LBB7_165
; %bb.158:
	v_mov_b64_e32 v[6:7], 0x7ff8000000000000
	s_mov_b32 s23, exec_lo
	v_cmpx_ngt_f64_e32 0, v[4:5]
	s_cbranch_execz .LBB7_164
; %bb.159:
                                        ; implicit-def: $vgpr6_vgpr7
	s_mov_b32 s0, exec_lo
	v_cmpx_ge_f64_e32 2.0, v[4:5]
	s_xor_b32 s24, exec_lo, s0
	s_cbranch_execz .LBB7_161
; %bb.160:
	v_fma_f64 v[6:7], v[4:5], 0.5, -2.0
	s_mov_b64 s[26:27], 0xbc545cb72134d0ef
	v_mul_f64_e32 v[12:13], 0.5, v[4:5]
	s_delay_alu instid0(VALU_DEP_2) | instskip(SKIP_1) | instid1(VALU_DEP_2)
	v_fmaak_f64 v[8:9], s[26:27], v[6:7], 0x3c833362977da589
	s_mov_b64 s[26:27], 0x3fe5555555555555
	v_frexp_mant_f64_e32 v[14:15], v[12:13]
	v_cmp_neq_f64_e64 s0, 0, v[12:13]
	s_delay_alu instid0(VALU_DEP_3) | instskip(NEXT) | instid1(VALU_DEP_1)
	v_fmaak_f64 v[10:11], v[6:7], v[8:9], 0x3c545cb72134d0ef
	v_add_f64_e32 v[10:11], 0xbcb184eb721ebbb4, v[10:11]
	s_delay_alu instid0(VALU_DEP_4) | instskip(SKIP_1) | instid1(VALU_DEP_2)
	v_cmp_gt_f64_e32 vcc_lo, s[26:27], v[14:15]
	s_mov_b64 s[26:27], 0x3fc3ab76bf559e2b
	v_fma_f64 v[8:9], v[6:7], v[10:11], -v[8:9]
	v_cndmask_b32_e64 v1, 0, 1, vcc_lo
	s_delay_alu instid0(VALU_DEP_1) | instskip(SKIP_1) | instid1(VALU_DEP_4)
	v_ldexp_f64 v[14:15], v[14:15], v1
	v_frexp_exp_i32_f64_e32 v1, v[12:13]
	v_add_f64_e32 v[8:9], 0x3cdee6d893f65eba, v[8:9]
	s_delay_alu instid0(VALU_DEP_3) | instskip(SKIP_1) | instid1(VALU_DEP_4)
	v_add_f64_e32 v[16:17], 1.0, v[14:15]
	v_add_f64_e32 v[22:23], -1.0, v[14:15]
	v_subrev_co_ci_u32_e64 v1, null, 0, v1, vcc_lo
	v_cmp_neq_f64_e32 vcc_lo, 0x7ff00000, v[12:13]
	v_fma_f64 v[10:11], v[6:7], v[8:9], -v[10:11]
	v_rcp_f64_e32 v[18:19], v[16:17]
	v_add_f64_e32 v[24:25], -1.0, v[16:17]
	s_delay_alu instid0(VALU_DEP_2) | instskip(NEXT) | instid1(VALU_DEP_2)
	v_add_f64_e32 v[10:11], 0xbd0a5022c297fbeb, v[10:11]
	v_add_f64_e64 v[14:15], v[14:15], -v[24:25]
	s_delay_alu instid0(TRANS32_DEP_1) | instskip(NEXT) | instid1(VALU_DEP_3)
	v_fma_f64 v[20:21], -v[16:17], v[18:19], 1.0
	v_fma_f64 v[8:9], v[6:7], v[10:11], -v[8:9]
	s_delay_alu instid0(VALU_DEP_2) | instskip(NEXT) | instid1(VALU_DEP_2)
	v_fmac_f64_e32 v[18:19], v[20:21], v[18:19]
	v_add_f64_e32 v[8:9], 0x3d359b464b262627, v[8:9]
	s_delay_alu instid0(VALU_DEP_2) | instskip(NEXT) | instid1(VALU_DEP_2)
	v_fma_f64 v[20:21], -v[16:17], v[18:19], 1.0
	v_fma_f64 v[10:11], v[6:7], v[8:9], -v[10:11]
	s_delay_alu instid0(VALU_DEP_2) | instskip(NEXT) | instid1(VALU_DEP_2)
	v_fmac_f64_e32 v[18:19], v[20:21], v[18:19]
	v_add_f64_e32 v[10:11], 0xbd61164c62ee1af0, v[10:11]
	s_delay_alu instid0(VALU_DEP_2) | instskip(NEXT) | instid1(VALU_DEP_2)
	v_mul_f64_e32 v[20:21], v[22:23], v[18:19]
	v_fma_f64 v[8:9], v[6:7], v[10:11], -v[8:9]
	s_delay_alu instid0(VALU_DEP_2) | instskip(NEXT) | instid1(VALU_DEP_2)
	v_mul_f64_e32 v[26:27], v[16:17], v[20:21]
	v_add_f64_e32 v[8:9], 0x3d89fe2fe19bd324, v[8:9]
	s_delay_alu instid0(VALU_DEP_2) | instskip(NEXT) | instid1(VALU_DEP_2)
	v_fma_f64 v[16:17], v[20:21], v[16:17], -v[26:27]
	v_fma_f64 v[10:11], v[6:7], v[8:9], -v[10:11]
	s_delay_alu instid0(VALU_DEP_2) | instskip(NEXT) | instid1(VALU_DEP_2)
	v_fmac_f64_e32 v[16:17], v[20:21], v[14:15]
	v_add_f64_e32 v[10:11], 0xbdb2fc957a946abc, v[10:11]
	s_delay_alu instid0(VALU_DEP_2) | instskip(NEXT) | instid1(VALU_DEP_2)
	v_add_f64_e32 v[14:15], v[26:27], v[16:17]
	v_fma_f64 v[8:9], v[6:7], v[10:11], -v[8:9]
	s_delay_alu instid0(VALU_DEP_2) | instskip(NEXT) | instid1(VALU_DEP_2)
	v_add_f64_e64 v[24:25], v[22:23], -v[14:15]
	v_add_f64_e32 v[8:9], 0x3dda98becc743c10, v[8:9]
	v_add_f64_e64 v[26:27], v[14:15], -v[26:27]
	s_delay_alu instid0(VALU_DEP_3) | instskip(NEXT) | instid1(VALU_DEP_3)
	v_add_f64_e64 v[22:23], v[22:23], -v[24:25]
	v_fma_f64 v[10:11], v[6:7], v[8:9], -v[10:11]
	s_delay_alu instid0(VALU_DEP_3) | instskip(SKIP_1) | instid1(VALU_DEP_4)
	v_add_f64_e64 v[16:17], v[26:27], -v[16:17]
	v_cvt_f64_i32_e32 v[26:27], v1
	v_add_f64_e64 v[14:15], v[22:23], -v[14:15]
	s_delay_alu instid0(VALU_DEP_4) | instskip(NEXT) | instid1(VALU_DEP_3)
	v_add_f64_e32 v[10:11], 0xbe01d4fe13ae9556, v[10:11]
	v_mul_f64_e32 v[28:29], 0x3fe62e42fefa39ef, v[26:27]
	s_delay_alu instid0(VALU_DEP_3) | instskip(NEXT) | instid1(VALU_DEP_3)
	v_add_f64_e32 v[14:15], v[16:17], v[14:15]
	v_fma_f64 v[8:9], v[6:7], v[10:11], -v[8:9]
	s_delay_alu instid0(VALU_DEP_2) | instskip(NEXT) | instid1(VALU_DEP_2)
	v_add_f64_e32 v[14:15], v[24:25], v[14:15]
	v_add_f64_e32 v[8:9], 0x3e26d903a454cb34, v[8:9]
	s_delay_alu instid0(VALU_DEP_2) | instskip(NEXT) | instid1(VALU_DEP_2)
	v_mul_f64_e32 v[14:15], v[18:19], v[14:15]
	v_fma_f64 v[10:11], v[6:7], v[8:9], -v[10:11]
	s_delay_alu instid0(VALU_DEP_2) | instskip(NEXT) | instid1(VALU_DEP_2)
	v_add_f64_e32 v[16:17], v[20:21], v[14:15]
	v_add_f64_e32 v[10:11], 0xbe4beaf68c0b30ab, v[10:11]
	s_delay_alu instid0(VALU_DEP_2) | instskip(NEXT) | instid1(VALU_DEP_2)
	v_mul_f64_e32 v[18:19], v[16:17], v[16:17]
	v_fma_f64 v[8:9], v[6:7], v[10:11], -v[8:9]
	s_delay_alu instid0(VALU_DEP_2) | instskip(NEXT) | instid1(VALU_DEP_2)
	v_fmaak_f64 v[22:23], s[26:27], v[18:19], 0x3fc385386b47b09a
	v_add_f64_e32 v[8:9], 0x3e703b769d4d6435, v[8:9]
	v_mul_f64_e32 v[24:25], v[16:17], v[18:19]
	s_mov_b64 s[26:27], 0x3ca3cee1e6a7fd77
	s_delay_alu instid0(VALU_DEP_3) | instskip(NEXT) | instid1(VALU_DEP_1)
	v_fmaak_f64 v[22:23], v[18:19], v[22:23], 0x3fc7474dd7f4df2e
	v_fmaak_f64 v[22:23], v[18:19], v[22:23], 0x3fcc71c016291751
	s_delay_alu instid0(VALU_DEP_1) | instskip(NEXT) | instid1(VALU_DEP_1)
	v_fmaak_f64 v[22:23], v[18:19], v[22:23], 0x3fd249249b27acf1
	v_fmaak_f64 v[22:23], v[18:19], v[22:23], 0x3fd99999998ef7b6
	v_fma_f64 v[10:11], v[6:7], v[8:9], -v[10:11]
	s_delay_alu instid0(VALU_DEP_2) | instskip(SKIP_2) | instid1(VALU_DEP_3)
	v_fmaak_f64 v[18:19], v[18:19], v[22:23], 0x3fe5555555555780
	v_ldexp_f64 v[22:23], v[16:17], 1
	v_add_f64_e64 v[16:17], v[16:17], -v[20:21]
	v_mul_f64_e32 v[18:19], v[24:25], v[18:19]
	v_fma_f64 v[24:25], v[4:5], v[4:5], -2.0
	v_add_f64_e32 v[10:11], 0xbe91ec638f227f8d, v[10:11]
	s_delay_alu instid0(VALU_DEP_4) | instskip(NEXT) | instid1(VALU_DEP_4)
	v_add_f64_e64 v[14:15], v[14:15], -v[16:17]
	v_add_f64_e32 v[20:21], v[22:23], v[18:19]
	s_delay_alu instid0(VALU_DEP_3) | instskip(NEXT) | instid1(VALU_DEP_3)
	v_fma_f64 v[8:9], v[6:7], v[10:11], -v[8:9]
	v_ldexp_f64 v[14:15], v[14:15], 1
	s_delay_alu instid0(VALU_DEP_3) | instskip(SKIP_2) | instid1(VALU_DEP_1)
	v_add_f64_e64 v[16:17], v[20:21], -v[22:23]
	v_fmaak_f64 v[22:23], s[26:27], v[24:25], 0x3d27fb0ac384c2aa
	s_mov_b64 s[26:27], 0x3fe62e42fefa39ef
	v_fmaak_f64 v[30:31], v[24:25], v[22:23], 0xbca3cee1e6a7fd77
	v_add_f64_e32 v[8:9], 0x3eb2bf24978cf4ac, v[8:9]
	s_delay_alu instid0(VALU_DEP_4) | instskip(NEXT) | instid1(VALU_DEP_3)
	v_add_f64_e64 v[16:17], v[18:19], -v[16:17]
	v_add_f64_e32 v[18:19], 0x3da6c25c47512144, v[30:31]
	v_fma_f64 v[30:31], v[26:27], s[26:27], -v[28:29]
	s_mov_b64 s[26:27], 0x3e5ade156a5dcb37
	s_delay_alu instid0(VALU_DEP_4) | instskip(NEXT) | instid1(VALU_DEP_4)
	v_fma_f64 v[10:11], v[6:7], v[8:9], -v[10:11]
	v_add_f64_e32 v[14:15], v[14:15], v[16:17]
	s_delay_alu instid0(VALU_DEP_4) | instskip(NEXT) | instid1(VALU_DEP_4)
	v_fma_f64 v[16:17], v[24:25], v[18:19], -v[22:23]
	v_fmamk_f64 v[22:23], v[26:27], 0x3c7abc9e3b39803f, v[30:31]
	s_delay_alu instid0(VALU_DEP_1) | instskip(SKIP_3) | instid1(VALU_DEP_4)
	v_add_f64_e32 v[30:31], v[28:29], v[22:23]
	v_add_f64_e32 v[10:11], 0xbed2866fcba56427, v[10:11]
	;; [unrolled: 1-line block ×4, first 2 shown]
	v_add_f64_e64 v[28:29], v[30:31], -v[28:29]
	s_delay_alu instid0(VALU_DEP_4) | instskip(NEXT) | instid1(VALU_DEP_4)
	v_fma_f64 v[8:9], v[6:7], v[10:11], -v[8:9]
	v_add_f64_e32 v[32:33], v[30:31], v[26:27]
	s_delay_alu instid0(VALU_DEP_4) | instskip(SKIP_1) | instid1(VALU_DEP_4)
	v_fma_f64 v[18:19], v[24:25], v[16:17], -v[18:19]
	v_add_f64_e64 v[20:21], v[26:27], -v[20:21]
	v_add_f64_e32 v[8:9], 0x3ef13f58be9a2859, v[8:9]
	s_delay_alu instid0(VALU_DEP_4) | instskip(NEXT) | instid1(VALU_DEP_4)
	v_add_f64_e64 v[34:35], v[32:33], -v[30:31]
	v_add_f64_e32 v[18:19], 0x3e9102bce7f95efc, v[18:19]
	s_delay_alu instid0(VALU_DEP_4)
	v_add_f64_e64 v[14:15], v[14:15], -v[20:21]
	v_add_f64_e64 v[20:21], v[22:23], -v[28:29]
	v_mul_f64_e32 v[28:29], 0x3ff71547652b82fe, v[4:5]
	v_fma_f64 v[10:11], v[6:7], v[8:9], -v[10:11]
	v_add_f64_e64 v[36:37], v[32:33], -v[34:35]
	v_fma_f64 v[16:17], v[24:25], v[18:19], -v[16:17]
	v_add_f64_e64 v[26:27], v[26:27], -v[34:35]
	s_delay_alu instid0(VALU_DEP_4) | instskip(NEXT) | instid1(VALU_DEP_4)
	v_add_f64_e32 v[10:11], 0xbf0e2b2659c41d5a, v[10:11]
	v_add_f64_e64 v[22:23], v[30:31], -v[36:37]
	s_delay_alu instid0(VALU_DEP_4) | instskip(SKIP_1) | instid1(VALU_DEP_4)
	v_add_f64_e32 v[16:17], 0x3ef7f900fe8cfca0, v[16:17]
	v_add_f64_e32 v[30:31], v[20:21], v[14:15]
	v_fma_f64 v[8:9], v[6:7], v[10:11], -v[8:9]
	s_delay_alu instid0(VALU_DEP_4) | instskip(NEXT) | instid1(VALU_DEP_4)
	v_add_f64_e32 v[22:23], v[26:27], v[22:23]
	v_fma_f64 v[18:19], v[24:25], v[16:17], -v[18:19]
	v_rndne_f64_e32 v[26:27], v[28:29]
	v_add_f64_e64 v[28:29], v[30:31], -v[20:21]
	v_add_f64_e32 v[8:9], 0x3f28b51b74107cab, v[8:9]
	v_add_f64_e32 v[22:23], v[30:31], v[22:23]
	v_add_f64_e32 v[18:19], 0x3f54b82e75633d73, v[18:19]
	v_fmamk_f64 v[4:5], v[26:27], 0xbfe62e42fefa39ef, v[4:5]
	v_add_f64_e64 v[30:31], v[30:31], -v[28:29]
	v_add_f64_e64 v[14:15], v[14:15], -v[28:29]
	v_cvt_i32_f64_e32 v1, v[26:27]
	s_delay_alu instid0(VALU_DEP_4) | instskip(NEXT) | instid1(VALU_DEP_1)
	v_fmamk_f64 v[4:5], v[26:27], 0xbc7abc9e3b39803f, v[4:5]
	v_fmaak_f64 v[36:37], s[26:27], v[4:5], 0x3e928af3fca7ab0c
	s_delay_alu instid0(VALU_DEP_1) | instskip(SKIP_1) | instid1(VALU_DEP_2)
	v_fmaak_f64 v[36:37], v[4:5], v[36:37], 0x3ec71dee623fde64
	v_fma_f64 v[10:11], v[6:7], v[8:9], -v[10:11]
	v_fmaak_f64 v[36:37], v[4:5], v[36:37], 0x3efa01997c89e6b0
	v_add_f64_e32 v[34:35], v[32:33], v[22:23]
	v_fma_f64 v[16:17], v[24:25], v[18:19], -v[16:17]
	v_add_f64_e64 v[20:21], v[20:21], -v[30:31]
	s_delay_alu instid0(VALU_DEP_4) | instskip(NEXT) | instid1(VALU_DEP_1)
	v_fmaak_f64 v[36:37], v[4:5], v[36:37], 0x3f2a01a014761f6e
	v_fmaak_f64 v[30:31], v[4:5], v[36:37], 0x3f56c16c1852b7b0
	v_add_f64_e32 v[10:11], 0xbf42e2fd1f15eb52, v[10:11]
	v_add_f64_e64 v[28:29], v[34:35], -v[32:33]
	v_add_f64_e32 v[16:17], 0x3fa26bf6554a9085, v[16:17]
	v_add_f64_e32 v[14:15], v[14:15], v[20:21]
	s_delay_alu instid0(VALU_DEP_4) | instskip(NEXT) | instid1(VALU_DEP_4)
	v_fma_f64 v[8:9], v[6:7], v[10:11], -v[8:9]
	v_add_f64_e64 v[20:21], v[22:23], -v[28:29]
	s_delay_alu instid0(VALU_DEP_4) | instskip(NEXT) | instid1(VALU_DEP_3)
	v_fma_f64 v[18:19], v[24:25], v[16:17], -v[18:19]
	v_add_f64_e32 v[8:9], 0x3f5adc758a12100e, v[8:9]
	s_delay_alu instid0(VALU_DEP_3) | instskip(NEXT) | instid1(VALU_DEP_3)
	v_add_f64_e32 v[14:15], v[14:15], v[20:21]
	v_add_f64_e32 v[18:19], 0x3fd608d881213db9, v[18:19]
	s_delay_alu instid0(VALU_DEP_3) | instskip(NEXT) | instid1(VALU_DEP_1)
	v_fma_f64 v[10:11], v[6:7], v[8:9], -v[10:11]
	v_add_f64_e32 v[10:11], 0xbf71b65e201aa849, v[10:11]
	s_delay_alu instid0(VALU_DEP_1) | instskip(NEXT) | instid1(VALU_DEP_1)
	v_fma_f64 v[8:9], v[6:7], v[10:11], -v[8:9]
	v_add_f64_e32 v[8:9], 0x3f859961f3dde3dd, v[8:9]
	s_delay_alu instid0(VALU_DEP_1) | instskip(NEXT) | instid1(VALU_DEP_1)
	v_fma_f64 v[10:11], v[6:7], v[8:9], -v[10:11]
	v_add_f64_e32 v[10:11], 0xbf984e9ef121b6f0, v[10:11]
	s_delay_alu instid0(VALU_DEP_1) | instskip(NEXT) | instid1(VALU_DEP_1)
	v_fma_f64 v[8:9], v[6:7], v[10:11], -v[8:9]
	v_add_f64_e32 v[8:9], 0x3fa93e8acea8a32d, v[8:9]
	s_delay_alu instid0(VALU_DEP_1) | instskip(NEXT) | instid1(VALU_DEP_1)
	v_fma_f64 v[10:11], v[6:7], v[8:9], -v[10:11]
	v_add_f64_e32 v[10:11], 0xbfb84b70342d06ea, v[10:11]
	s_delay_alu instid0(VALU_DEP_1) | instskip(NEXT) | instid1(VALU_DEP_1)
	v_fma_f64 v[8:9], v[6:7], v[10:11], -v[8:9]
	v_add_f64_e32 v[8:9], 0x3fc5f7ac77ac88c0, v[8:9]
	s_delay_alu instid0(VALU_DEP_1) | instskip(NEXT) | instid1(VALU_DEP_1)
	v_fma_f64 v[10:11], v[6:7], v[8:9], -v[10:11]
	v_add_f64_e32 v[10:11], 0xbfd37febc057cd8d, v[10:11]
	s_delay_alu instid0(VALU_DEP_1) | instskip(SKIP_1) | instid1(VALU_DEP_1)
	v_fma_f64 v[6:7], v[6:7], v[10:11], -v[8:9]
	v_fmaak_f64 v[10:11], v[4:5], v[30:31], 0x3f81111111122322
	v_fmaak_f64 v[10:11], v[4:5], v[10:11], 0x3fa55555555502a1
	s_delay_alu instid0(VALU_DEP_1) | instskip(NEXT) | instid1(VALU_DEP_1)
	v_fmaak_f64 v[10:11], v[4:5], v[10:11], 0x3fc5555555555511
	v_fmaak_f64 v[10:11], v[4:5], v[10:11], 0x3fe000000000000b
	s_delay_alu instid0(VALU_DEP_1) | instskip(SKIP_1) | instid1(VALU_DEP_2)
	v_fma_f64 v[10:11], v[4:5], v[10:11], 1.0
	v_add_f64_e32 v[6:7], 0x3fe5a84e9035a22a, v[6:7]
	v_fma_f64 v[4:5], v[4:5], v[10:11], 1.0
	v_fma_f64 v[10:11], v[24:25], v[18:19], -v[16:17]
	s_delay_alu instid0(VALU_DEP_3) | instskip(SKIP_1) | instid1(VALU_DEP_4)
	v_add_f64_e64 v[6:7], v[6:7], -v[8:9]
	v_add_f64_e32 v[8:9], v[34:35], v[14:15]
	v_ldexp_f64 v[4:5], v[4:5], v1
	s_delay_alu instid0(VALU_DEP_4) | instskip(NEXT) | instid1(VALU_DEP_4)
	v_add_f64_e32 v[10:11], 0xbfe12166e9d2f61f, v[10:11]
	v_mul_f64_e32 v[6:7], 0.5, v[6:7]
	s_delay_alu instid0(VALU_DEP_4) | instskip(SKIP_2) | instid1(VALU_DEP_2)
	v_cndmask_b32_e32 v1, 0x7ff00000, v9, vcc_lo
	s_and_b32 vcc_lo, s0, vcc_lo
	v_cndmask_b32_e32 v8, 0, v8, vcc_lo
	v_cndmask_b32_e64 v9, 0xfff00000, v1, s0
	v_add_f64_e64 v[10:11], v[10:11], -v[16:17]
	v_mul_f64_e32 v[6:7], v[4:5], v[6:7]
	s_delay_alu instid0(VALU_DEP_1) | instskip(NEXT) | instid1(VALU_DEP_1)
	v_mul_f64_e32 v[6:7], v[8:9], v[6:7]
	v_fma_f64 v[6:7], v[10:11], 0.5, -v[6:7]
	s_delay_alu instid0(VALU_DEP_1)
	v_mul_f64_e32 v[6:7], v[4:5], v[6:7]
                                        ; implicit-def: $vgpr4_vgpr5
.LBB7_161:
	s_and_not1_saveexec_b32 s0, s24
	s_cbranch_execz .LBB7_163
; %bb.162:
	v_div_scale_f64 v[6:7], null, v[4:5], v[4:5], 0x40200000
	v_div_scale_f64 v[12:13], vcc_lo, 0x40200000, v[4:5], 0x40200000
	s_mov_b64 s[24:25], 0x3c5871a5cf8c9ee1
	v_rcp_f64_e32 v[8:9], v[6:7]
	v_nop
	s_delay_alu instid0(TRANS32_DEP_1) | instskip(NEXT) | instid1(VALU_DEP_1)
	v_fma_f64 v[10:11], -v[6:7], v[8:9], 1.0
	v_fmac_f64_e32 v[8:9], v[8:9], v[10:11]
	s_delay_alu instid0(VALU_DEP_1) | instskip(NEXT) | instid1(VALU_DEP_1)
	v_fma_f64 v[10:11], -v[6:7], v[8:9], 1.0
	v_fmac_f64_e32 v[8:9], v[8:9], v[10:11]
	s_delay_alu instid0(VALU_DEP_1) | instskip(NEXT) | instid1(VALU_DEP_1)
	v_mul_f64_e32 v[10:11], v[12:13], v[8:9]
	v_fma_f64 v[6:7], -v[6:7], v[10:11], v[12:13]
	s_delay_alu instid0(VALU_DEP_1) | instskip(SKIP_1) | instid1(VALU_DEP_2)
	v_div_fmas_f64 v[6:7], v[6:7], v[8:9], v[10:11]
	v_cmp_gt_f64_e32 vcc_lo, 0x10000000, v[4:5]
	v_div_fixup_f64 v[6:7], v[6:7], v[4:5], 0x40200000
	v_cndmask_b32_e64 v1, 0, 0x100, vcc_lo
	s_delay_alu instid0(VALU_DEP_1) | instskip(SKIP_1) | instid1(VALU_DEP_2)
	v_ldexp_f64 v[4:5], v[4:5], v1
	v_cndmask_b32_e64 v1, 0, 0xffffff80, vcc_lo
	v_cmp_class_f64_e64 vcc_lo, v[4:5], 0x260
	v_add_f64_e32 v[6:7], -2.0, v[6:7]
	v_rsq_f64_e32 v[12:13], v[4:5]
	s_delay_alu instid0(VALU_DEP_1) | instskip(NEXT) | instid1(TRANS32_DEP_1)
	v_fmaak_f64 v[8:9], s[24:25], v[6:7], 0xbc72fecc93812603
	v_mul_f64_e32 v[14:15], v[4:5], v[12:13]
	s_delay_alu instid0(VALU_DEP_2) | instskip(SKIP_1) | instid1(VALU_DEP_2)
	v_fmaak_f64 v[10:11], v[6:7], v[8:9], 0xbc5871a5cf8c9ee1
	v_mul_f64_e32 v[12:13], 0.5, v[12:13]
	v_add_f64_e32 v[10:11], 0x3c8e092e41a8cdf4, v[10:11]
	s_delay_alu instid0(VALU_DEP_2) | instskip(NEXT) | instid1(VALU_DEP_2)
	v_fma_f64 v[16:17], -v[12:13], v[14:15], 0.5
	v_fma_f64 v[8:9], v[6:7], v[10:11], -v[8:9]
	s_delay_alu instid0(VALU_DEP_2) | instskip(SKIP_1) | instid1(VALU_DEP_3)
	v_fmac_f64_e32 v[14:15], v[14:15], v[16:17]
	v_fmac_f64_e32 v[12:13], v[12:13], v[16:17]
	v_add_f64_e32 v[8:9], 0xbca82f9474d77641, v[8:9]
	s_delay_alu instid0(VALU_DEP_3) | instskip(NEXT) | instid1(VALU_DEP_2)
	v_fma_f64 v[16:17], -v[14:15], v[14:15], v[4:5]
	v_fma_f64 v[10:11], v[6:7], v[8:9], -v[10:11]
	s_delay_alu instid0(VALU_DEP_2) | instskip(NEXT) | instid1(VALU_DEP_2)
	v_fmac_f64_e32 v[14:15], v[16:17], v[12:13]
	v_add_f64_e32 v[10:11], 0x3cc3dbf96b94785b, v[10:11]
	s_delay_alu instid0(VALU_DEP_1) | instskip(NEXT) | instid1(VALU_DEP_1)
	v_fma_f64 v[8:9], v[6:7], v[10:11], -v[8:9]
	v_add_f64_e32 v[8:9], 0xbce0a690ecfadd36, v[8:9]
	s_delay_alu instid0(VALU_DEP_1) | instskip(NEXT) | instid1(VALU_DEP_1)
	v_fma_f64 v[10:11], v[6:7], v[8:9], -v[10:11]
	;; [unrolled: 3-line block ×19, first 2 shown]
	v_add_f64_e32 v[8:9], 0xbfa019f72d4ff71e, v[8:9]
	s_delay_alu instid0(VALU_DEP_1) | instskip(SKIP_1) | instid1(VALU_DEP_2)
	v_fma_f64 v[6:7], v[6:7], v[8:9], -v[10:11]
	v_fma_f64 v[8:9], -v[14:15], v[14:15], v[4:5]
	v_add_f64_e32 v[6:7], 0x400385bd9f4e6907, v[6:7]
	s_delay_alu instid0(VALU_DEP_2) | instskip(NEXT) | instid1(VALU_DEP_2)
	v_fmac_f64_e32 v[14:15], v[8:9], v[12:13]
	v_add_f64_e64 v[6:7], v[6:7], -v[10:11]
	s_delay_alu instid0(VALU_DEP_2) | instskip(NEXT) | instid1(VALU_DEP_1)
	v_ldexp_f64 v[8:9], v[14:15], v1
	v_dual_mul_f64 v[6:7], 0.5, v[6:7] :: v_dual_cndmask_b32 v5, v9, v5, vcc_lo
	s_delay_alu instid0(VALU_DEP_2) | instskip(NEXT) | instid1(VALU_DEP_1)
	v_cndmask_b32_e32 v4, v8, v4, vcc_lo
	v_div_scale_f64 v[8:9], null, v[4:5], v[4:5], v[6:7]
	s_delay_alu instid0(VALU_DEP_1) | instskip(SKIP_1) | instid1(TRANS32_DEP_1)
	v_rcp_f64_e32 v[10:11], v[8:9]
	v_nop
	v_fma_f64 v[12:13], -v[8:9], v[10:11], 1.0
	s_delay_alu instid0(VALU_DEP_1) | instskip(NEXT) | instid1(VALU_DEP_1)
	v_fmac_f64_e32 v[10:11], v[10:11], v[12:13]
	v_fma_f64 v[12:13], -v[8:9], v[10:11], 1.0
	s_delay_alu instid0(VALU_DEP_1) | instskip(SKIP_1) | instid1(VALU_DEP_1)
	v_fmac_f64_e32 v[10:11], v[10:11], v[12:13]
	v_div_scale_f64 v[12:13], vcc_lo, v[6:7], v[4:5], v[6:7]
	v_mul_f64_e32 v[14:15], v[12:13], v[10:11]
	s_delay_alu instid0(VALU_DEP_1) | instskip(NEXT) | instid1(VALU_DEP_1)
	v_fma_f64 v[8:9], -v[8:9], v[14:15], v[12:13]
	v_div_fmas_f64 v[8:9], v[8:9], v[10:11], v[14:15]
	s_delay_alu instid0(VALU_DEP_1)
	v_div_fixup_f64 v[6:7], v[8:9], v[4:5], v[6:7]
.LBB7_163:
	s_or_b32 exec_lo, exec_lo, s0
.LBB7_164:
	s_delay_alu instid0(SALU_CYCLE_1)
	s_or_b32 exec_lo, exec_lo, s23
.LBB7_165:
	s_delay_alu instid0(SALU_CYCLE_1) | instskip(SKIP_4) | instid1(SALU_CYCLE_1)
	s_or_b32 exec_lo, exec_lo, s22
	v_add_nc_u32_e32 v0, 0x80, v0
	global_store_b64 v2, v[6:7], s[4:5]
	s_wait_xcnt 0x0
	s_or_b32 exec_lo, exec_lo, s9
	s_mov_b32 s9, exec_lo
	v_cmpx_gt_i32_e64 s34, v0
	s_cbranch_execz .LBB7_148
.LBB7_166:
	s_and_not1_b32 vcc_lo, exec_lo, s30
	s_cbranch_vccnz .LBB7_171
; %bb.167:
	s_and_not1_b32 vcc_lo, exec_lo, s36
	s_cbranch_vccnz .LBB7_172
; %bb.168:
	s_add_co_i32 s35, s35, 1
	s_cmp_eq_u32 s29, 2
	s_cbranch_scc1 .LBB7_173
; %bb.169:
	v_dual_mov_b32 v2, 0 :: v_dual_mov_b32 v3, 0
	v_mov_b32_e32 v1, v0
	s_and_b32 s22, s35, 28
	s_mov_b32 s0, 0
	s_mov_b64 s[24:25], s[2:3]
.LBB7_170:                              ; =>This Inner Loop Header: Depth=1
	s_clause 0x1
	s_load_b256 s[36:43], s[24:25], 0x4
	s_load_b128 s[52:55], s[24:25], 0x24
	s_load_b256 s[44:51], s[20:21], 0x0
	s_add_co_i32 s0, s0, 4
	s_wait_xcnt 0x0
	s_add_nc_u64 s[24:25], s[24:25], 48
	s_cmp_eq_u32 s22, s0
	s_add_nc_u64 s[20:21], s[20:21], 32
	s_wait_kmcnt 0x0
	v_mul_hi_u32 v4, s37, v1
	s_delay_alu instid0(VALU_DEP_1) | instskip(NEXT) | instid1(VALU_DEP_1)
	v_add_nc_u32_e32 v4, v1, v4
	v_lshrrev_b32_e32 v4, s38, v4
	s_delay_alu instid0(VALU_DEP_1) | instskip(NEXT) | instid1(VALU_DEP_1)
	v_mul_hi_u32 v5, s40, v4
	v_add_nc_u32_e32 v5, v4, v5
	s_delay_alu instid0(VALU_DEP_1) | instskip(NEXT) | instid1(VALU_DEP_1)
	v_lshrrev_b32_e32 v5, s41, v5
	v_mul_hi_u32 v6, s43, v5
	s_delay_alu instid0(VALU_DEP_1) | instskip(SKIP_1) | instid1(VALU_DEP_1)
	v_add_nc_u32_e32 v6, v5, v6
	v_mul_lo_u32 v7, v4, s36
	v_sub_nc_u32_e32 v1, v1, v7
	v_mul_lo_u32 v7, v5, s39
	s_delay_alu instid0(VALU_DEP_4) | instskip(NEXT) | instid1(VALU_DEP_3)
	v_lshrrev_b32_e32 v6, s52, v6
	v_mad_u32 v3, v1, s45, v3
	v_mad_u32 v1, v1, s44, v2
	s_delay_alu instid0(VALU_DEP_4) | instskip(NEXT) | instid1(VALU_DEP_4)
	v_sub_nc_u32_e32 v2, v4, v7
	v_mul_hi_u32 v8, s54, v6
	v_mul_lo_u32 v4, v6, s42
	s_delay_alu instid0(VALU_DEP_3) | instskip(SKIP_1) | instid1(VALU_DEP_4)
	v_mad_u32 v3, v2, s47, v3
	v_mad_u32 v2, v2, s46, v1
	v_add_nc_u32_e32 v7, v6, v8
	s_delay_alu instid0(VALU_DEP_1) | instskip(NEXT) | instid1(VALU_DEP_1)
	v_dual_sub_nc_u32 v4, v5, v4 :: v_dual_lshrrev_b32 v1, s55, v7
	v_mad_u32 v3, v4, s49, v3
	s_delay_alu instid0(VALU_DEP_4) | instskip(NEXT) | instid1(VALU_DEP_3)
	v_mad_u32 v2, v4, s48, v2
	v_mul_lo_u32 v5, v1, s53
	s_delay_alu instid0(VALU_DEP_1) | instskip(NEXT) | instid1(VALU_DEP_1)
	v_sub_nc_u32_e32 v4, v6, v5
	v_mad_u32 v3, v4, s51, v3
	s_delay_alu instid0(VALU_DEP_4)
	v_mad_u32 v2, v4, s50, v2
	s_cbranch_scc0 .LBB7_170
	s_branch .LBB7_174
.LBB7_171:
                                        ; implicit-def: $vgpr3
	s_branch .LBB7_178
.LBB7_172:
	v_dual_mov_b32 v3, 0 :: v_dual_mov_b32 v2, 0
	s_branch .LBB7_177
.LBB7_173:
	v_mov_b64_e32 v[2:3], 0
	v_mov_b32_e32 v1, v0
	s_mov_b32 s22, 0
.LBB7_174:
	s_and_b32 s0, s35, 3
	s_mov_b32 s23, 0
	s_cmp_eq_u32 s0, 0
	s_cbranch_scc1 .LBB7_177
; %bb.175:
	s_lshl_b32 s20, s22, 3
	s_mov_b32 s21, s23
	s_mul_u64 s[22:23], s[22:23], 12
	s_add_nc_u64 s[20:21], s[2:3], s[20:21]
	s_add_nc_u64 s[22:23], s[2:3], s[22:23]
	;; [unrolled: 1-line block ×3, first 2 shown]
.LBB7_176:                              ; =>This Inner Loop Header: Depth=1
	s_load_b96 s[24:26], s[22:23], 0x4
	s_add_co_i32 s0, s0, -1
	s_wait_xcnt 0x0
	s_add_nc_u64 s[22:23], s[22:23], 12
	s_cmp_lg_u32 s0, 0
	s_wait_kmcnt 0x0
	v_mul_hi_u32 v4, s25, v1
	s_delay_alu instid0(VALU_DEP_1) | instskip(NEXT) | instid1(VALU_DEP_1)
	v_add_nc_u32_e32 v4, v1, v4
	v_lshrrev_b32_e32 v4, s26, v4
	s_load_b64 s[26:27], s[20:21], 0x0
	s_wait_xcnt 0x0
	s_add_nc_u64 s[20:21], s[20:21], 8
	s_delay_alu instid0(VALU_DEP_1) | instskip(NEXT) | instid1(VALU_DEP_1)
	v_mul_lo_u32 v5, v4, s24
	v_sub_nc_u32_e32 v1, v1, v5
	s_wait_kmcnt 0x0
	s_delay_alu instid0(VALU_DEP_1)
	v_mad_u32 v3, v1, s27, v3
	v_mad_u32 v2, v1, s26, v2
	v_mov_b32_e32 v1, v4
	s_cbranch_scc1 .LBB7_176
.LBB7_177:
	s_cbranch_execnz .LBB7_180
.LBB7_178:
	v_mov_b32_e32 v1, 0
	s_and_not1_b32 vcc_lo, exec_lo, s33
	s_delay_alu instid0(VALU_DEP_1) | instskip(NEXT) | instid1(VALU_DEP_1)
	v_mul_u64_e32 v[2:3], s[16:17], v[0:1]
	v_add_nc_u32_e32 v2, v0, v3
	s_delay_alu instid0(VALU_DEP_1) | instskip(NEXT) | instid1(VALU_DEP_1)
	v_lshrrev_b32_e32 v4, s10, v2
	v_mul_lo_u32 v2, v4, s8
	s_delay_alu instid0(VALU_DEP_1) | instskip(NEXT) | instid1(VALU_DEP_1)
	v_sub_nc_u32_e32 v0, v0, v2
	v_mul_lo_u32 v3, v0, s13
	v_mul_lo_u32 v2, v0, s12
	s_cbranch_vccnz .LBB7_180
; %bb.179:
	v_mov_b32_e32 v5, v1
	s_delay_alu instid0(VALU_DEP_1) | instskip(NEXT) | instid1(VALU_DEP_1)
	v_mul_u64_e32 v[0:1], s[18:19], v[4:5]
	v_add_nc_u32_e32 v0, v4, v1
	s_delay_alu instid0(VALU_DEP_1) | instskip(NEXT) | instid1(VALU_DEP_1)
	v_lshrrev_b32_e32 v0, s1, v0
	v_mul_lo_u32 v0, v0, s11
	s_delay_alu instid0(VALU_DEP_1) | instskip(NEXT) | instid1(VALU_DEP_1)
	v_sub_nc_u32_e32 v0, v4, v0
	v_mad_u32 v2, v0, s14, v2
	v_mad_u32 v3, v0, s15, v3
.LBB7_180:
	global_load_b64 v[0:1], v3, s[6:7]
	v_mov_b64_e32 v[4:5], 0x7ff0000000000000
	s_mov_b32 s1, exec_lo
	s_wait_loadcnt 0x0
	v_cmpx_neq_f64_e32 0, v[0:1]
	s_cbranch_execz .LBB7_188
; %bb.181:
	v_mov_b64_e32 v[4:5], 0x7ff8000000000000
	s_mov_b32 s6, exec_lo
	v_cmpx_ngt_f64_e32 0, v[0:1]
	s_cbranch_execz .LBB7_187
; %bb.182:
                                        ; implicit-def: $vgpr4_vgpr5
	s_mov_b32 s0, exec_lo
	v_cmpx_ge_f64_e32 2.0, v[0:1]
	s_xor_b32 s7, exec_lo, s0
	s_cbranch_execz .LBB7_184
; %bb.183:
	v_fma_f64 v[4:5], v[0:1], 0.5, -2.0
	s_mov_b64 s[10:11], 0xbc545cb72134d0ef
	v_mul_f64_e32 v[10:11], 0.5, v[0:1]
	s_delay_alu instid0(VALU_DEP_2) | instskip(SKIP_1) | instid1(VALU_DEP_2)
	v_fmaak_f64 v[6:7], s[10:11], v[4:5], 0x3c833362977da589
	s_mov_b64 s[10:11], 0x3fe5555555555555
	v_frexp_mant_f64_e32 v[12:13], v[10:11]
	v_cmp_neq_f64_e64 s0, 0, v[10:11]
	s_delay_alu instid0(VALU_DEP_3) | instskip(NEXT) | instid1(VALU_DEP_1)
	v_fmaak_f64 v[8:9], v[4:5], v[6:7], 0x3c545cb72134d0ef
	v_add_f64_e32 v[8:9], 0xbcb184eb721ebbb4, v[8:9]
	s_delay_alu instid0(VALU_DEP_4) | instskip(SKIP_1) | instid1(VALU_DEP_2)
	v_cmp_gt_f64_e32 vcc_lo, s[10:11], v[12:13]
	s_mov_b64 s[10:11], 0x3fc3ab76bf559e2b
	v_fma_f64 v[6:7], v[4:5], v[8:9], -v[6:7]
	v_cndmask_b32_e64 v3, 0, 1, vcc_lo
	s_delay_alu instid0(VALU_DEP_1) | instskip(SKIP_1) | instid1(VALU_DEP_4)
	v_ldexp_f64 v[12:13], v[12:13], v3
	v_frexp_exp_i32_f64_e32 v3, v[10:11]
	v_add_f64_e32 v[6:7], 0x3cdee6d893f65eba, v[6:7]
	s_delay_alu instid0(VALU_DEP_3) | instskip(SKIP_1) | instid1(VALU_DEP_4)
	v_add_f64_e32 v[14:15], 1.0, v[12:13]
	v_add_f64_e32 v[20:21], -1.0, v[12:13]
	v_subrev_co_ci_u32_e64 v3, null, 0, v3, vcc_lo
	v_cmp_neq_f64_e32 vcc_lo, 0x7ff00000, v[10:11]
	v_fma_f64 v[8:9], v[4:5], v[6:7], -v[8:9]
	v_rcp_f64_e32 v[16:17], v[14:15]
	v_add_f64_e32 v[22:23], -1.0, v[14:15]
	s_delay_alu instid0(VALU_DEP_2) | instskip(NEXT) | instid1(VALU_DEP_2)
	v_add_f64_e32 v[8:9], 0xbd0a5022c297fbeb, v[8:9]
	v_add_f64_e64 v[12:13], v[12:13], -v[22:23]
	s_delay_alu instid0(TRANS32_DEP_1) | instskip(NEXT) | instid1(VALU_DEP_3)
	v_fma_f64 v[18:19], -v[14:15], v[16:17], 1.0
	v_fma_f64 v[6:7], v[4:5], v[8:9], -v[6:7]
	s_delay_alu instid0(VALU_DEP_2) | instskip(NEXT) | instid1(VALU_DEP_2)
	v_fmac_f64_e32 v[16:17], v[18:19], v[16:17]
	v_add_f64_e32 v[6:7], 0x3d359b464b262627, v[6:7]
	s_delay_alu instid0(VALU_DEP_2) | instskip(NEXT) | instid1(VALU_DEP_2)
	v_fma_f64 v[18:19], -v[14:15], v[16:17], 1.0
	v_fma_f64 v[8:9], v[4:5], v[6:7], -v[8:9]
	s_delay_alu instid0(VALU_DEP_2) | instskip(NEXT) | instid1(VALU_DEP_2)
	v_fmac_f64_e32 v[16:17], v[18:19], v[16:17]
	v_add_f64_e32 v[8:9], 0xbd61164c62ee1af0, v[8:9]
	s_delay_alu instid0(VALU_DEP_2) | instskip(NEXT) | instid1(VALU_DEP_2)
	v_mul_f64_e32 v[18:19], v[20:21], v[16:17]
	v_fma_f64 v[6:7], v[4:5], v[8:9], -v[6:7]
	s_delay_alu instid0(VALU_DEP_2) | instskip(NEXT) | instid1(VALU_DEP_2)
	v_mul_f64_e32 v[24:25], v[14:15], v[18:19]
	v_add_f64_e32 v[6:7], 0x3d89fe2fe19bd324, v[6:7]
	s_delay_alu instid0(VALU_DEP_2) | instskip(NEXT) | instid1(VALU_DEP_2)
	v_fma_f64 v[14:15], v[18:19], v[14:15], -v[24:25]
	v_fma_f64 v[8:9], v[4:5], v[6:7], -v[8:9]
	s_delay_alu instid0(VALU_DEP_2) | instskip(NEXT) | instid1(VALU_DEP_2)
	v_fmac_f64_e32 v[14:15], v[18:19], v[12:13]
	v_add_f64_e32 v[8:9], 0xbdb2fc957a946abc, v[8:9]
	s_delay_alu instid0(VALU_DEP_2) | instskip(NEXT) | instid1(VALU_DEP_2)
	v_add_f64_e32 v[12:13], v[24:25], v[14:15]
	v_fma_f64 v[6:7], v[4:5], v[8:9], -v[6:7]
	s_delay_alu instid0(VALU_DEP_2) | instskip(NEXT) | instid1(VALU_DEP_2)
	v_add_f64_e64 v[22:23], v[20:21], -v[12:13]
	v_add_f64_e32 v[6:7], 0x3dda98becc743c10, v[6:7]
	v_add_f64_e64 v[24:25], v[12:13], -v[24:25]
	s_delay_alu instid0(VALU_DEP_3) | instskip(NEXT) | instid1(VALU_DEP_3)
	v_add_f64_e64 v[20:21], v[20:21], -v[22:23]
	v_fma_f64 v[8:9], v[4:5], v[6:7], -v[8:9]
	s_delay_alu instid0(VALU_DEP_3) | instskip(SKIP_1) | instid1(VALU_DEP_4)
	v_add_f64_e64 v[14:15], v[24:25], -v[14:15]
	v_cvt_f64_i32_e32 v[24:25], v3
	v_add_f64_e64 v[12:13], v[20:21], -v[12:13]
	s_delay_alu instid0(VALU_DEP_4) | instskip(NEXT) | instid1(VALU_DEP_3)
	v_add_f64_e32 v[8:9], 0xbe01d4fe13ae9556, v[8:9]
	v_mul_f64_e32 v[26:27], 0x3fe62e42fefa39ef, v[24:25]
	s_delay_alu instid0(VALU_DEP_3) | instskip(NEXT) | instid1(VALU_DEP_3)
	v_add_f64_e32 v[12:13], v[14:15], v[12:13]
	v_fma_f64 v[6:7], v[4:5], v[8:9], -v[6:7]
	s_delay_alu instid0(VALU_DEP_2) | instskip(NEXT) | instid1(VALU_DEP_2)
	v_add_f64_e32 v[12:13], v[22:23], v[12:13]
	v_add_f64_e32 v[6:7], 0x3e26d903a454cb34, v[6:7]
	s_delay_alu instid0(VALU_DEP_2) | instskip(NEXT) | instid1(VALU_DEP_2)
	v_mul_f64_e32 v[12:13], v[16:17], v[12:13]
	v_fma_f64 v[8:9], v[4:5], v[6:7], -v[8:9]
	s_delay_alu instid0(VALU_DEP_2) | instskip(NEXT) | instid1(VALU_DEP_2)
	v_add_f64_e32 v[14:15], v[18:19], v[12:13]
	v_add_f64_e32 v[8:9], 0xbe4beaf68c0b30ab, v[8:9]
	s_delay_alu instid0(VALU_DEP_2) | instskip(NEXT) | instid1(VALU_DEP_2)
	v_mul_f64_e32 v[16:17], v[14:15], v[14:15]
	v_fma_f64 v[6:7], v[4:5], v[8:9], -v[6:7]
	s_delay_alu instid0(VALU_DEP_2) | instskip(NEXT) | instid1(VALU_DEP_2)
	v_fmaak_f64 v[20:21], s[10:11], v[16:17], 0x3fc385386b47b09a
	v_add_f64_e32 v[6:7], 0x3e703b769d4d6435, v[6:7]
	v_mul_f64_e32 v[22:23], v[14:15], v[16:17]
	s_mov_b64 s[10:11], 0x3ca3cee1e6a7fd77
	s_delay_alu instid0(VALU_DEP_3) | instskip(NEXT) | instid1(VALU_DEP_1)
	v_fmaak_f64 v[20:21], v[16:17], v[20:21], 0x3fc7474dd7f4df2e
	v_fmaak_f64 v[20:21], v[16:17], v[20:21], 0x3fcc71c016291751
	s_delay_alu instid0(VALU_DEP_1) | instskip(NEXT) | instid1(VALU_DEP_1)
	v_fmaak_f64 v[20:21], v[16:17], v[20:21], 0x3fd249249b27acf1
	v_fmaak_f64 v[20:21], v[16:17], v[20:21], 0x3fd99999998ef7b6
	v_fma_f64 v[8:9], v[4:5], v[6:7], -v[8:9]
	s_delay_alu instid0(VALU_DEP_2) | instskip(SKIP_2) | instid1(VALU_DEP_3)
	v_fmaak_f64 v[16:17], v[16:17], v[20:21], 0x3fe5555555555780
	v_ldexp_f64 v[20:21], v[14:15], 1
	v_add_f64_e64 v[14:15], v[14:15], -v[18:19]
	v_mul_f64_e32 v[16:17], v[22:23], v[16:17]
	v_fma_f64 v[22:23], v[0:1], v[0:1], -2.0
	v_add_f64_e32 v[8:9], 0xbe91ec638f227f8d, v[8:9]
	s_delay_alu instid0(VALU_DEP_4) | instskip(NEXT) | instid1(VALU_DEP_4)
	v_add_f64_e64 v[12:13], v[12:13], -v[14:15]
	v_add_f64_e32 v[18:19], v[20:21], v[16:17]
	s_delay_alu instid0(VALU_DEP_3) | instskip(NEXT) | instid1(VALU_DEP_3)
	v_fma_f64 v[6:7], v[4:5], v[8:9], -v[6:7]
	v_ldexp_f64 v[12:13], v[12:13], 1
	s_delay_alu instid0(VALU_DEP_3) | instskip(SKIP_2) | instid1(VALU_DEP_1)
	v_add_f64_e64 v[14:15], v[18:19], -v[20:21]
	v_fmaak_f64 v[20:21], s[10:11], v[22:23], 0x3d27fb0ac384c2aa
	s_mov_b64 s[10:11], 0x3fe62e42fefa39ef
	v_fmaak_f64 v[28:29], v[22:23], v[20:21], 0xbca3cee1e6a7fd77
	v_add_f64_e32 v[6:7], 0x3eb2bf24978cf4ac, v[6:7]
	s_delay_alu instid0(VALU_DEP_4) | instskip(NEXT) | instid1(VALU_DEP_3)
	v_add_f64_e64 v[14:15], v[16:17], -v[14:15]
	v_add_f64_e32 v[16:17], 0x3da6c25c47512144, v[28:29]
	v_fma_f64 v[28:29], v[24:25], s[10:11], -v[26:27]
	s_mov_b64 s[10:11], 0x3e5ade156a5dcb37
	s_delay_alu instid0(VALU_DEP_4) | instskip(NEXT) | instid1(VALU_DEP_4)
	v_fma_f64 v[8:9], v[4:5], v[6:7], -v[8:9]
	v_add_f64_e32 v[12:13], v[12:13], v[14:15]
	s_delay_alu instid0(VALU_DEP_4) | instskip(NEXT) | instid1(VALU_DEP_4)
	v_fma_f64 v[14:15], v[22:23], v[16:17], -v[20:21]
	v_fmamk_f64 v[20:21], v[24:25], 0x3c7abc9e3b39803f, v[28:29]
	s_delay_alu instid0(VALU_DEP_1) | instskip(SKIP_3) | instid1(VALU_DEP_4)
	v_add_f64_e32 v[28:29], v[26:27], v[20:21]
	v_add_f64_e32 v[8:9], 0xbed2866fcba56427, v[8:9]
	v_add_f64_e32 v[24:25], v[18:19], v[12:13]
	v_add_f64_e32 v[14:15], 0x3e205c1367e58a13, v[14:15]
	v_add_f64_e64 v[26:27], v[28:29], -v[26:27]
	s_delay_alu instid0(VALU_DEP_4) | instskip(NEXT) | instid1(VALU_DEP_4)
	v_fma_f64 v[6:7], v[4:5], v[8:9], -v[6:7]
	v_add_f64_e32 v[30:31], v[28:29], v[24:25]
	s_delay_alu instid0(VALU_DEP_4) | instskip(SKIP_1) | instid1(VALU_DEP_4)
	v_fma_f64 v[16:17], v[22:23], v[14:15], -v[16:17]
	v_add_f64_e64 v[18:19], v[24:25], -v[18:19]
	v_add_f64_e32 v[6:7], 0x3ef13f58be9a2859, v[6:7]
	s_delay_alu instid0(VALU_DEP_4) | instskip(NEXT) | instid1(VALU_DEP_4)
	v_add_f64_e64 v[32:33], v[30:31], -v[28:29]
	v_add_f64_e32 v[16:17], 0x3e9102bce7f95efc, v[16:17]
	s_delay_alu instid0(VALU_DEP_4)
	v_add_f64_e64 v[12:13], v[12:13], -v[18:19]
	v_add_f64_e64 v[18:19], v[20:21], -v[26:27]
	v_mul_f64_e32 v[26:27], 0x3ff71547652b82fe, v[0:1]
	v_fma_f64 v[8:9], v[4:5], v[6:7], -v[8:9]
	v_add_f64_e64 v[34:35], v[30:31], -v[32:33]
	v_fma_f64 v[14:15], v[22:23], v[16:17], -v[14:15]
	v_add_f64_e64 v[24:25], v[24:25], -v[32:33]
	s_delay_alu instid0(VALU_DEP_4) | instskip(NEXT) | instid1(VALU_DEP_4)
	v_add_f64_e32 v[8:9], 0xbf0e2b2659c41d5a, v[8:9]
	v_add_f64_e64 v[20:21], v[28:29], -v[34:35]
	s_delay_alu instid0(VALU_DEP_4) | instskip(SKIP_1) | instid1(VALU_DEP_4)
	v_add_f64_e32 v[14:15], 0x3ef7f900fe8cfca0, v[14:15]
	v_add_f64_e32 v[28:29], v[18:19], v[12:13]
	v_fma_f64 v[6:7], v[4:5], v[8:9], -v[6:7]
	s_delay_alu instid0(VALU_DEP_4) | instskip(NEXT) | instid1(VALU_DEP_4)
	v_add_f64_e32 v[20:21], v[24:25], v[20:21]
	v_fma_f64 v[16:17], v[22:23], v[14:15], -v[16:17]
	v_rndne_f64_e32 v[24:25], v[26:27]
	v_add_f64_e64 v[26:27], v[28:29], -v[18:19]
	v_add_f64_e32 v[6:7], 0x3f28b51b74107cab, v[6:7]
	v_add_f64_e32 v[20:21], v[28:29], v[20:21]
	;; [unrolled: 1-line block ×3, first 2 shown]
	v_fmamk_f64 v[0:1], v[24:25], 0xbfe62e42fefa39ef, v[0:1]
	v_add_f64_e64 v[28:29], v[28:29], -v[26:27]
	v_add_f64_e64 v[12:13], v[12:13], -v[26:27]
	v_cvt_i32_f64_e32 v3, v[24:25]
	s_delay_alu instid0(VALU_DEP_4) | instskip(NEXT) | instid1(VALU_DEP_1)
	v_fmamk_f64 v[0:1], v[24:25], 0xbc7abc9e3b39803f, v[0:1]
	v_fmaak_f64 v[34:35], s[10:11], v[0:1], 0x3e928af3fca7ab0c
	s_delay_alu instid0(VALU_DEP_1) | instskip(SKIP_1) | instid1(VALU_DEP_2)
	v_fmaak_f64 v[34:35], v[0:1], v[34:35], 0x3ec71dee623fde64
	v_fma_f64 v[8:9], v[4:5], v[6:7], -v[8:9]
	v_fmaak_f64 v[34:35], v[0:1], v[34:35], 0x3efa01997c89e6b0
	v_add_f64_e32 v[32:33], v[30:31], v[20:21]
	v_fma_f64 v[14:15], v[22:23], v[16:17], -v[14:15]
	v_add_f64_e64 v[18:19], v[18:19], -v[28:29]
	s_delay_alu instid0(VALU_DEP_4) | instskip(NEXT) | instid1(VALU_DEP_1)
	v_fmaak_f64 v[34:35], v[0:1], v[34:35], 0x3f2a01a014761f6e
	v_fmaak_f64 v[28:29], v[0:1], v[34:35], 0x3f56c16c1852b7b0
	v_add_f64_e32 v[8:9], 0xbf42e2fd1f15eb52, v[8:9]
	v_add_f64_e64 v[26:27], v[32:33], -v[30:31]
	v_add_f64_e32 v[14:15], 0x3fa26bf6554a9085, v[14:15]
	v_add_f64_e32 v[12:13], v[12:13], v[18:19]
	s_delay_alu instid0(VALU_DEP_4) | instskip(NEXT) | instid1(VALU_DEP_4)
	v_fma_f64 v[6:7], v[4:5], v[8:9], -v[6:7]
	v_add_f64_e64 v[18:19], v[20:21], -v[26:27]
	s_delay_alu instid0(VALU_DEP_4) | instskip(NEXT) | instid1(VALU_DEP_3)
	v_fma_f64 v[16:17], v[22:23], v[14:15], -v[16:17]
	v_add_f64_e32 v[6:7], 0x3f5adc758a12100e, v[6:7]
	s_delay_alu instid0(VALU_DEP_3) | instskip(NEXT) | instid1(VALU_DEP_3)
	v_add_f64_e32 v[12:13], v[12:13], v[18:19]
	v_add_f64_e32 v[16:17], 0x3fd608d881213db9, v[16:17]
	s_delay_alu instid0(VALU_DEP_3) | instskip(NEXT) | instid1(VALU_DEP_1)
	v_fma_f64 v[8:9], v[4:5], v[6:7], -v[8:9]
	v_add_f64_e32 v[8:9], 0xbf71b65e201aa849, v[8:9]
	s_delay_alu instid0(VALU_DEP_1) | instskip(NEXT) | instid1(VALU_DEP_1)
	v_fma_f64 v[6:7], v[4:5], v[8:9], -v[6:7]
	v_add_f64_e32 v[6:7], 0x3f859961f3dde3dd, v[6:7]
	s_delay_alu instid0(VALU_DEP_1) | instskip(NEXT) | instid1(VALU_DEP_1)
	;; [unrolled: 3-line block ×6, first 2 shown]
	v_fma_f64 v[8:9], v[4:5], v[6:7], -v[8:9]
	v_add_f64_e32 v[8:9], 0xbfd37febc057cd8d, v[8:9]
	s_delay_alu instid0(VALU_DEP_1) | instskip(SKIP_1) | instid1(VALU_DEP_1)
	v_fma_f64 v[4:5], v[4:5], v[8:9], -v[6:7]
	v_fmaak_f64 v[8:9], v[0:1], v[28:29], 0x3f81111111122322
	v_fmaak_f64 v[8:9], v[0:1], v[8:9], 0x3fa55555555502a1
	s_delay_alu instid0(VALU_DEP_1) | instskip(NEXT) | instid1(VALU_DEP_1)
	v_fmaak_f64 v[8:9], v[0:1], v[8:9], 0x3fc5555555555511
	v_fmaak_f64 v[8:9], v[0:1], v[8:9], 0x3fe000000000000b
	s_delay_alu instid0(VALU_DEP_1) | instskip(SKIP_1) | instid1(VALU_DEP_2)
	v_fma_f64 v[8:9], v[0:1], v[8:9], 1.0
	v_add_f64_e32 v[4:5], 0x3fe5a84e9035a22a, v[4:5]
	v_fma_f64 v[0:1], v[0:1], v[8:9], 1.0
	v_fma_f64 v[8:9], v[22:23], v[16:17], -v[14:15]
	s_delay_alu instid0(VALU_DEP_3) | instskip(SKIP_1) | instid1(VALU_DEP_4)
	v_add_f64_e64 v[4:5], v[4:5], -v[6:7]
	v_add_f64_e32 v[6:7], v[32:33], v[12:13]
	v_ldexp_f64 v[0:1], v[0:1], v3
	s_delay_alu instid0(VALU_DEP_4) | instskip(NEXT) | instid1(VALU_DEP_4)
	v_add_f64_e32 v[8:9], 0xbfe12166e9d2f61f, v[8:9]
	v_mul_f64_e32 v[4:5], 0.5, v[4:5]
	s_delay_alu instid0(VALU_DEP_4) | instskip(SKIP_2) | instid1(VALU_DEP_2)
	v_cndmask_b32_e32 v3, 0x7ff00000, v7, vcc_lo
	s_and_b32 vcc_lo, s0, vcc_lo
	v_cndmask_b32_e32 v6, 0, v6, vcc_lo
	v_cndmask_b32_e64 v7, 0xfff00000, v3, s0
	v_add_f64_e64 v[8:9], v[8:9], -v[14:15]
	v_mul_f64_e32 v[4:5], v[0:1], v[4:5]
	s_delay_alu instid0(VALU_DEP_1) | instskip(NEXT) | instid1(VALU_DEP_1)
	v_mul_f64_e32 v[4:5], v[6:7], v[4:5]
	v_fma_f64 v[4:5], v[8:9], 0.5, -v[4:5]
	s_delay_alu instid0(VALU_DEP_1)
	v_mul_f64_e32 v[4:5], v[0:1], v[4:5]
                                        ; implicit-def: $vgpr0_vgpr1
.LBB7_184:
	s_and_not1_saveexec_b32 s0, s7
	s_cbranch_execz .LBB7_186
; %bb.185:
	v_div_scale_f64 v[4:5], null, v[0:1], v[0:1], 0x40200000
	v_div_scale_f64 v[10:11], vcc_lo, 0x40200000, v[0:1], 0x40200000
	s_mov_b64 s[10:11], 0x3c5871a5cf8c9ee1
	v_rcp_f64_e32 v[6:7], v[4:5]
	v_nop
	s_delay_alu instid0(TRANS32_DEP_1) | instskip(NEXT) | instid1(VALU_DEP_1)
	v_fma_f64 v[8:9], -v[4:5], v[6:7], 1.0
	v_fmac_f64_e32 v[6:7], v[6:7], v[8:9]
	s_delay_alu instid0(VALU_DEP_1) | instskip(NEXT) | instid1(VALU_DEP_1)
	v_fma_f64 v[8:9], -v[4:5], v[6:7], 1.0
	v_fmac_f64_e32 v[6:7], v[6:7], v[8:9]
	s_delay_alu instid0(VALU_DEP_1) | instskip(NEXT) | instid1(VALU_DEP_1)
	v_mul_f64_e32 v[8:9], v[10:11], v[6:7]
	v_fma_f64 v[4:5], -v[4:5], v[8:9], v[10:11]
	s_delay_alu instid0(VALU_DEP_1) | instskip(SKIP_1) | instid1(VALU_DEP_2)
	v_div_fmas_f64 v[4:5], v[4:5], v[6:7], v[8:9]
	v_cmp_gt_f64_e32 vcc_lo, 0x10000000, v[0:1]
	v_div_fixup_f64 v[4:5], v[4:5], v[0:1], 0x40200000
	v_cndmask_b32_e64 v3, 0, 0x100, vcc_lo
	s_delay_alu instid0(VALU_DEP_1) | instskip(SKIP_1) | instid1(VALU_DEP_4)
	v_ldexp_f64 v[0:1], v[0:1], v3
	v_cndmask_b32_e64 v3, 0, 0xffffff80, vcc_lo
	v_add_f64_e32 v[4:5], -2.0, v[4:5]
	s_delay_alu instid0(VALU_DEP_3) | instskip(SKIP_1) | instid1(VALU_DEP_2)
	v_cmp_class_f64_e64 vcc_lo, v[0:1], 0x260
	v_rsq_f64_e32 v[10:11], v[0:1]
	v_fmaak_f64 v[6:7], s[10:11], v[4:5], 0xbc72fecc93812603
	s_delay_alu instid0(VALU_DEP_1) | instskip(NEXT) | instid1(TRANS32_DEP_1)
	v_fmaak_f64 v[8:9], v[4:5], v[6:7], 0xbc5871a5cf8c9ee1
	v_mul_f64_e32 v[12:13], v[0:1], v[10:11]
	s_delay_alu instid0(VALU_DEP_2) | instskip(SKIP_1) | instid1(VALU_DEP_2)
	v_add_f64_e32 v[8:9], 0x3c8e092e41a8cdf4, v[8:9]
	v_mul_f64_e32 v[10:11], 0.5, v[10:11]
	v_fma_f64 v[6:7], v[4:5], v[8:9], -v[6:7]
	s_delay_alu instid0(VALU_DEP_2) | instskip(NEXT) | instid1(VALU_DEP_2)
	v_fma_f64 v[14:15], -v[10:11], v[12:13], 0.5
	v_add_f64_e32 v[6:7], 0xbca82f9474d77641, v[6:7]
	s_delay_alu instid0(VALU_DEP_2) | instskip(SKIP_1) | instid1(VALU_DEP_3)
	v_fmac_f64_e32 v[12:13], v[12:13], v[14:15]
	v_fmac_f64_e32 v[10:11], v[10:11], v[14:15]
	v_fma_f64 v[8:9], v[4:5], v[6:7], -v[8:9]
	s_delay_alu instid0(VALU_DEP_3) | instskip(NEXT) | instid1(VALU_DEP_2)
	v_fma_f64 v[14:15], -v[12:13], v[12:13], v[0:1]
	v_add_f64_e32 v[8:9], 0x3cc3dbf96b94785b, v[8:9]
	s_delay_alu instid0(VALU_DEP_2) | instskip(NEXT) | instid1(VALU_DEP_2)
	v_fmac_f64_e32 v[12:13], v[14:15], v[10:11]
	v_fma_f64 v[6:7], v[4:5], v[8:9], -v[6:7]
	s_delay_alu instid0(VALU_DEP_1) | instskip(NEXT) | instid1(VALU_DEP_1)
	v_add_f64_e32 v[6:7], 0xbce0a690ecfadd36, v[6:7]
	v_fma_f64 v[8:9], v[4:5], v[6:7], -v[8:9]
	s_delay_alu instid0(VALU_DEP_1) | instskip(NEXT) | instid1(VALU_DEP_1)
	v_add_f64_e32 v[8:9], 0x3cfc8d9c4a7ddc98, v[8:9]
	;; [unrolled: 3-line block ×19, first 2 shown]
	v_fma_f64 v[4:5], v[4:5], v[6:7], -v[8:9]
	v_fma_f64 v[6:7], -v[12:13], v[12:13], v[0:1]
	s_delay_alu instid0(VALU_DEP_2) | instskip(NEXT) | instid1(VALU_DEP_2)
	v_add_f64_e32 v[4:5], 0x400385bd9f4e6907, v[4:5]
	v_fmac_f64_e32 v[12:13], v[6:7], v[10:11]
	s_delay_alu instid0(VALU_DEP_2) | instskip(NEXT) | instid1(VALU_DEP_2)
	v_add_f64_e64 v[4:5], v[4:5], -v[8:9]
	v_ldexp_f64 v[6:7], v[12:13], v3
	s_delay_alu instid0(VALU_DEP_2) | instskip(NEXT) | instid1(VALU_DEP_2)
	v_mul_f64_e32 v[4:5], 0.5, v[4:5]
	v_dual_cndmask_b32 v1, v7, v1 :: v_dual_cndmask_b32 v0, v6, v0
	s_delay_alu instid0(VALU_DEP_1) | instskip(NEXT) | instid1(VALU_DEP_1)
	v_div_scale_f64 v[6:7], null, v[0:1], v[0:1], v[4:5]
	v_rcp_f64_e32 v[8:9], v[6:7]
	v_nop
	s_delay_alu instid0(TRANS32_DEP_1) | instskip(NEXT) | instid1(VALU_DEP_1)
	v_fma_f64 v[10:11], -v[6:7], v[8:9], 1.0
	v_fmac_f64_e32 v[8:9], v[8:9], v[10:11]
	s_delay_alu instid0(VALU_DEP_1) | instskip(NEXT) | instid1(VALU_DEP_1)
	v_fma_f64 v[10:11], -v[6:7], v[8:9], 1.0
	v_fmac_f64_e32 v[8:9], v[8:9], v[10:11]
	v_div_scale_f64 v[10:11], vcc_lo, v[4:5], v[0:1], v[4:5]
	s_delay_alu instid0(VALU_DEP_1) | instskip(NEXT) | instid1(VALU_DEP_1)
	v_mul_f64_e32 v[12:13], v[10:11], v[8:9]
	v_fma_f64 v[6:7], -v[6:7], v[12:13], v[10:11]
	s_delay_alu instid0(VALU_DEP_1) | instskip(NEXT) | instid1(VALU_DEP_1)
	v_div_fmas_f64 v[6:7], v[6:7], v[8:9], v[12:13]
	v_div_fixup_f64 v[4:5], v[6:7], v[0:1], v[4:5]
.LBB7_186:
	s_or_b32 exec_lo, exec_lo, s0
.LBB7_187:
	s_delay_alu instid0(SALU_CYCLE_1)
	s_or_b32 exec_lo, exec_lo, s6
.LBB7_188:
	s_delay_alu instid0(SALU_CYCLE_1)
	s_or_b32 exec_lo, exec_lo, s1
	global_store_b64 v2, v[4:5], s[4:5]
	s_wait_xcnt 0x0
	s_or_b32 exec_lo, exec_lo, s9
                                        ; implicit-def: $vgpr8
                                        ; implicit-def: $vgpr0
	s_and_not1_saveexec_b32 s0, s31
	s_cbranch_execz .LBB7_149
	s_branch .LBB7_8
	.section	.rodata,"a",@progbits
	.p2align	6, 0x0
	.amdhsa_kernel _ZN2at6native32elementwise_kernel_manual_unrollILi128ELi4EZNS0_22gpu_kernel_impl_nocastIZZZNS0_12_GLOBAL__N_137scaled_modified_bessel_k0_kernel_cudaERNS_18TensorIteratorBaseEENKUlvE_clEvENKUlvE_clEvEUldE_EEvS5_RKT_EUlibE_EEviT1_
		.amdhsa_group_segment_fixed_size 0
		.amdhsa_private_segment_fixed_size 0
		.amdhsa_kernarg_size 360
		.amdhsa_user_sgpr_count 2
		.amdhsa_user_sgpr_dispatch_ptr 0
		.amdhsa_user_sgpr_queue_ptr 0
		.amdhsa_user_sgpr_kernarg_segment_ptr 1
		.amdhsa_user_sgpr_dispatch_id 0
		.amdhsa_user_sgpr_kernarg_preload_length 0
		.amdhsa_user_sgpr_kernarg_preload_offset 0
		.amdhsa_user_sgpr_private_segment_size 0
		.amdhsa_wavefront_size32 1
		.amdhsa_uses_dynamic_stack 0
		.amdhsa_enable_private_segment 0
		.amdhsa_system_sgpr_workgroup_id_x 1
		.amdhsa_system_sgpr_workgroup_id_y 0
		.amdhsa_system_sgpr_workgroup_id_z 0
		.amdhsa_system_sgpr_workgroup_info 0
		.amdhsa_system_vgpr_workitem_id 0
		.amdhsa_next_free_vgpr 48
		.amdhsa_next_free_sgpr 60
		.amdhsa_named_barrier_count 0
		.amdhsa_reserve_vcc 1
		.amdhsa_float_round_mode_32 0
		.amdhsa_float_round_mode_16_64 0
		.amdhsa_float_denorm_mode_32 3
		.amdhsa_float_denorm_mode_16_64 3
		.amdhsa_fp16_overflow 0
		.amdhsa_memory_ordered 1
		.amdhsa_forward_progress 1
		.amdhsa_inst_pref_size 229
		.amdhsa_round_robin_scheduling 0
		.amdhsa_exception_fp_ieee_invalid_op 0
		.amdhsa_exception_fp_denorm_src 0
		.amdhsa_exception_fp_ieee_div_zero 0
		.amdhsa_exception_fp_ieee_overflow 0
		.amdhsa_exception_fp_ieee_underflow 0
		.amdhsa_exception_fp_ieee_inexact 0
		.amdhsa_exception_int_div_zero 0
	.end_amdhsa_kernel
	.section	.text._ZN2at6native32elementwise_kernel_manual_unrollILi128ELi4EZNS0_22gpu_kernel_impl_nocastIZZZNS0_12_GLOBAL__N_137scaled_modified_bessel_k0_kernel_cudaERNS_18TensorIteratorBaseEENKUlvE_clEvENKUlvE_clEvEUldE_EEvS5_RKT_EUlibE_EEviT1_,"axG",@progbits,_ZN2at6native32elementwise_kernel_manual_unrollILi128ELi4EZNS0_22gpu_kernel_impl_nocastIZZZNS0_12_GLOBAL__N_137scaled_modified_bessel_k0_kernel_cudaERNS_18TensorIteratorBaseEENKUlvE_clEvENKUlvE_clEvEUldE_EEvS5_RKT_EUlibE_EEviT1_,comdat
.Lfunc_end7:
	.size	_ZN2at6native32elementwise_kernel_manual_unrollILi128ELi4EZNS0_22gpu_kernel_impl_nocastIZZZNS0_12_GLOBAL__N_137scaled_modified_bessel_k0_kernel_cudaERNS_18TensorIteratorBaseEENKUlvE_clEvENKUlvE_clEvEUldE_EEvS5_RKT_EUlibE_EEviT1_, .Lfunc_end7-_ZN2at6native32elementwise_kernel_manual_unrollILi128ELi4EZNS0_22gpu_kernel_impl_nocastIZZZNS0_12_GLOBAL__N_137scaled_modified_bessel_k0_kernel_cudaERNS_18TensorIteratorBaseEENKUlvE_clEvENKUlvE_clEvEUldE_EEvS5_RKT_EUlibE_EEviT1_
                                        ; -- End function
	.set _ZN2at6native32elementwise_kernel_manual_unrollILi128ELi4EZNS0_22gpu_kernel_impl_nocastIZZZNS0_12_GLOBAL__N_137scaled_modified_bessel_k0_kernel_cudaERNS_18TensorIteratorBaseEENKUlvE_clEvENKUlvE_clEvEUldE_EEvS5_RKT_EUlibE_EEviT1_.num_vgpr, 48
	.set _ZN2at6native32elementwise_kernel_manual_unrollILi128ELi4EZNS0_22gpu_kernel_impl_nocastIZZZNS0_12_GLOBAL__N_137scaled_modified_bessel_k0_kernel_cudaERNS_18TensorIteratorBaseEENKUlvE_clEvENKUlvE_clEvEUldE_EEvS5_RKT_EUlibE_EEviT1_.num_agpr, 0
	.set _ZN2at6native32elementwise_kernel_manual_unrollILi128ELi4EZNS0_22gpu_kernel_impl_nocastIZZZNS0_12_GLOBAL__N_137scaled_modified_bessel_k0_kernel_cudaERNS_18TensorIteratorBaseEENKUlvE_clEvENKUlvE_clEvEUldE_EEvS5_RKT_EUlibE_EEviT1_.numbered_sgpr, 60
	.set _ZN2at6native32elementwise_kernel_manual_unrollILi128ELi4EZNS0_22gpu_kernel_impl_nocastIZZZNS0_12_GLOBAL__N_137scaled_modified_bessel_k0_kernel_cudaERNS_18TensorIteratorBaseEENKUlvE_clEvENKUlvE_clEvEUldE_EEvS5_RKT_EUlibE_EEviT1_.num_named_barrier, 0
	.set _ZN2at6native32elementwise_kernel_manual_unrollILi128ELi4EZNS0_22gpu_kernel_impl_nocastIZZZNS0_12_GLOBAL__N_137scaled_modified_bessel_k0_kernel_cudaERNS_18TensorIteratorBaseEENKUlvE_clEvENKUlvE_clEvEUldE_EEvS5_RKT_EUlibE_EEviT1_.private_seg_size, 0
	.set _ZN2at6native32elementwise_kernel_manual_unrollILi128ELi4EZNS0_22gpu_kernel_impl_nocastIZZZNS0_12_GLOBAL__N_137scaled_modified_bessel_k0_kernel_cudaERNS_18TensorIteratorBaseEENKUlvE_clEvENKUlvE_clEvEUldE_EEvS5_RKT_EUlibE_EEviT1_.uses_vcc, 1
	.set _ZN2at6native32elementwise_kernel_manual_unrollILi128ELi4EZNS0_22gpu_kernel_impl_nocastIZZZNS0_12_GLOBAL__N_137scaled_modified_bessel_k0_kernel_cudaERNS_18TensorIteratorBaseEENKUlvE_clEvENKUlvE_clEvEUldE_EEvS5_RKT_EUlibE_EEviT1_.uses_flat_scratch, 0
	.set _ZN2at6native32elementwise_kernel_manual_unrollILi128ELi4EZNS0_22gpu_kernel_impl_nocastIZZZNS0_12_GLOBAL__N_137scaled_modified_bessel_k0_kernel_cudaERNS_18TensorIteratorBaseEENKUlvE_clEvENKUlvE_clEvEUldE_EEvS5_RKT_EUlibE_EEviT1_.has_dyn_sized_stack, 0
	.set _ZN2at6native32elementwise_kernel_manual_unrollILi128ELi4EZNS0_22gpu_kernel_impl_nocastIZZZNS0_12_GLOBAL__N_137scaled_modified_bessel_k0_kernel_cudaERNS_18TensorIteratorBaseEENKUlvE_clEvENKUlvE_clEvEUldE_EEvS5_RKT_EUlibE_EEviT1_.has_recursion, 0
	.set _ZN2at6native32elementwise_kernel_manual_unrollILi128ELi4EZNS0_22gpu_kernel_impl_nocastIZZZNS0_12_GLOBAL__N_137scaled_modified_bessel_k0_kernel_cudaERNS_18TensorIteratorBaseEENKUlvE_clEvENKUlvE_clEvEUldE_EEvS5_RKT_EUlibE_EEviT1_.has_indirect_call, 0
	.section	.AMDGPU.csdata,"",@progbits
; Kernel info:
; codeLenInByte = 29296
; TotalNumSgprs: 62
; NumVgprs: 48
; ScratchSize: 0
; MemoryBound: 0
; FloatMode: 240
; IeeeMode: 1
; LDSByteSize: 0 bytes/workgroup (compile time only)
; SGPRBlocks: 0
; VGPRBlocks: 2
; NumSGPRsForWavesPerEU: 62
; NumVGPRsForWavesPerEU: 48
; NamedBarCnt: 0
; Occupancy: 16
; WaveLimiterHint : 1
; COMPUTE_PGM_RSRC2:SCRATCH_EN: 0
; COMPUTE_PGM_RSRC2:USER_SGPR: 2
; COMPUTE_PGM_RSRC2:TRAP_HANDLER: 0
; COMPUTE_PGM_RSRC2:TGID_X_EN: 1
; COMPUTE_PGM_RSRC2:TGID_Y_EN: 0
; COMPUTE_PGM_RSRC2:TGID_Z_EN: 0
; COMPUTE_PGM_RSRC2:TIDIG_COMP_CNT: 0
	.section	.text._ZN2at6native32elementwise_kernel_manual_unrollILi128ELi4EZNS0_15gpu_kernel_implIZZZNS0_12_GLOBAL__N_137scaled_modified_bessel_k0_kernel_cudaERNS_18TensorIteratorBaseEENKUlvE_clEvENKUlvE_clEvEUldE_EEvS5_RKT_EUlibE_EEviT1_,"axG",@progbits,_ZN2at6native32elementwise_kernel_manual_unrollILi128ELi4EZNS0_15gpu_kernel_implIZZZNS0_12_GLOBAL__N_137scaled_modified_bessel_k0_kernel_cudaERNS_18TensorIteratorBaseEENKUlvE_clEvENKUlvE_clEvEUldE_EEvS5_RKT_EUlibE_EEviT1_,comdat
	.globl	_ZN2at6native32elementwise_kernel_manual_unrollILi128ELi4EZNS0_15gpu_kernel_implIZZZNS0_12_GLOBAL__N_137scaled_modified_bessel_k0_kernel_cudaERNS_18TensorIteratorBaseEENKUlvE_clEvENKUlvE_clEvEUldE_EEvS5_RKT_EUlibE_EEviT1_ ; -- Begin function _ZN2at6native32elementwise_kernel_manual_unrollILi128ELi4EZNS0_15gpu_kernel_implIZZZNS0_12_GLOBAL__N_137scaled_modified_bessel_k0_kernel_cudaERNS_18TensorIteratorBaseEENKUlvE_clEvENKUlvE_clEvEUldE_EEvS5_RKT_EUlibE_EEviT1_
	.p2align	8
	.type	_ZN2at6native32elementwise_kernel_manual_unrollILi128ELi4EZNS0_15gpu_kernel_implIZZZNS0_12_GLOBAL__N_137scaled_modified_bessel_k0_kernel_cudaERNS_18TensorIteratorBaseEENKUlvE_clEvENKUlvE_clEvEUldE_EEvS5_RKT_EUlibE_EEviT1_,@function
_ZN2at6native32elementwise_kernel_manual_unrollILi128ELi4EZNS0_15gpu_kernel_implIZZZNS0_12_GLOBAL__N_137scaled_modified_bessel_k0_kernel_cudaERNS_18TensorIteratorBaseEENKUlvE_clEvENKUlvE_clEvEUldE_EEvS5_RKT_EUlibE_EEviT1_: ; @_ZN2at6native32elementwise_kernel_manual_unrollILi128ELi4EZNS0_15gpu_kernel_implIZZZNS0_12_GLOBAL__N_137scaled_modified_bessel_k0_kernel_cudaERNS_18TensorIteratorBaseEENKUlvE_clEvENKUlvE_clEvEUldE_EEvS5_RKT_EUlibE_EEviT1_
; %bb.0:
	v_mov_b32_e32 v1, 0
	s_bfe_u32 s9, ttmp6, 0x4000c
	s_clause 0x1
	s_load_b32 s12, s[0:1], 0x0
	s_load_b128 s[4:7], s[0:1], 0x8
	s_add_co_i32 s9, s9, 1
	s_and_b32 s10, ttmp6, 15
	global_load_u16 v1, v1, s[0:1] offset:33
	s_load_b64 s[2:3], s[0:1], 0x18
	s_wait_xcnt 0x0
	s_mul_i32 s1, ttmp9, s9
	s_getreg_b32 s11, hwreg(HW_REG_IB_STS2, 6, 4)
	s_add_co_i32 s10, s10, s1
	s_mov_b32 s1, 0
	s_wait_loadcnt 0x0
	v_readfirstlane_b32 s8, v1
	s_and_b32 s0, 0xffff, s8
	s_delay_alu instid0(SALU_CYCLE_1) | instskip(SKIP_3) | instid1(SALU_CYCLE_1)
	s_lshr_b32 s9, s0, 8
	s_cmp_eq_u32 s11, 0
	s_mov_b32 s11, 0
	s_cselect_b32 s0, ttmp9, s10
	v_lshl_or_b32 v10, s0, 9, v0
	s_mov_b32 s0, exec_lo
	s_delay_alu instid0(VALU_DEP_1) | instskip(SKIP_1) | instid1(VALU_DEP_1)
	v_or_b32_e32 v0, 0x180, v10
	s_wait_kmcnt 0x0
	v_cmpx_le_i32_e64 s12, v0
	s_xor_b32 s10, exec_lo, s0
	s_cbranch_execz .LBB8_1063
; %bb.1:
	s_mov_b32 s17, -1
	s_mov_b32 s15, 0
	s_mov_b32 s13, 0
	s_mov_b32 s14, exec_lo
	v_cmpx_gt_i32_e64 s12, v10
	s_cbranch_execz .LBB8_260
; %bb.2:
	v_mul_lo_u32 v0, v10, s3
	s_and_b32 s0, 0xffff, s9
	s_delay_alu instid0(SALU_CYCLE_1) | instskip(NEXT) | instid1(VALU_DEP_1)
	s_cmp_lt_i32 s0, 11
	v_ashrrev_i32_e32 v1, 31, v0
	s_delay_alu instid0(VALU_DEP_1)
	v_add_nc_u64_e32 v[0:1], s[6:7], v[0:1]
	s_cbranch_scc1 .LBB8_9
; %bb.3:
	s_cmp_gt_i32 s0, 25
	s_cbranch_scc0 .LBB8_26
; %bb.4:
	s_cmp_gt_i32 s0, 28
	s_cbranch_scc0 .LBB8_29
	;; [unrolled: 3-line block ×4, first 2 shown]
; %bb.7:
	s_cmp_eq_u32 s0, 46
	s_mov_b32 s16, 0
	s_cbranch_scc0 .LBB8_35
; %bb.8:
	global_load_b32 v2, v[0:1], off
	s_mov_b32 s11, -1
	s_wait_loadcnt 0x0
	v_lshlrev_b32_e32 v2, 16, v2
	s_delay_alu instid0(VALU_DEP_1)
	v_cvt_f64_f32_e32 v[2:3], v2
	s_branch .LBB8_37
.LBB8_9:
                                        ; implicit-def: $vgpr2_vgpr3
	s_cbranch_execnz .LBB8_210
.LBB8_10:
	s_and_not1_b32 vcc_lo, exec_lo, s11
	s_cbranch_vccnz .LBB8_257
.LBB8_11:
	s_wait_xcnt 0x0
	v_mov_b64_e32 v[0:1], 0x7ff0000000000000
	s_mov_b32 s11, exec_lo
	s_wait_loadcnt 0x0
	s_delay_alu instid0(VALU_DEP_2)
	v_cmpx_neq_f64_e32 0, v[2:3]
	s_cbranch_execz .LBB8_19
; %bb.12:
	v_mov_b64_e32 v[0:1], 0x7ff8000000000000
	s_mov_b32 s16, exec_lo
	v_cmpx_ngt_f64_e32 0, v[2:3]
	s_cbranch_execz .LBB8_18
; %bb.13:
                                        ; implicit-def: $vgpr0_vgpr1
	s_mov_b32 s0, exec_lo
	v_cmpx_ge_f64_e32 2.0, v[2:3]
	s_xor_b32 s17, exec_lo, s0
	s_cbranch_execz .LBB8_15
; %bb.14:
	v_fma_f64 v[0:1], v[2:3], 0.5, -2.0
	s_mov_b64 s[18:19], 0xbc545cb72134d0ef
	v_mul_f64_e32 v[8:9], 0.5, v[2:3]
	s_delay_alu instid0(VALU_DEP_2) | instskip(SKIP_1) | instid1(VALU_DEP_2)
	v_fmaak_f64 v[4:5], s[18:19], v[0:1], 0x3c833362977da589
	s_mov_b64 s[18:19], 0x3fe5555555555555
	v_frexp_mant_f64_e32 v[12:13], v[8:9]
	v_cmp_neq_f64_e64 s0, 0, v[8:9]
	s_delay_alu instid0(VALU_DEP_3) | instskip(NEXT) | instid1(VALU_DEP_1)
	v_fmaak_f64 v[6:7], v[0:1], v[4:5], 0x3c545cb72134d0ef
	v_add_f64_e32 v[6:7], 0xbcb184eb721ebbb4, v[6:7]
	s_delay_alu instid0(VALU_DEP_4) | instskip(SKIP_1) | instid1(VALU_DEP_2)
	v_cmp_gt_f64_e32 vcc_lo, s[18:19], v[12:13]
	s_mov_b64 s[18:19], 0x3fc3ab76bf559e2b
	v_fma_f64 v[4:5], v[0:1], v[6:7], -v[4:5]
	v_cndmask_b32_e64 v11, 0, 1, vcc_lo
	s_delay_alu instid0(VALU_DEP_1) | instskip(SKIP_1) | instid1(VALU_DEP_4)
	v_ldexp_f64 v[12:13], v[12:13], v11
	v_frexp_exp_i32_f64_e32 v11, v[8:9]
	v_add_f64_e32 v[4:5], 0x3cdee6d893f65eba, v[4:5]
	s_delay_alu instid0(VALU_DEP_3) | instskip(SKIP_1) | instid1(VALU_DEP_4)
	v_add_f64_e32 v[14:15], 1.0, v[12:13]
	v_add_f64_e32 v[20:21], -1.0, v[12:13]
	v_subrev_co_ci_u32_e64 v11, null, 0, v11, vcc_lo
	v_cmp_neq_f64_e32 vcc_lo, 0x7ff00000, v[8:9]
	v_fma_f64 v[6:7], v[0:1], v[4:5], -v[6:7]
	v_rcp_f64_e32 v[16:17], v[14:15]
	v_add_f64_e32 v[22:23], -1.0, v[14:15]
	s_delay_alu instid0(VALU_DEP_2) | instskip(NEXT) | instid1(VALU_DEP_2)
	v_add_f64_e32 v[6:7], 0xbd0a5022c297fbeb, v[6:7]
	v_add_f64_e64 v[12:13], v[12:13], -v[22:23]
	s_delay_alu instid0(TRANS32_DEP_1) | instskip(NEXT) | instid1(VALU_DEP_3)
	v_fma_f64 v[18:19], -v[14:15], v[16:17], 1.0
	v_fma_f64 v[4:5], v[0:1], v[6:7], -v[4:5]
	s_delay_alu instid0(VALU_DEP_2) | instskip(NEXT) | instid1(VALU_DEP_2)
	v_fmac_f64_e32 v[16:17], v[18:19], v[16:17]
	v_add_f64_e32 v[4:5], 0x3d359b464b262627, v[4:5]
	s_delay_alu instid0(VALU_DEP_2) | instskip(NEXT) | instid1(VALU_DEP_2)
	v_fma_f64 v[18:19], -v[14:15], v[16:17], 1.0
	v_fma_f64 v[6:7], v[0:1], v[4:5], -v[6:7]
	s_delay_alu instid0(VALU_DEP_2) | instskip(NEXT) | instid1(VALU_DEP_2)
	v_fmac_f64_e32 v[16:17], v[18:19], v[16:17]
	v_add_f64_e32 v[6:7], 0xbd61164c62ee1af0, v[6:7]
	s_delay_alu instid0(VALU_DEP_2) | instskip(NEXT) | instid1(VALU_DEP_2)
	v_mul_f64_e32 v[18:19], v[20:21], v[16:17]
	v_fma_f64 v[4:5], v[0:1], v[6:7], -v[4:5]
	s_delay_alu instid0(VALU_DEP_2) | instskip(NEXT) | instid1(VALU_DEP_2)
	v_mul_f64_e32 v[24:25], v[14:15], v[18:19]
	v_add_f64_e32 v[4:5], 0x3d89fe2fe19bd324, v[4:5]
	s_delay_alu instid0(VALU_DEP_2) | instskip(NEXT) | instid1(VALU_DEP_2)
	v_fma_f64 v[14:15], v[18:19], v[14:15], -v[24:25]
	v_fma_f64 v[6:7], v[0:1], v[4:5], -v[6:7]
	s_delay_alu instid0(VALU_DEP_2) | instskip(NEXT) | instid1(VALU_DEP_2)
	v_fmac_f64_e32 v[14:15], v[18:19], v[12:13]
	v_add_f64_e32 v[6:7], 0xbdb2fc957a946abc, v[6:7]
	s_delay_alu instid0(VALU_DEP_2) | instskip(NEXT) | instid1(VALU_DEP_2)
	v_add_f64_e32 v[12:13], v[24:25], v[14:15]
	v_fma_f64 v[4:5], v[0:1], v[6:7], -v[4:5]
	s_delay_alu instid0(VALU_DEP_2) | instskip(NEXT) | instid1(VALU_DEP_2)
	v_add_f64_e64 v[22:23], v[20:21], -v[12:13]
	v_add_f64_e32 v[4:5], 0x3dda98becc743c10, v[4:5]
	v_add_f64_e64 v[24:25], v[12:13], -v[24:25]
	s_delay_alu instid0(VALU_DEP_3) | instskip(NEXT) | instid1(VALU_DEP_3)
	v_add_f64_e64 v[20:21], v[20:21], -v[22:23]
	v_fma_f64 v[6:7], v[0:1], v[4:5], -v[6:7]
	s_delay_alu instid0(VALU_DEP_3) | instskip(SKIP_1) | instid1(VALU_DEP_4)
	v_add_f64_e64 v[14:15], v[24:25], -v[14:15]
	v_cvt_f64_i32_e32 v[24:25], v11
	v_add_f64_e64 v[12:13], v[20:21], -v[12:13]
	s_delay_alu instid0(VALU_DEP_4) | instskip(NEXT) | instid1(VALU_DEP_3)
	v_add_f64_e32 v[6:7], 0xbe01d4fe13ae9556, v[6:7]
	v_mul_f64_e32 v[26:27], 0x3fe62e42fefa39ef, v[24:25]
	s_delay_alu instid0(VALU_DEP_3) | instskip(NEXT) | instid1(VALU_DEP_3)
	v_add_f64_e32 v[12:13], v[14:15], v[12:13]
	v_fma_f64 v[4:5], v[0:1], v[6:7], -v[4:5]
	s_delay_alu instid0(VALU_DEP_2) | instskip(NEXT) | instid1(VALU_DEP_2)
	v_add_f64_e32 v[12:13], v[22:23], v[12:13]
	v_add_f64_e32 v[4:5], 0x3e26d903a454cb34, v[4:5]
	s_delay_alu instid0(VALU_DEP_2) | instskip(NEXT) | instid1(VALU_DEP_2)
	v_mul_f64_e32 v[12:13], v[16:17], v[12:13]
	v_fma_f64 v[6:7], v[0:1], v[4:5], -v[6:7]
	s_delay_alu instid0(VALU_DEP_2) | instskip(NEXT) | instid1(VALU_DEP_2)
	v_add_f64_e32 v[14:15], v[18:19], v[12:13]
	v_add_f64_e32 v[6:7], 0xbe4beaf68c0b30ab, v[6:7]
	s_delay_alu instid0(VALU_DEP_2) | instskip(NEXT) | instid1(VALU_DEP_2)
	v_mul_f64_e32 v[16:17], v[14:15], v[14:15]
	v_fma_f64 v[4:5], v[0:1], v[6:7], -v[4:5]
	s_delay_alu instid0(VALU_DEP_2) | instskip(NEXT) | instid1(VALU_DEP_2)
	v_fmaak_f64 v[20:21], s[18:19], v[16:17], 0x3fc385386b47b09a
	v_add_f64_e32 v[4:5], 0x3e703b769d4d6435, v[4:5]
	v_mul_f64_e32 v[22:23], v[14:15], v[16:17]
	s_mov_b64 s[18:19], 0x3ca3cee1e6a7fd77
	s_delay_alu instid0(VALU_DEP_3) | instskip(NEXT) | instid1(VALU_DEP_1)
	v_fmaak_f64 v[20:21], v[16:17], v[20:21], 0x3fc7474dd7f4df2e
	v_fmaak_f64 v[20:21], v[16:17], v[20:21], 0x3fcc71c016291751
	s_delay_alu instid0(VALU_DEP_1) | instskip(NEXT) | instid1(VALU_DEP_1)
	v_fmaak_f64 v[20:21], v[16:17], v[20:21], 0x3fd249249b27acf1
	v_fmaak_f64 v[20:21], v[16:17], v[20:21], 0x3fd99999998ef7b6
	v_fma_f64 v[6:7], v[0:1], v[4:5], -v[6:7]
	s_delay_alu instid0(VALU_DEP_2) | instskip(SKIP_2) | instid1(VALU_DEP_3)
	v_fmaak_f64 v[16:17], v[16:17], v[20:21], 0x3fe5555555555780
	v_ldexp_f64 v[20:21], v[14:15], 1
	v_add_f64_e64 v[14:15], v[14:15], -v[18:19]
	v_mul_f64_e32 v[16:17], v[22:23], v[16:17]
	v_fma_f64 v[22:23], v[2:3], v[2:3], -2.0
	v_add_f64_e32 v[6:7], 0xbe91ec638f227f8d, v[6:7]
	s_delay_alu instid0(VALU_DEP_4) | instskip(NEXT) | instid1(VALU_DEP_4)
	v_add_f64_e64 v[12:13], v[12:13], -v[14:15]
	v_add_f64_e32 v[18:19], v[20:21], v[16:17]
	s_delay_alu instid0(VALU_DEP_3) | instskip(NEXT) | instid1(VALU_DEP_3)
	v_fma_f64 v[4:5], v[0:1], v[6:7], -v[4:5]
	v_ldexp_f64 v[12:13], v[12:13], 1
	s_delay_alu instid0(VALU_DEP_3) | instskip(SKIP_2) | instid1(VALU_DEP_1)
	v_add_f64_e64 v[14:15], v[18:19], -v[20:21]
	v_fmaak_f64 v[20:21], s[18:19], v[22:23], 0x3d27fb0ac384c2aa
	s_mov_b64 s[18:19], 0x3fe62e42fefa39ef
	v_fmaak_f64 v[28:29], v[22:23], v[20:21], 0xbca3cee1e6a7fd77
	v_add_f64_e32 v[4:5], 0x3eb2bf24978cf4ac, v[4:5]
	s_delay_alu instid0(VALU_DEP_4) | instskip(NEXT) | instid1(VALU_DEP_3)
	v_add_f64_e64 v[14:15], v[16:17], -v[14:15]
	v_add_f64_e32 v[16:17], 0x3da6c25c47512144, v[28:29]
	v_fma_f64 v[28:29], v[24:25], s[18:19], -v[26:27]
	s_mov_b64 s[18:19], 0x3e5ade156a5dcb37
	s_delay_alu instid0(VALU_DEP_4) | instskip(NEXT) | instid1(VALU_DEP_4)
	v_fma_f64 v[6:7], v[0:1], v[4:5], -v[6:7]
	v_add_f64_e32 v[12:13], v[12:13], v[14:15]
	s_delay_alu instid0(VALU_DEP_4) | instskip(NEXT) | instid1(VALU_DEP_4)
	v_fma_f64 v[14:15], v[22:23], v[16:17], -v[20:21]
	v_fmamk_f64 v[20:21], v[24:25], 0x3c7abc9e3b39803f, v[28:29]
	s_delay_alu instid0(VALU_DEP_1) | instskip(SKIP_3) | instid1(VALU_DEP_4)
	v_add_f64_e32 v[28:29], v[26:27], v[20:21]
	v_add_f64_e32 v[6:7], 0xbed2866fcba56427, v[6:7]
	;; [unrolled: 1-line block ×4, first 2 shown]
	v_add_f64_e64 v[26:27], v[28:29], -v[26:27]
	s_delay_alu instid0(VALU_DEP_4) | instskip(NEXT) | instid1(VALU_DEP_4)
	v_fma_f64 v[4:5], v[0:1], v[6:7], -v[4:5]
	v_add_f64_e32 v[30:31], v[28:29], v[24:25]
	s_delay_alu instid0(VALU_DEP_4) | instskip(SKIP_1) | instid1(VALU_DEP_4)
	v_fma_f64 v[16:17], v[22:23], v[14:15], -v[16:17]
	v_add_f64_e64 v[18:19], v[24:25], -v[18:19]
	v_add_f64_e32 v[4:5], 0x3ef13f58be9a2859, v[4:5]
	s_delay_alu instid0(VALU_DEP_4) | instskip(NEXT) | instid1(VALU_DEP_4)
	v_add_f64_e64 v[32:33], v[30:31], -v[28:29]
	v_add_f64_e32 v[16:17], 0x3e9102bce7f95efc, v[16:17]
	s_delay_alu instid0(VALU_DEP_4)
	v_add_f64_e64 v[12:13], v[12:13], -v[18:19]
	v_add_f64_e64 v[18:19], v[20:21], -v[26:27]
	v_mul_f64_e32 v[26:27], 0x3ff71547652b82fe, v[2:3]
	v_fma_f64 v[6:7], v[0:1], v[4:5], -v[6:7]
	v_add_f64_e64 v[34:35], v[30:31], -v[32:33]
	v_fma_f64 v[14:15], v[22:23], v[16:17], -v[14:15]
	v_add_f64_e64 v[24:25], v[24:25], -v[32:33]
	s_delay_alu instid0(VALU_DEP_4) | instskip(NEXT) | instid1(VALU_DEP_4)
	v_add_f64_e32 v[6:7], 0xbf0e2b2659c41d5a, v[6:7]
	v_add_f64_e64 v[20:21], v[28:29], -v[34:35]
	s_delay_alu instid0(VALU_DEP_4) | instskip(SKIP_1) | instid1(VALU_DEP_4)
	v_add_f64_e32 v[14:15], 0x3ef7f900fe8cfca0, v[14:15]
	v_add_f64_e32 v[28:29], v[18:19], v[12:13]
	v_fma_f64 v[4:5], v[0:1], v[6:7], -v[4:5]
	s_delay_alu instid0(VALU_DEP_4) | instskip(NEXT) | instid1(VALU_DEP_4)
	v_add_f64_e32 v[20:21], v[24:25], v[20:21]
	v_fma_f64 v[16:17], v[22:23], v[14:15], -v[16:17]
	v_rndne_f64_e32 v[24:25], v[26:27]
	v_add_f64_e64 v[26:27], v[28:29], -v[18:19]
	v_add_f64_e32 v[4:5], 0x3f28b51b74107cab, v[4:5]
	v_add_f64_e32 v[20:21], v[28:29], v[20:21]
	;; [unrolled: 1-line block ×3, first 2 shown]
	v_fmamk_f64 v[2:3], v[24:25], 0xbfe62e42fefa39ef, v[2:3]
	v_add_f64_e64 v[28:29], v[28:29], -v[26:27]
	v_add_f64_e64 v[12:13], v[12:13], -v[26:27]
	v_cvt_i32_f64_e32 v11, v[24:25]
	s_delay_alu instid0(VALU_DEP_4) | instskip(NEXT) | instid1(VALU_DEP_1)
	v_fmamk_f64 v[2:3], v[24:25], 0xbc7abc9e3b39803f, v[2:3]
	v_fmaak_f64 v[34:35], s[18:19], v[2:3], 0x3e928af3fca7ab0c
	s_delay_alu instid0(VALU_DEP_1) | instskip(SKIP_1) | instid1(VALU_DEP_2)
	v_fmaak_f64 v[34:35], v[2:3], v[34:35], 0x3ec71dee623fde64
	v_fma_f64 v[6:7], v[0:1], v[4:5], -v[6:7]
	v_fmaak_f64 v[34:35], v[2:3], v[34:35], 0x3efa01997c89e6b0
	v_add_f64_e32 v[32:33], v[30:31], v[20:21]
	v_fma_f64 v[14:15], v[22:23], v[16:17], -v[14:15]
	v_add_f64_e64 v[18:19], v[18:19], -v[28:29]
	s_delay_alu instid0(VALU_DEP_4) | instskip(NEXT) | instid1(VALU_DEP_1)
	v_fmaak_f64 v[34:35], v[2:3], v[34:35], 0x3f2a01a014761f6e
	v_fmaak_f64 v[28:29], v[2:3], v[34:35], 0x3f56c16c1852b7b0
	v_add_f64_e32 v[6:7], 0xbf42e2fd1f15eb52, v[6:7]
	v_add_f64_e64 v[26:27], v[32:33], -v[30:31]
	v_add_f64_e32 v[14:15], 0x3fa26bf6554a9085, v[14:15]
	v_add_f64_e32 v[12:13], v[12:13], v[18:19]
	s_delay_alu instid0(VALU_DEP_4) | instskip(NEXT) | instid1(VALU_DEP_4)
	v_fma_f64 v[4:5], v[0:1], v[6:7], -v[4:5]
	v_add_f64_e64 v[18:19], v[20:21], -v[26:27]
	s_delay_alu instid0(VALU_DEP_4) | instskip(NEXT) | instid1(VALU_DEP_3)
	v_fma_f64 v[16:17], v[22:23], v[14:15], -v[16:17]
	v_add_f64_e32 v[4:5], 0x3f5adc758a12100e, v[4:5]
	s_delay_alu instid0(VALU_DEP_3) | instskip(NEXT) | instid1(VALU_DEP_3)
	v_add_f64_e32 v[12:13], v[12:13], v[18:19]
	v_add_f64_e32 v[16:17], 0x3fd608d881213db9, v[16:17]
	s_delay_alu instid0(VALU_DEP_3) | instskip(NEXT) | instid1(VALU_DEP_1)
	v_fma_f64 v[6:7], v[0:1], v[4:5], -v[6:7]
	v_add_f64_e32 v[6:7], 0xbf71b65e201aa849, v[6:7]
	s_delay_alu instid0(VALU_DEP_1) | instskip(NEXT) | instid1(VALU_DEP_1)
	v_fma_f64 v[4:5], v[0:1], v[6:7], -v[4:5]
	v_add_f64_e32 v[4:5], 0x3f859961f3dde3dd, v[4:5]
	s_delay_alu instid0(VALU_DEP_1) | instskip(NEXT) | instid1(VALU_DEP_1)
	;; [unrolled: 3-line block ×6, first 2 shown]
	v_fma_f64 v[6:7], v[0:1], v[4:5], -v[6:7]
	v_add_f64_e32 v[6:7], 0xbfd37febc057cd8d, v[6:7]
	s_delay_alu instid0(VALU_DEP_1) | instskip(SKIP_1) | instid1(VALU_DEP_1)
	v_fma_f64 v[0:1], v[0:1], v[6:7], -v[4:5]
	v_fmaak_f64 v[6:7], v[2:3], v[28:29], 0x3f81111111122322
	v_fmaak_f64 v[6:7], v[2:3], v[6:7], 0x3fa55555555502a1
	s_delay_alu instid0(VALU_DEP_1) | instskip(NEXT) | instid1(VALU_DEP_1)
	v_fmaak_f64 v[6:7], v[2:3], v[6:7], 0x3fc5555555555511
	v_fmaak_f64 v[6:7], v[2:3], v[6:7], 0x3fe000000000000b
	s_delay_alu instid0(VALU_DEP_1) | instskip(SKIP_1) | instid1(VALU_DEP_2)
	v_fma_f64 v[6:7], v[2:3], v[6:7], 1.0
	v_add_f64_e32 v[0:1], 0x3fe5a84e9035a22a, v[0:1]
	v_fma_f64 v[2:3], v[2:3], v[6:7], 1.0
	v_fma_f64 v[6:7], v[22:23], v[16:17], -v[14:15]
	s_delay_alu instid0(VALU_DEP_3) | instskip(SKIP_1) | instid1(VALU_DEP_4)
	v_add_f64_e64 v[0:1], v[0:1], -v[4:5]
	v_add_f64_e32 v[4:5], v[32:33], v[12:13]
	v_ldexp_f64 v[2:3], v[2:3], v11
	s_delay_alu instid0(VALU_DEP_4) | instskip(NEXT) | instid1(VALU_DEP_4)
	v_add_f64_e32 v[6:7], 0xbfe12166e9d2f61f, v[6:7]
	v_mul_f64_e32 v[0:1], 0.5, v[0:1]
	s_delay_alu instid0(VALU_DEP_4) | instskip(SKIP_2) | instid1(VALU_DEP_2)
	v_cndmask_b32_e32 v5, 0x7ff00000, v5, vcc_lo
	s_and_b32 vcc_lo, s0, vcc_lo
	v_cndmask_b32_e32 v4, 0, v4, vcc_lo
	v_cndmask_b32_e64 v5, 0xfff00000, v5, s0
	v_add_f64_e64 v[6:7], v[6:7], -v[14:15]
	v_mul_f64_e32 v[0:1], v[2:3], v[0:1]
	s_delay_alu instid0(VALU_DEP_1) | instskip(NEXT) | instid1(VALU_DEP_1)
	v_mul_f64_e32 v[0:1], v[4:5], v[0:1]
	v_fma_f64 v[0:1], v[6:7], 0.5, -v[0:1]
	s_delay_alu instid0(VALU_DEP_1)
	v_mul_f64_e32 v[0:1], v[2:3], v[0:1]
                                        ; implicit-def: $vgpr2_vgpr3
.LBB8_15:
	s_and_not1_saveexec_b32 s0, s17
	s_cbranch_execz .LBB8_17
; %bb.16:
	v_div_scale_f64 v[0:1], null, v[2:3], v[2:3], 0x40200000
	v_div_scale_f64 v[8:9], vcc_lo, 0x40200000, v[2:3], 0x40200000
	s_mov_b64 s[18:19], 0x3c5871a5cf8c9ee1
	v_rcp_f64_e32 v[4:5], v[0:1]
	v_nop
	s_delay_alu instid0(TRANS32_DEP_1) | instskip(NEXT) | instid1(VALU_DEP_1)
	v_fma_f64 v[6:7], -v[0:1], v[4:5], 1.0
	v_fmac_f64_e32 v[4:5], v[4:5], v[6:7]
	s_delay_alu instid0(VALU_DEP_1) | instskip(NEXT) | instid1(VALU_DEP_1)
	v_fma_f64 v[6:7], -v[0:1], v[4:5], 1.0
	v_fmac_f64_e32 v[4:5], v[4:5], v[6:7]
	s_delay_alu instid0(VALU_DEP_1) | instskip(NEXT) | instid1(VALU_DEP_1)
	v_mul_f64_e32 v[6:7], v[8:9], v[4:5]
	v_fma_f64 v[0:1], -v[0:1], v[6:7], v[8:9]
	s_delay_alu instid0(VALU_DEP_1) | instskip(SKIP_1) | instid1(VALU_DEP_2)
	v_div_fmas_f64 v[0:1], v[0:1], v[4:5], v[6:7]
	v_cmp_gt_f64_e32 vcc_lo, 0x10000000, v[2:3]
	v_div_fixup_f64 v[0:1], v[0:1], v[2:3], 0x40200000
	v_cndmask_b32_e64 v8, 0, 0x100, vcc_lo
	s_delay_alu instid0(VALU_DEP_1) | instskip(NEXT) | instid1(VALU_DEP_3)
	v_ldexp_f64 v[2:3], v[2:3], v8
	v_add_f64_e32 v[0:1], -2.0, v[0:1]
	s_delay_alu instid0(VALU_DEP_2) | instskip(NEXT) | instid1(VALU_DEP_1)
	v_rsq_f64_e32 v[8:9], v[2:3]
	v_fmaak_f64 v[4:5], s[18:19], v[0:1], 0xbc72fecc93812603
	s_delay_alu instid0(VALU_DEP_1) | instskip(NEXT) | instid1(TRANS32_DEP_1)
	v_fmaak_f64 v[6:7], v[0:1], v[4:5], 0xbc5871a5cf8c9ee1
	v_mul_f64_e32 v[12:13], v[2:3], v[8:9]
	v_mul_f64_e32 v[8:9], 0.5, v[8:9]
	s_delay_alu instid0(VALU_DEP_3) | instskip(NEXT) | instid1(VALU_DEP_2)
	v_add_f64_e32 v[6:7], 0x3c8e092e41a8cdf4, v[6:7]
	v_fma_f64 v[14:15], -v[8:9], v[12:13], 0.5
	s_delay_alu instid0(VALU_DEP_2) | instskip(NEXT) | instid1(VALU_DEP_2)
	v_fma_f64 v[4:5], v[0:1], v[6:7], -v[4:5]
	v_fmac_f64_e32 v[12:13], v[12:13], v[14:15]
	s_delay_alu instid0(VALU_DEP_2) | instskip(SKIP_1) | instid1(VALU_DEP_3)
	v_add_f64_e32 v[4:5], 0xbca82f9474d77641, v[4:5]
	v_fmac_f64_e32 v[8:9], v[8:9], v[14:15]
	v_fma_f64 v[14:15], -v[12:13], v[12:13], v[2:3]
	s_delay_alu instid0(VALU_DEP_3) | instskip(NEXT) | instid1(VALU_DEP_2)
	v_fma_f64 v[6:7], v[0:1], v[4:5], -v[6:7]
	v_fmac_f64_e32 v[12:13], v[14:15], v[8:9]
	s_delay_alu instid0(VALU_DEP_2) | instskip(NEXT) | instid1(VALU_DEP_1)
	v_add_f64_e32 v[6:7], 0x3cc3dbf96b94785b, v[6:7]
	v_fma_f64 v[4:5], v[0:1], v[6:7], -v[4:5]
	s_delay_alu instid0(VALU_DEP_1) | instskip(NEXT) | instid1(VALU_DEP_1)
	v_add_f64_e32 v[4:5], 0xbce0a690ecfadd36, v[4:5]
	v_fma_f64 v[6:7], v[0:1], v[4:5], -v[6:7]
	s_delay_alu instid0(VALU_DEP_1) | instskip(NEXT) | instid1(VALU_DEP_1)
	;; [unrolled: 3-line block ×19, first 2 shown]
	v_add_f64_e32 v[4:5], 0xbfa019f72d4ff71e, v[4:5]
	v_fma_f64 v[0:1], v[0:1], v[4:5], -v[6:7]
	v_fma_f64 v[4:5], -v[12:13], v[12:13], v[2:3]
	s_delay_alu instid0(VALU_DEP_2) | instskip(NEXT) | instid1(VALU_DEP_2)
	v_add_f64_e32 v[0:1], 0x400385bd9f4e6907, v[0:1]
	v_fmac_f64_e32 v[12:13], v[4:5], v[8:9]
	v_cndmask_b32_e64 v4, 0, 0xffffff80, vcc_lo
	v_cmp_class_f64_e64 vcc_lo, v[2:3], 0x260
	s_delay_alu instid0(VALU_DEP_4) | instskip(NEXT) | instid1(VALU_DEP_3)
	v_add_f64_e64 v[0:1], v[0:1], -v[6:7]
	v_ldexp_f64 v[4:5], v[12:13], v4
	s_delay_alu instid0(VALU_DEP_1) | instskip(NEXT) | instid1(VALU_DEP_2)
	v_dual_mul_f64 v[0:1], 0.5, v[0:1] :: v_dual_cndmask_b32 v3, v5, v3, vcc_lo
	v_cndmask_b32_e32 v2, v4, v2, vcc_lo
	s_delay_alu instid0(VALU_DEP_1) | instskip(NEXT) | instid1(VALU_DEP_1)
	v_div_scale_f64 v[4:5], null, v[2:3], v[2:3], v[0:1]
	v_rcp_f64_e32 v[6:7], v[4:5]
	v_nop
	s_delay_alu instid0(TRANS32_DEP_1) | instskip(NEXT) | instid1(VALU_DEP_1)
	v_fma_f64 v[8:9], -v[4:5], v[6:7], 1.0
	v_fmac_f64_e32 v[6:7], v[6:7], v[8:9]
	s_delay_alu instid0(VALU_DEP_1) | instskip(NEXT) | instid1(VALU_DEP_1)
	v_fma_f64 v[8:9], -v[4:5], v[6:7], 1.0
	v_fmac_f64_e32 v[6:7], v[6:7], v[8:9]
	v_div_scale_f64 v[8:9], vcc_lo, v[0:1], v[2:3], v[0:1]
	s_delay_alu instid0(VALU_DEP_1) | instskip(NEXT) | instid1(VALU_DEP_1)
	v_mul_f64_e32 v[12:13], v[8:9], v[6:7]
	v_fma_f64 v[4:5], -v[4:5], v[12:13], v[8:9]
	s_delay_alu instid0(VALU_DEP_1) | instskip(NEXT) | instid1(VALU_DEP_1)
	v_div_fmas_f64 v[4:5], v[4:5], v[6:7], v[12:13]
	v_div_fixup_f64 v[0:1], v[4:5], v[2:3], v[0:1]
.LBB8_17:
	s_or_b32 exec_lo, exec_lo, s0
.LBB8_18:
	s_delay_alu instid0(SALU_CYCLE_1)
	s_or_b32 exec_lo, exec_lo, s16
.LBB8_19:
	s_delay_alu instid0(SALU_CYCLE_1) | instskip(SKIP_2) | instid1(SALU_CYCLE_1)
	s_or_b32 exec_lo, exec_lo, s11
	v_mul_lo_u32 v2, v10, s2
	s_and_b32 s11, s8, 0xff
	s_cmp_lt_i32 s11, 11
	s_delay_alu instid0(VALU_DEP_1) | instskip(NEXT) | instid1(VALU_DEP_1)
	v_ashrrev_i32_e32 v3, 31, v2
	v_add_nc_u64_e32 v[4:5], s[4:5], v[2:3]
	s_cbranch_scc1 .LBB8_27
; %bb.20:
	s_and_b32 s16, 0xffff, s11
	s_delay_alu instid0(SALU_CYCLE_1)
	s_cmp_gt_i32 s16, 25
	s_cbranch_scc0 .LBB8_30
; %bb.21:
	s_cmp_gt_i32 s16, 28
	s_cbranch_scc0 .LBB8_32
; %bb.22:
	;; [unrolled: 3-line block ×4, first 2 shown]
	s_mov_b32 s18, 0
	s_mov_b32 s0, -1
	s_cmp_eq_u32 s16, 46
	s_mov_b32 s17, 0
	s_cbranch_scc0 .LBB8_41
; %bb.25:
	s_delay_alu instid0(VALU_DEP_4) | instskip(SKIP_2) | instid1(VALU_DEP_1)
	v_cvt_f32_f64_e32 v2, v[0:1]
	s_mov_b32 s17, -1
	s_mov_b32 s0, 0
	v_bfe_u32 v3, v2, 16, 1
	v_cmp_o_f32_e32 vcc_lo, v2, v2
	s_delay_alu instid0(VALU_DEP_2) | instskip(NEXT) | instid1(VALU_DEP_1)
	v_add3_u32 v3, v2, v3, 0x7fff
	v_lshrrev_b32_e32 v3, 16, v3
	s_delay_alu instid0(VALU_DEP_1)
	v_cndmask_b32_e32 v2, 0x7fc0, v3, vcc_lo
	global_store_b32 v[4:5], v2, off
	s_branch .LBB8_41
.LBB8_26:
                                        ; implicit-def: $vgpr2_vgpr3
	s_cbranch_execnz .LBB8_175
	s_branch .LBB8_209
.LBB8_27:
	s_mov_b32 s0, 0
	s_mov_b32 s17, 0
	s_cbranch_execnz .LBB8_110
.LBB8_28:
	s_and_not1_b32 vcc_lo, exec_lo, s17
	s_cbranch_vccnz .LBB8_258
	s_branch .LBB8_148
.LBB8_29:
	s_mov_b32 s16, -1
                                        ; implicit-def: $vgpr2_vgpr3
	s_branch .LBB8_156
.LBB8_30:
	s_mov_b32 s18, -1
	s_mov_b32 s0, 0
	s_mov_b32 s17, 0
	s_branch .LBB8_68
.LBB8_31:
	s_mov_b32 s16, -1
                                        ; implicit-def: $vgpr2_vgpr3
	s_branch .LBB8_151
.LBB8_32:
	s_mov_b32 s18, -1
	s_mov_b32 s0, 0
	s_mov_b32 s17, 0
	s_branch .LBB8_51
.LBB8_33:
	s_mov_b32 s16, -1
	s_branch .LBB8_36
.LBB8_34:
	s_mov_b32 s18, -1
	s_mov_b32 s0, 0
	s_mov_b32 s17, 0
	s_branch .LBB8_47
.LBB8_35:
	s_mov_b32 s13, -1
.LBB8_36:
                                        ; implicit-def: $vgpr2_vgpr3
.LBB8_37:
	s_and_b32 vcc_lo, exec_lo, s16
	s_cbranch_vccz .LBB8_150
; %bb.38:
	s_cmp_eq_u32 s0, 44
	s_cbranch_scc0 .LBB8_149
; %bb.39:
	global_load_u8 v4, v[0:1], off
	s_mov_b32 s13, 0
	s_mov_b32 s11, -1
	s_wait_loadcnt 0x0
	v_cmp_ne_u32_e32 vcc_lo, 0xff, v4
	v_lshlrev_b32_e32 v2, 23, v4
	s_delay_alu instid0(VALU_DEP_1) | instskip(NEXT) | instid1(VALU_DEP_1)
	v_cvt_f64_f32_e32 v[2:3], v2
	v_cndmask_b32_e32 v2, 0x20000000, v2, vcc_lo
	s_delay_alu instid0(VALU_DEP_2) | instskip(SKIP_1) | instid1(VALU_DEP_2)
	v_cndmask_b32_e32 v3, 0x7ff80000, v3, vcc_lo
	v_cmp_ne_u32_e32 vcc_lo, 0, v4
	v_cndmask_b32_e32 v3, 0x38000000, v3, vcc_lo
	s_delay_alu instid0(VALU_DEP_4)
	v_cndmask_b32_e32 v2, 0, v2, vcc_lo
	s_branch .LBB8_150
.LBB8_40:
	s_mov_b32 s18, -1
	s_mov_b32 s0, 0
	s_mov_b32 s17, 0
.LBB8_41:
	s_and_b32 vcc_lo, exec_lo, s18
	s_cbranch_vccz .LBB8_46
; %bb.42:
	s_cmp_eq_u32 s16, 44
	s_mov_b32 s0, -1
	s_cbranch_scc0 .LBB8_46
; %bb.43:
	s_wait_xcnt 0x0
	s_delay_alu instid0(VALU_DEP_4) | instskip(SKIP_2) | instid1(VALU_DEP_2)
	v_cvt_f32_f64_e32 v2, v[0:1]
	v_mov_b32_e32 v3, 0xff
	s_mov_b32 s17, exec_lo
	v_bfe_u32 v6, v2, 23, 8
	s_delay_alu instid0(VALU_DEP_1)
	v_cmpx_ne_u32_e32 0xff, v6
	s_cbranch_execz .LBB8_45
; %bb.44:
	v_and_b32_e32 v3, 0x400000, v2
	v_and_or_b32 v6, 0x3fffff, v2, v6
	v_lshrrev_b32_e32 v2, 23, v2
	s_delay_alu instid0(VALU_DEP_3) | instskip(NEXT) | instid1(VALU_DEP_3)
	v_cmp_ne_u32_e32 vcc_lo, 0, v3
	v_cmp_ne_u32_e64 s0, 0, v6
	s_and_b32 s0, vcc_lo, s0
	s_delay_alu instid0(SALU_CYCLE_1) | instskip(NEXT) | instid1(VALU_DEP_1)
	v_cndmask_b32_e64 v3, 0, 1, s0
	v_add_nc_u32_e32 v3, v2, v3
.LBB8_45:
	s_or_b32 exec_lo, exec_lo, s17
	s_mov_b32 s17, -1
	s_mov_b32 s0, 0
	global_store_b8 v[4:5], v3, off
.LBB8_46:
	s_mov_b32 s18, 0
.LBB8_47:
	s_delay_alu instid0(SALU_CYCLE_1)
	s_and_b32 vcc_lo, exec_lo, s18
	s_cbranch_vccz .LBB8_50
; %bb.48:
	s_cmp_eq_u32 s16, 29
	s_mov_b32 s0, -1
	s_cbranch_scc0 .LBB8_50
; %bb.49:
	s_wait_xcnt 0x0
	s_delay_alu instid0(VALU_DEP_4) | instskip(SKIP_3) | instid1(VALU_DEP_1)
	v_trunc_f64_e32 v[2:3], v[0:1]
	s_mov_b32 s17, -1
	s_mov_b32 s0, 0
	s_mov_b32 s18, 0
	v_ldexp_f64 v[6:7], v[2:3], 0xffffffe0
	s_delay_alu instid0(VALU_DEP_1) | instskip(NEXT) | instid1(VALU_DEP_1)
	v_floor_f64_e32 v[6:7], v[6:7]
	v_fmamk_f64 v[2:3], v[6:7], 0xc1f00000, v[2:3]
	v_cvt_u32_f64_e32 v7, v[6:7]
	s_delay_alu instid0(VALU_DEP_2)
	v_cvt_u32_f64_e32 v6, v[2:3]
	global_store_b64 v[4:5], v[6:7], off
	s_branch .LBB8_51
.LBB8_50:
	s_mov_b32 s18, 0
.LBB8_51:
	s_delay_alu instid0(SALU_CYCLE_1)
	s_and_b32 vcc_lo, exec_lo, s18
	s_cbranch_vccz .LBB8_67
; %bb.52:
	s_cmp_lt_i32 s16, 27
	s_mov_b32 s17, -1
	s_cbranch_scc1 .LBB8_58
; %bb.53:
	s_wait_xcnt 0x0
	s_delay_alu instid0(VALU_DEP_4)
	v_cvt_u32_f64_e32 v2, v[0:1]
	s_cmp_gt_i32 s16, 27
	s_cbranch_scc0 .LBB8_55
; %bb.54:
	s_mov_b32 s17, 0
	global_store_b32 v[4:5], v2, off
.LBB8_55:
	s_and_not1_b32 vcc_lo, exec_lo, s17
	s_cbranch_vccnz .LBB8_57
; %bb.56:
	global_store_b16 v[4:5], v2, off
.LBB8_57:
	s_mov_b32 s17, 0
.LBB8_58:
	s_delay_alu instid0(SALU_CYCLE_1)
	s_and_not1_b32 vcc_lo, exec_lo, s17
	s_cbranch_vccnz .LBB8_66
; %bb.59:
	s_wait_xcnt 0x0
	s_delay_alu instid0(VALU_DEP_4) | instskip(SKIP_2) | instid1(VALU_DEP_2)
	v_cvt_f32_f64_e32 v2, v[0:1]
	v_mov_b32_e32 v6, 0x80
	s_mov_b32 s17, exec_lo
	v_and_b32_e32 v3, 0x7fffffff, v2
	s_delay_alu instid0(VALU_DEP_1)
	v_cmpx_gt_u32_e32 0x43800000, v3
	s_cbranch_execz .LBB8_65
; %bb.60:
	v_cmp_lt_u32_e32 vcc_lo, 0x3bffffff, v3
	s_mov_b32 s18, 0
                                        ; implicit-def: $vgpr3
	s_and_saveexec_b32 s19, vcc_lo
	s_delay_alu instid0(SALU_CYCLE_1)
	s_xor_b32 s19, exec_lo, s19
	s_cbranch_execz .LBB8_295
; %bb.61:
	v_bfe_u32 v3, v2, 20, 1
	s_mov_b32 s18, exec_lo
	s_delay_alu instid0(VALU_DEP_1) | instskip(NEXT) | instid1(VALU_DEP_1)
	v_add3_u32 v3, v2, v3, 0x487ffff
	v_lshrrev_b32_e32 v3, 20, v3
	s_and_not1_saveexec_b32 s19, s19
	s_cbranch_execnz .LBB8_296
.LBB8_62:
	s_or_b32 exec_lo, exec_lo, s19
	v_mov_b32_e32 v6, 0
	s_and_saveexec_b32 s19, s18
.LBB8_63:
	v_lshrrev_b32_e32 v2, 24, v2
	s_delay_alu instid0(VALU_DEP_1)
	v_and_or_b32 v6, 0x80, v2, v3
.LBB8_64:
	s_or_b32 exec_lo, exec_lo, s19
.LBB8_65:
	s_delay_alu instid0(SALU_CYCLE_1)
	s_or_b32 exec_lo, exec_lo, s17
	global_store_b8 v[4:5], v6, off
.LBB8_66:
	s_mov_b32 s17, -1
.LBB8_67:
	s_mov_b32 s18, 0
.LBB8_68:
	s_delay_alu instid0(SALU_CYCLE_1)
	s_and_b32 vcc_lo, exec_lo, s18
	s_cbranch_vccz .LBB8_109
; %bb.69:
	s_cmp_gt_i32 s16, 22
	s_mov_b32 s18, -1
	s_cbranch_scc0 .LBB8_101
; %bb.70:
	s_cmp_lt_i32 s16, 24
	s_mov_b32 s17, -1
	s_cbranch_scc1 .LBB8_90
; %bb.71:
	s_cmp_gt_i32 s16, 24
	s_cbranch_scc0 .LBB8_79
; %bb.72:
	s_wait_xcnt 0x0
	s_delay_alu instid0(VALU_DEP_4) | instskip(SKIP_2) | instid1(VALU_DEP_2)
	v_cvt_f32_f64_e32 v2, v[0:1]
	v_mov_b32_e32 v6, 0x80
	s_mov_b32 s17, exec_lo
	v_and_b32_e32 v3, 0x7fffffff, v2
	s_delay_alu instid0(VALU_DEP_1)
	v_cmpx_gt_u32_e32 0x47800000, v3
	s_cbranch_execz .LBB8_78
; %bb.73:
	v_cmp_lt_u32_e32 vcc_lo, 0x37ffffff, v3
	s_mov_b32 s18, 0
                                        ; implicit-def: $vgpr3
	s_and_saveexec_b32 s19, vcc_lo
	s_delay_alu instid0(SALU_CYCLE_1)
	s_xor_b32 s19, exec_lo, s19
	s_cbranch_execz .LBB8_299
; %bb.74:
	v_bfe_u32 v3, v2, 21, 1
	s_mov_b32 s18, exec_lo
	s_delay_alu instid0(VALU_DEP_1) | instskip(NEXT) | instid1(VALU_DEP_1)
	v_add3_u32 v3, v2, v3, 0x88fffff
	v_lshrrev_b32_e32 v3, 21, v3
	s_and_not1_saveexec_b32 s19, s19
	s_cbranch_execnz .LBB8_300
.LBB8_75:
	s_or_b32 exec_lo, exec_lo, s19
	v_mov_b32_e32 v6, 0
	s_and_saveexec_b32 s19, s18
.LBB8_76:
	v_lshrrev_b32_e32 v2, 24, v2
	s_delay_alu instid0(VALU_DEP_1)
	v_and_or_b32 v6, 0x80, v2, v3
.LBB8_77:
	s_or_b32 exec_lo, exec_lo, s19
.LBB8_78:
	s_delay_alu instid0(SALU_CYCLE_1)
	s_or_b32 exec_lo, exec_lo, s17
	s_mov_b32 s17, 0
	global_store_b8 v[4:5], v6, off
.LBB8_79:
	s_and_b32 vcc_lo, exec_lo, s17
	s_cbranch_vccz .LBB8_89
; %bb.80:
	s_wait_xcnt 0x0
	s_delay_alu instid0(VALU_DEP_4) | instskip(SKIP_1) | instid1(VALU_DEP_1)
	v_cvt_f32_f64_e32 v2, v[0:1]
	s_mov_b32 s17, exec_lo
                                        ; implicit-def: $vgpr3
	v_and_b32_e32 v6, 0x7fffffff, v2
	s_delay_alu instid0(VALU_DEP_1)
	v_cmpx_gt_u32_e32 0x43f00000, v6
	s_xor_b32 s17, exec_lo, s17
	s_cbranch_execz .LBB8_86
; %bb.81:
	s_mov_b32 s18, exec_lo
                                        ; implicit-def: $vgpr3
	v_cmpx_lt_u32_e32 0x3c7fffff, v6
	s_xor_b32 s18, exec_lo, s18
; %bb.82:
	v_bfe_u32 v3, v2, 20, 1
	s_delay_alu instid0(VALU_DEP_1) | instskip(NEXT) | instid1(VALU_DEP_1)
	v_add3_u32 v3, v2, v3, 0x407ffff
	v_and_b32_e32 v6, 0xff00000, v3
	v_lshrrev_b32_e32 v3, 20, v3
	s_delay_alu instid0(VALU_DEP_2) | instskip(NEXT) | instid1(VALU_DEP_2)
	v_cmp_ne_u32_e32 vcc_lo, 0x7f00000, v6
	v_cndmask_b32_e32 v3, 0x7e, v3, vcc_lo
; %bb.83:
	s_and_not1_saveexec_b32 s18, s18
; %bb.84:
	v_add_f32_e64 v3, 0x46800000, |v2|
; %bb.85:
	s_or_b32 exec_lo, exec_lo, s18
                                        ; implicit-def: $vgpr6
.LBB8_86:
	s_and_not1_saveexec_b32 s17, s17
; %bb.87:
	v_mov_b32_e32 v3, 0x7f
	v_cmp_lt_u32_e32 vcc_lo, 0x7f800000, v6
	s_delay_alu instid0(VALU_DEP_2)
	v_cndmask_b32_e32 v3, 0x7e, v3, vcc_lo
; %bb.88:
	s_or_b32 exec_lo, exec_lo, s17
	v_lshrrev_b32_e32 v2, 24, v2
	s_delay_alu instid0(VALU_DEP_1)
	v_and_or_b32 v2, 0x80, v2, v3
	global_store_b8 v[4:5], v2, off
.LBB8_89:
	s_mov_b32 s17, 0
.LBB8_90:
	s_delay_alu instid0(SALU_CYCLE_1)
	s_and_not1_b32 vcc_lo, exec_lo, s17
	s_cbranch_vccnz .LBB8_100
; %bb.91:
	s_wait_xcnt 0x0
	s_delay_alu instid0(VALU_DEP_4) | instskip(SKIP_1) | instid1(VALU_DEP_1)
	v_cvt_f32_f64_e32 v2, v[0:1]
	s_mov_b32 s17, exec_lo
                                        ; implicit-def: $vgpr3
	v_and_b32_e32 v6, 0x7fffffff, v2
	s_delay_alu instid0(VALU_DEP_1)
	v_cmpx_gt_u32_e32 0x47800000, v6
	s_xor_b32 s17, exec_lo, s17
	s_cbranch_execz .LBB8_97
; %bb.92:
	s_mov_b32 s18, exec_lo
                                        ; implicit-def: $vgpr3
	v_cmpx_lt_u32_e32 0x387fffff, v6
	s_xor_b32 s18, exec_lo, s18
; %bb.93:
	v_bfe_u32 v3, v2, 21, 1
	s_delay_alu instid0(VALU_DEP_1) | instskip(NEXT) | instid1(VALU_DEP_1)
	v_add3_u32 v3, v2, v3, 0x80fffff
	v_lshrrev_b32_e32 v3, 21, v3
; %bb.94:
	s_and_not1_saveexec_b32 s18, s18
; %bb.95:
	v_add_f32_e64 v3, 0x43000000, |v2|
; %bb.96:
	s_or_b32 exec_lo, exec_lo, s18
                                        ; implicit-def: $vgpr6
.LBB8_97:
	s_and_not1_saveexec_b32 s17, s17
; %bb.98:
	v_mov_b32_e32 v3, 0x7f
	v_cmp_lt_u32_e32 vcc_lo, 0x7f800000, v6
	s_delay_alu instid0(VALU_DEP_2)
	v_cndmask_b32_e32 v3, 0x7c, v3, vcc_lo
; %bb.99:
	s_or_b32 exec_lo, exec_lo, s17
	v_lshrrev_b32_e32 v2, 24, v2
	s_delay_alu instid0(VALU_DEP_1)
	v_and_or_b32 v2, 0x80, v2, v3
	global_store_b8 v[4:5], v2, off
.LBB8_100:
	s_mov_b32 s18, 0
	s_mov_b32 s17, -1
.LBB8_101:
	s_and_not1_b32 vcc_lo, exec_lo, s18
	s_cbranch_vccnz .LBB8_109
; %bb.102:
	s_cmp_gt_i32 s16, 14
	s_mov_b32 s18, -1
	s_cbranch_scc0 .LBB8_106
; %bb.103:
	s_cmp_eq_u32 s16, 15
	s_mov_b32 s0, -1
	s_cbranch_scc0 .LBB8_105
; %bb.104:
	s_wait_xcnt 0x0
	s_delay_alu instid0(VALU_DEP_4) | instskip(SKIP_2) | instid1(VALU_DEP_1)
	v_cvt_f32_f64_e32 v2, v[0:1]
	s_mov_b32 s17, -1
	s_mov_b32 s0, 0
	v_bfe_u32 v3, v2, 16, 1
	v_cmp_o_f32_e32 vcc_lo, v2, v2
	s_delay_alu instid0(VALU_DEP_2) | instskip(NEXT) | instid1(VALU_DEP_1)
	v_add3_u32 v3, v2, v3, 0x7fff
	v_lshrrev_b32_e32 v3, 16, v3
	s_delay_alu instid0(VALU_DEP_1)
	v_cndmask_b32_e32 v2, 0x7fc0, v3, vcc_lo
	global_store_b16 v[4:5], v2, off
.LBB8_105:
	s_mov_b32 s18, 0
.LBB8_106:
	s_delay_alu instid0(SALU_CYCLE_1)
	s_and_b32 vcc_lo, exec_lo, s18
	s_cbranch_vccz .LBB8_109
; %bb.107:
	s_cmp_eq_u32 s16, 11
	s_mov_b32 s0, -1
	s_cbranch_scc0 .LBB8_109
; %bb.108:
	v_cmp_neq_f64_e32 vcc_lo, 0, v[0:1]
	s_mov_b32 s17, -1
	s_mov_b32 s0, 0
	s_wait_xcnt 0x0
	v_cndmask_b32_e64 v2, 0, 1, vcc_lo
	global_store_b8 v[4:5], v2, off
.LBB8_109:
	s_branch .LBB8_28
.LBB8_110:
	s_and_b32 s11, 0xffff, s11
	s_mov_b32 s16, -1
	s_cmp_lt_i32 s11, 5
	s_cbranch_scc1 .LBB8_131
; %bb.111:
	s_cmp_lt_i32 s11, 8
	s_cbranch_scc1 .LBB8_121
; %bb.112:
	;; [unrolled: 3-line block ×3, first 2 shown]
	s_cmp_gt_i32 s11, 9
	s_cbranch_scc0 .LBB8_115
; %bb.114:
	s_wait_xcnt 0x0
	v_mov_b32_e32 v2, 0
	s_mov_b32 s16, 0
	s_delay_alu instid0(VALU_DEP_1)
	v_mov_b32_e32 v3, v2
	global_store_b128 v[4:5], v[0:3], off
.LBB8_115:
	s_and_not1_b32 vcc_lo, exec_lo, s16
	s_cbranch_vccnz .LBB8_117
; %bb.116:
	s_wait_xcnt 0x0
	s_delay_alu instid0(VALU_DEP_4)
	v_cvt_f32_f64_e32 v2, v[0:1]
	v_mov_b32_e32 v3, 0
	global_store_b64 v[4:5], v[2:3], off
.LBB8_117:
	s_mov_b32 s16, 0
.LBB8_118:
	s_delay_alu instid0(SALU_CYCLE_1)
	s_and_not1_b32 vcc_lo, exec_lo, s16
	s_cbranch_vccnz .LBB8_120
; %bb.119:
	s_wait_xcnt 0x0
	s_delay_alu instid0(VALU_DEP_4) | instskip(SKIP_2) | instid1(VALU_DEP_3)
	v_and_or_b32 v2, 0x1ff, v1, v0
	v_lshrrev_b32_e32 v3, 8, v1
	v_bfe_u32 v6, v1, 20, 11
	v_cmp_ne_u32_e32 vcc_lo, 0, v2
	s_delay_alu instid0(VALU_DEP_2) | instskip(SKIP_1) | instid1(VALU_DEP_1)
	v_sub_nc_u32_e32 v7, 0x3f1, v6
	v_cndmask_b32_e64 v2, 0, 1, vcc_lo
	v_and_or_b32 v2, 0xffe, v3, v2
	s_delay_alu instid0(VALU_DEP_3) | instskip(NEXT) | instid1(VALU_DEP_2)
	v_med3_i32 v3, v7, 0, 13
	v_or_b32_e32 v7, 0x1000, v2
	s_delay_alu instid0(VALU_DEP_1) | instskip(NEXT) | instid1(VALU_DEP_1)
	v_lshrrev_b32_e32 v8, v3, v7
	v_lshlrev_b32_e32 v3, v3, v8
	s_delay_alu instid0(VALU_DEP_1) | instskip(SKIP_1) | instid1(VALU_DEP_1)
	v_cmp_ne_u32_e32 vcc_lo, v3, v7
	v_cndmask_b32_e64 v3, 0, 1, vcc_lo
	v_or_b32_e32 v3, v8, v3
	v_add_nc_u32_e32 v6, 0xfffffc10, v6
	s_delay_alu instid0(VALU_DEP_1) | instskip(SKIP_1) | instid1(VALU_DEP_2)
	v_lshl_or_b32 v7, v6, 12, v2
	v_cmp_gt_i32_e32 vcc_lo, 1, v6
	v_cndmask_b32_e32 v3, v7, v3, vcc_lo
	s_delay_alu instid0(VALU_DEP_1) | instskip(NEXT) | instid1(VALU_DEP_1)
	v_dual_lshrrev_b32 v3, 2, v3 :: v_dual_bitop2_b32 v7, 7, v3 bitop3:0x40
	v_cmp_lt_i32_e32 vcc_lo, 5, v7
	v_cndmask_b32_e64 v8, 0, 1, vcc_lo
	v_cmp_eq_u32_e32 vcc_lo, 3, v7
	v_cndmask_b32_e64 v7, 0, 1, vcc_lo
	v_cmp_ne_u32_e32 vcc_lo, 0, v2
	s_delay_alu instid0(VALU_DEP_2) | instskip(NEXT) | instid1(VALU_DEP_1)
	v_or_b32_e32 v7, v7, v8
	v_dual_mov_b32 v8, 0x7e00 :: v_dual_add_nc_u32 v3, v3, v7
	s_delay_alu instid0(VALU_DEP_1) | instskip(SKIP_2) | instid1(VALU_DEP_4)
	v_cndmask_b32_e32 v2, 0x7c00, v8, vcc_lo
	v_cmp_gt_i32_e32 vcc_lo, 31, v6
	v_lshrrev_b32_e32 v7, 16, v1
	v_cndmask_b32_e32 v3, 0x7c00, v3, vcc_lo
	v_cmp_eq_u32_e32 vcc_lo, 0x40f, v6
	s_delay_alu instid0(VALU_DEP_2) | instskip(NEXT) | instid1(VALU_DEP_4)
	v_cndmask_b32_e32 v2, v3, v2, vcc_lo
	v_and_b32_e32 v3, 0x8000, v7
	s_delay_alu instid0(VALU_DEP_1)
	v_bitop3_b32 v2, v3, 0xffff, v2 bitop3:0xc8
	global_store_b32 v[4:5], v2, off
.LBB8_120:
	s_mov_b32 s16, 0
.LBB8_121:
	s_delay_alu instid0(SALU_CYCLE_1)
	s_and_not1_b32 vcc_lo, exec_lo, s16
	s_cbranch_vccnz .LBB8_130
; %bb.122:
	s_cmp_lt_i32 s11, 6
	s_mov_b32 s16, -1
	s_cbranch_scc1 .LBB8_128
; %bb.123:
	s_cmp_gt_i32 s11, 6
	s_cbranch_scc0 .LBB8_125
; %bb.124:
	s_mov_b32 s16, 0
	global_store_b64 v[4:5], v[0:1], off
.LBB8_125:
	s_and_not1_b32 vcc_lo, exec_lo, s16
	s_cbranch_vccnz .LBB8_127
; %bb.126:
	s_wait_xcnt 0x0
	s_delay_alu instid0(VALU_DEP_4)
	v_cvt_f32_f64_e32 v2, v[0:1]
	global_store_b32 v[4:5], v2, off
.LBB8_127:
	s_mov_b32 s16, 0
.LBB8_128:
	s_delay_alu instid0(SALU_CYCLE_1)
	s_and_not1_b32 vcc_lo, exec_lo, s16
	s_cbranch_vccnz .LBB8_130
; %bb.129:
	s_wait_xcnt 0x0
	s_delay_alu instid0(VALU_DEP_4) | instskip(SKIP_2) | instid1(VALU_DEP_3)
	v_and_or_b32 v2, 0x1ff, v1, v0
	v_lshrrev_b32_e32 v3, 8, v1
	v_bfe_u32 v6, v1, 20, 11
	v_cmp_ne_u32_e32 vcc_lo, 0, v2
	s_delay_alu instid0(VALU_DEP_2) | instskip(SKIP_1) | instid1(VALU_DEP_1)
	v_sub_nc_u32_e32 v7, 0x3f1, v6
	v_cndmask_b32_e64 v2, 0, 1, vcc_lo
	v_and_or_b32 v2, 0xffe, v3, v2
	s_delay_alu instid0(VALU_DEP_3) | instskip(NEXT) | instid1(VALU_DEP_2)
	v_med3_i32 v3, v7, 0, 13
	v_or_b32_e32 v7, 0x1000, v2
	s_delay_alu instid0(VALU_DEP_1) | instskip(NEXT) | instid1(VALU_DEP_1)
	v_lshrrev_b32_e32 v8, v3, v7
	v_lshlrev_b32_e32 v3, v3, v8
	s_delay_alu instid0(VALU_DEP_1) | instskip(SKIP_1) | instid1(VALU_DEP_1)
	v_cmp_ne_u32_e32 vcc_lo, v3, v7
	v_cndmask_b32_e64 v3, 0, 1, vcc_lo
	v_or_b32_e32 v3, v8, v3
	v_add_nc_u32_e32 v6, 0xfffffc10, v6
	s_delay_alu instid0(VALU_DEP_1) | instskip(SKIP_1) | instid1(VALU_DEP_2)
	v_lshl_or_b32 v7, v6, 12, v2
	v_cmp_gt_i32_e32 vcc_lo, 1, v6
	v_cndmask_b32_e32 v3, v7, v3, vcc_lo
	s_delay_alu instid0(VALU_DEP_1) | instskip(NEXT) | instid1(VALU_DEP_1)
	v_dual_lshrrev_b32 v3, 2, v3 :: v_dual_bitop2_b32 v7, 7, v3 bitop3:0x40
	v_cmp_lt_i32_e32 vcc_lo, 5, v7
	v_cndmask_b32_e64 v8, 0, 1, vcc_lo
	v_cmp_eq_u32_e32 vcc_lo, 3, v7
	v_cndmask_b32_e64 v7, 0, 1, vcc_lo
	v_cmp_ne_u32_e32 vcc_lo, 0, v2
	s_delay_alu instid0(VALU_DEP_2) | instskip(NEXT) | instid1(VALU_DEP_1)
	v_or_b32_e32 v7, v7, v8
	v_dual_mov_b32 v8, 0x7e00 :: v_dual_add_nc_u32 v3, v3, v7
	s_delay_alu instid0(VALU_DEP_1) | instskip(SKIP_1) | instid1(VALU_DEP_3)
	v_cndmask_b32_e32 v2, 0x7c00, v8, vcc_lo
	v_cmp_gt_i32_e32 vcc_lo, 31, v6
	v_cndmask_b32_e32 v3, 0x7c00, v3, vcc_lo
	v_cmp_eq_u32_e32 vcc_lo, 0x40f, v6
	s_delay_alu instid0(VALU_DEP_2) | instskip(NEXT) | instid1(VALU_DEP_1)
	v_dual_cndmask_b32 v2, v3, v2 :: v_dual_lshrrev_b32 v3, 16, v1
	v_and_or_b32 v2, 0x8000, v3, v2
	global_store_b16 v[4:5], v2, off
.LBB8_130:
	s_mov_b32 s16, 0
.LBB8_131:
	s_delay_alu instid0(SALU_CYCLE_1)
	s_and_not1_b32 vcc_lo, exec_lo, s16
	s_cbranch_vccnz .LBB8_147
; %bb.132:
	s_cmp_lt_i32 s11, 2
	s_mov_b32 s16, -1
	s_cbranch_scc1 .LBB8_142
; %bb.133:
	s_cmp_lt_i32 s11, 3
	s_cbranch_scc1 .LBB8_139
; %bb.134:
	s_cmp_gt_i32 s11, 3
	s_cbranch_scc0 .LBB8_136
; %bb.135:
	s_wait_xcnt 0x0
	s_delay_alu instid0(VALU_DEP_4) | instskip(SKIP_1) | instid1(VALU_DEP_1)
	v_trunc_f64_e32 v[2:3], v[0:1]
	s_mov_b32 s16, 0
	v_ldexp_f64 v[6:7], v[2:3], 0xffffffe0
	s_delay_alu instid0(VALU_DEP_1) | instskip(NEXT) | instid1(VALU_DEP_1)
	v_floor_f64_e32 v[6:7], v[6:7]
	v_fmamk_f64 v[2:3], v[6:7], 0xc1f00000, v[2:3]
	v_cvt_i32_f64_e32 v7, v[6:7]
	s_delay_alu instid0(VALU_DEP_2)
	v_cvt_u32_f64_e32 v6, v[2:3]
	global_store_b64 v[4:5], v[6:7], off
.LBB8_136:
	s_and_not1_b32 vcc_lo, exec_lo, s16
	s_cbranch_vccnz .LBB8_138
; %bb.137:
	s_wait_xcnt 0x0
	s_delay_alu instid0(VALU_DEP_4)
	v_cvt_i32_f64_e32 v2, v[0:1]
	global_store_b32 v[4:5], v2, off
.LBB8_138:
	s_mov_b32 s16, 0
.LBB8_139:
	s_delay_alu instid0(SALU_CYCLE_1)
	s_and_not1_b32 vcc_lo, exec_lo, s16
	s_cbranch_vccnz .LBB8_141
; %bb.140:
	s_wait_xcnt 0x0
	s_delay_alu instid0(VALU_DEP_4)
	v_cvt_i32_f64_e32 v2, v[0:1]
	global_store_b16 v[4:5], v2, off
.LBB8_141:
	s_mov_b32 s16, 0
.LBB8_142:
	s_delay_alu instid0(SALU_CYCLE_1)
	s_and_not1_b32 vcc_lo, exec_lo, s16
	s_cbranch_vccnz .LBB8_147
; %bb.143:
	s_cmp_gt_i32 s11, 0
	s_mov_b32 s11, -1
	s_cbranch_scc0 .LBB8_145
; %bb.144:
	s_wait_xcnt 0x0
	s_delay_alu instid0(VALU_DEP_4)
	v_cvt_i32_f64_e32 v2, v[0:1]
	s_mov_b32 s11, 0
	global_store_b8 v[4:5], v2, off
.LBB8_145:
	s_and_not1_b32 vcc_lo, exec_lo, s11
	s_cbranch_vccnz .LBB8_147
; %bb.146:
	s_wait_xcnt 0x0
	s_delay_alu instid0(VALU_DEP_4) | instskip(NEXT) | instid1(VALU_DEP_1)
	v_trunc_f64_e32 v[0:1], v[0:1]
	v_ldexp_f64 v[2:3], v[0:1], 0xffffffe0
	s_delay_alu instid0(VALU_DEP_1) | instskip(NEXT) | instid1(VALU_DEP_1)
	v_floor_f64_e32 v[2:3], v[2:3]
	v_fmamk_f64 v[0:1], v[2:3], 0xc1f00000, v[0:1]
	s_delay_alu instid0(VALU_DEP_1)
	v_cvt_u32_f64_e32 v0, v[0:1]
	global_store_b8 v[4:5], v0, off
.LBB8_147:
.LBB8_148:
	v_add_nc_u32_e32 v10, 0x80, v10
	s_mov_b32 s16, -1
	s_branch .LBB8_259
.LBB8_149:
	s_mov_b32 s13, -1
                                        ; implicit-def: $vgpr2_vgpr3
.LBB8_150:
	s_mov_b32 s16, 0
.LBB8_151:
	s_delay_alu instid0(SALU_CYCLE_1)
	s_and_b32 vcc_lo, exec_lo, s16
	s_cbranch_vccz .LBB8_155
; %bb.152:
	s_cmp_eq_u32 s0, 29
	s_cbranch_scc0 .LBB8_154
; %bb.153:
	global_load_b64 v[2:3], v[0:1], off
	s_mov_b32 s11, -1
	s_mov_b32 s13, 0
	s_mov_b32 s16, 0
	s_wait_loadcnt 0x0
	v_cvt_f64_u32_e32 v[4:5], v3
	v_cvt_f64_u32_e32 v[2:3], v2
	s_delay_alu instid0(VALU_DEP_2) | instskip(NEXT) | instid1(VALU_DEP_1)
	v_ldexp_f64 v[4:5], v[4:5], 32
	v_add_f64_e32 v[2:3], v[4:5], v[2:3]
	s_branch .LBB8_156
.LBB8_154:
	s_mov_b32 s13, -1
                                        ; implicit-def: $vgpr2_vgpr3
.LBB8_155:
	s_mov_b32 s16, 0
.LBB8_156:
	s_delay_alu instid0(SALU_CYCLE_1)
	s_and_b32 vcc_lo, exec_lo, s16
	s_cbranch_vccz .LBB8_174
; %bb.157:
	s_cmp_lt_i32 s0, 27
	s_cbranch_scc1 .LBB8_160
; %bb.158:
	s_cmp_gt_i32 s0, 27
	s_cbranch_scc0 .LBB8_161
; %bb.159:
	global_load_b32 v2, v[0:1], off
	s_mov_b32 s11, 0
	s_wait_loadcnt 0x0
	v_cvt_f64_u32_e32 v[2:3], v2
	s_branch .LBB8_162
.LBB8_160:
	s_mov_b32 s11, -1
                                        ; implicit-def: $vgpr2_vgpr3
	s_branch .LBB8_165
.LBB8_161:
	s_mov_b32 s11, -1
                                        ; implicit-def: $vgpr2_vgpr3
.LBB8_162:
	s_delay_alu instid0(SALU_CYCLE_1)
	s_and_not1_b32 vcc_lo, exec_lo, s11
	s_cbranch_vccnz .LBB8_164
; %bb.163:
	global_load_u16 v2, v[0:1], off
	s_wait_loadcnt 0x0
	v_cvt_f64_u32_e32 v[2:3], v2
.LBB8_164:
	s_mov_b32 s11, 0
.LBB8_165:
	s_delay_alu instid0(SALU_CYCLE_1)
	s_and_not1_b32 vcc_lo, exec_lo, s11
	s_cbranch_vccnz .LBB8_173
; %bb.166:
	global_load_u8 v4, v[0:1], off
	s_mov_b32 s11, 0
	s_mov_b32 s16, exec_lo
	s_wait_loadcnt 0x0
	v_cmpx_lt_i16_e32 0x7f, v4
	s_xor_b32 s16, exec_lo, s16
	s_cbranch_execz .LBB8_186
; %bb.167:
	s_mov_b32 s11, -1
	s_mov_b32 s17, exec_lo
	v_cmpx_eq_u16_e32 0x80, v4
; %bb.168:
	s_xor_b32 s11, exec_lo, -1
; %bb.169:
	s_or_b32 exec_lo, exec_lo, s17
	s_delay_alu instid0(SALU_CYCLE_1)
	s_and_b32 s11, s11, exec_lo
	s_or_saveexec_b32 s16, s16
	v_mov_b64_e32 v[2:3], 0x7ff8000020000000
	s_xor_b32 exec_lo, exec_lo, s16
	s_cbranch_execnz .LBB8_187
.LBB8_170:
	s_or_b32 exec_lo, exec_lo, s16
	s_and_saveexec_b32 s16, s11
	s_cbranch_execz .LBB8_172
.LBB8_171:
	v_and_b32_e32 v2, 0xffff, v4
	s_delay_alu instid0(VALU_DEP_1) | instskip(SKIP_1) | instid1(VALU_DEP_2)
	v_and_b32_e32 v3, 7, v2
	v_bfe_u32 v7, v2, 3, 4
	v_clz_i32_u32_e32 v5, v3
	s_delay_alu instid0(VALU_DEP_2) | instskip(NEXT) | instid1(VALU_DEP_2)
	v_cmp_eq_u32_e32 vcc_lo, 0, v7
	v_min_u32_e32 v5, 32, v5
	s_delay_alu instid0(VALU_DEP_1) | instskip(NEXT) | instid1(VALU_DEP_1)
	v_subrev_nc_u32_e32 v6, 28, v5
	v_dual_lshlrev_b32 v2, v6, v2 :: v_dual_sub_nc_u32 v5, 29, v5
	s_delay_alu instid0(VALU_DEP_1) | instskip(NEXT) | instid1(VALU_DEP_2)
	v_dual_lshlrev_b32 v4, 24, v4 :: v_dual_bitop2_b32 v2, 7, v2 bitop3:0x40
	v_cndmask_b32_e32 v5, v7, v5, vcc_lo
	s_delay_alu instid0(VALU_DEP_2) | instskip(NEXT) | instid1(VALU_DEP_3)
	v_cndmask_b32_e32 v2, v3, v2, vcc_lo
	v_and_b32_e32 v3, 0x80000000, v4
	s_delay_alu instid0(VALU_DEP_3) | instskip(NEXT) | instid1(VALU_DEP_3)
	v_lshl_add_u32 v4, v5, 23, 0x3b800000
	v_lshlrev_b32_e32 v2, 20, v2
	s_delay_alu instid0(VALU_DEP_1) | instskip(NEXT) | instid1(VALU_DEP_1)
	v_or3_b32 v2, v3, v4, v2
	v_cvt_f64_f32_e32 v[2:3], v2
.LBB8_172:
	s_or_b32 exec_lo, exec_lo, s16
.LBB8_173:
	s_mov_b32 s11, -1
.LBB8_174:
	s_branch .LBB8_209
.LBB8_175:
	s_cmp_gt_i32 s0, 22
	s_cbranch_scc0 .LBB8_185
; %bb.176:
	s_cmp_lt_i32 s0, 24
	s_cbranch_scc1 .LBB8_188
; %bb.177:
	s_cmp_gt_i32 s0, 24
	s_cbranch_scc0 .LBB8_189
; %bb.178:
	global_load_u8 v4, v[0:1], off
	s_mov_b32 s11, 0
	s_mov_b32 s16, exec_lo
	s_wait_loadcnt 0x0
	v_cmpx_lt_i16_e32 0x7f, v4
	s_xor_b32 s16, exec_lo, s16
	s_cbranch_execz .LBB8_201
; %bb.179:
	s_mov_b32 s11, -1
	s_mov_b32 s17, exec_lo
	v_cmpx_eq_u16_e32 0x80, v4
; %bb.180:
	s_xor_b32 s11, exec_lo, -1
; %bb.181:
	s_or_b32 exec_lo, exec_lo, s17
	s_delay_alu instid0(SALU_CYCLE_1)
	s_and_b32 s11, s11, exec_lo
	s_or_saveexec_b32 s16, s16
	v_mov_b64_e32 v[2:3], 0x7ff8000020000000
	s_xor_b32 exec_lo, exec_lo, s16
	s_cbranch_execnz .LBB8_202
.LBB8_182:
	s_or_b32 exec_lo, exec_lo, s16
	s_and_saveexec_b32 s16, s11
	s_cbranch_execz .LBB8_184
.LBB8_183:
	v_and_b32_e32 v2, 0xffff, v4
	s_delay_alu instid0(VALU_DEP_1) | instskip(SKIP_1) | instid1(VALU_DEP_2)
	v_and_b32_e32 v3, 3, v2
	v_bfe_u32 v7, v2, 2, 5
	v_clz_i32_u32_e32 v5, v3
	s_delay_alu instid0(VALU_DEP_2) | instskip(NEXT) | instid1(VALU_DEP_2)
	v_cmp_eq_u32_e32 vcc_lo, 0, v7
	v_min_u32_e32 v5, 32, v5
	s_delay_alu instid0(VALU_DEP_1) | instskip(NEXT) | instid1(VALU_DEP_1)
	v_subrev_nc_u32_e32 v6, 29, v5
	v_dual_lshlrev_b32 v2, v6, v2 :: v_dual_sub_nc_u32 v5, 30, v5
	s_delay_alu instid0(VALU_DEP_1) | instskip(NEXT) | instid1(VALU_DEP_2)
	v_dual_lshlrev_b32 v4, 24, v4 :: v_dual_bitop2_b32 v2, 3, v2 bitop3:0x40
	v_cndmask_b32_e32 v5, v7, v5, vcc_lo
	s_delay_alu instid0(VALU_DEP_2) | instskip(NEXT) | instid1(VALU_DEP_3)
	v_cndmask_b32_e32 v2, v3, v2, vcc_lo
	v_and_b32_e32 v3, 0x80000000, v4
	s_delay_alu instid0(VALU_DEP_3) | instskip(NEXT) | instid1(VALU_DEP_3)
	v_lshl_add_u32 v4, v5, 23, 0x37800000
	v_lshlrev_b32_e32 v2, 21, v2
	s_delay_alu instid0(VALU_DEP_1) | instskip(NEXT) | instid1(VALU_DEP_1)
	v_or3_b32 v2, v3, v4, v2
	v_cvt_f64_f32_e32 v[2:3], v2
.LBB8_184:
	s_or_b32 exec_lo, exec_lo, s16
	s_mov_b32 s11, 0
	s_branch .LBB8_190
.LBB8_185:
	s_mov_b32 s16, -1
                                        ; implicit-def: $vgpr2_vgpr3
	s_branch .LBB8_196
.LBB8_186:
	s_or_saveexec_b32 s16, s16
	v_mov_b64_e32 v[2:3], 0x7ff8000020000000
	s_xor_b32 exec_lo, exec_lo, s16
	s_cbranch_execz .LBB8_170
.LBB8_187:
	v_cmp_ne_u16_e32 vcc_lo, 0, v4
	v_mov_b64_e32 v[2:3], 0
	s_and_not1_b32 s11, s11, exec_lo
	s_and_b32 s17, vcc_lo, exec_lo
	s_delay_alu instid0(SALU_CYCLE_1)
	s_or_b32 s11, s11, s17
	s_or_b32 exec_lo, exec_lo, s16
	s_and_saveexec_b32 s16, s11
	s_cbranch_execnz .LBB8_171
	s_branch .LBB8_172
.LBB8_188:
	s_mov_b32 s11, -1
                                        ; implicit-def: $vgpr2_vgpr3
	s_branch .LBB8_193
.LBB8_189:
	s_mov_b32 s11, -1
                                        ; implicit-def: $vgpr2_vgpr3
.LBB8_190:
	s_delay_alu instid0(SALU_CYCLE_1)
	s_and_b32 vcc_lo, exec_lo, s11
	s_cbranch_vccz .LBB8_192
; %bb.191:
	global_load_u8 v2, v[0:1], off
	s_wait_loadcnt 0x0
	v_lshlrev_b32_e32 v2, 24, v2
	s_delay_alu instid0(VALU_DEP_1) | instskip(NEXT) | instid1(VALU_DEP_1)
	v_and_b32_e32 v3, 0x7f000000, v2
	v_clz_i32_u32_e32 v4, v3
	v_cmp_ne_u32_e32 vcc_lo, 0, v3
	v_add_nc_u32_e32 v6, 0x1000000, v3
	s_delay_alu instid0(VALU_DEP_3) | instskip(NEXT) | instid1(VALU_DEP_1)
	v_min_u32_e32 v4, 32, v4
	v_sub_nc_u32_e64 v4, v4, 4 clamp
	s_delay_alu instid0(VALU_DEP_1) | instskip(NEXT) | instid1(VALU_DEP_1)
	v_dual_lshlrev_b32 v5, v4, v3 :: v_dual_lshlrev_b32 v4, 23, v4
	v_lshrrev_b32_e32 v5, 4, v5
	s_delay_alu instid0(VALU_DEP_1) | instskip(NEXT) | instid1(VALU_DEP_1)
	v_dual_sub_nc_u32 v4, v5, v4 :: v_dual_ashrrev_i32 v5, 8, v6
	v_add_nc_u32_e32 v4, 0x3c000000, v4
	s_delay_alu instid0(VALU_DEP_1) | instskip(NEXT) | instid1(VALU_DEP_1)
	v_and_or_b32 v4, 0x7f800000, v5, v4
	v_cndmask_b32_e32 v3, 0, v4, vcc_lo
	s_delay_alu instid0(VALU_DEP_1) | instskip(NEXT) | instid1(VALU_DEP_1)
	v_and_or_b32 v2, 0x80000000, v2, v3
	v_cvt_f64_f32_e32 v[2:3], v2
.LBB8_192:
	s_mov_b32 s11, 0
.LBB8_193:
	s_delay_alu instid0(SALU_CYCLE_1)
	s_and_not1_b32 vcc_lo, exec_lo, s11
	s_cbranch_vccnz .LBB8_195
; %bb.194:
	global_load_u8 v2, v[0:1], off
	s_wait_loadcnt 0x0
	v_lshlrev_b32_e32 v3, 25, v2
	v_lshlrev_b16 v2, 8, v2
	s_delay_alu instid0(VALU_DEP_1) | instskip(SKIP_1) | instid1(VALU_DEP_2)
	v_and_or_b32 v5, 0x7f00, v2, 0.5
	v_bfe_i32 v2, v2, 0, 16
	v_dual_add_f32 v5, -0.5, v5 :: v_dual_lshrrev_b32 v4, 4, v3
	v_cmp_gt_u32_e32 vcc_lo, 0x8000000, v3
	s_delay_alu instid0(VALU_DEP_2) | instskip(NEXT) | instid1(VALU_DEP_1)
	v_or_b32_e32 v4, 0x70000000, v4
	v_mul_f32_e32 v4, 0x7800000, v4
	s_delay_alu instid0(VALU_DEP_1) | instskip(NEXT) | instid1(VALU_DEP_1)
	v_cndmask_b32_e32 v3, v4, v5, vcc_lo
	v_and_or_b32 v2, 0x80000000, v2, v3
	s_delay_alu instid0(VALU_DEP_1)
	v_cvt_f64_f32_e32 v[2:3], v2
.LBB8_195:
	s_mov_b32 s16, 0
	s_mov_b32 s11, -1
.LBB8_196:
	s_and_not1_b32 vcc_lo, exec_lo, s16
	s_cbranch_vccnz .LBB8_209
; %bb.197:
	s_cmp_gt_i32 s0, 14
	s_cbranch_scc0 .LBB8_200
; %bb.198:
	s_cmp_eq_u32 s0, 15
	s_cbranch_scc0 .LBB8_203
; %bb.199:
	global_load_u16 v2, v[0:1], off
	s_mov_b32 s11, -1
	s_mov_b32 s13, 0
	s_wait_loadcnt 0x0
	v_lshlrev_b32_e32 v2, 16, v2
	s_delay_alu instid0(VALU_DEP_1)
	v_cvt_f64_f32_e32 v[2:3], v2
	s_branch .LBB8_204
.LBB8_200:
	s_mov_b32 s16, -1
                                        ; implicit-def: $vgpr2_vgpr3
	s_branch .LBB8_205
.LBB8_201:
	s_or_saveexec_b32 s16, s16
	v_mov_b64_e32 v[2:3], 0x7ff8000020000000
	s_xor_b32 exec_lo, exec_lo, s16
	s_cbranch_execz .LBB8_182
.LBB8_202:
	v_cmp_ne_u16_e32 vcc_lo, 0, v4
	v_mov_b64_e32 v[2:3], 0
	s_and_not1_b32 s11, s11, exec_lo
	s_and_b32 s17, vcc_lo, exec_lo
	s_delay_alu instid0(SALU_CYCLE_1)
	s_or_b32 s11, s11, s17
	s_or_b32 exec_lo, exec_lo, s16
	s_and_saveexec_b32 s16, s11
	s_cbranch_execnz .LBB8_183
	s_branch .LBB8_184
.LBB8_203:
	s_mov_b32 s13, -1
                                        ; implicit-def: $vgpr2_vgpr3
.LBB8_204:
	s_mov_b32 s16, 0
.LBB8_205:
	s_delay_alu instid0(SALU_CYCLE_1)
	s_and_b32 vcc_lo, exec_lo, s16
	s_cbranch_vccz .LBB8_209
; %bb.206:
	s_cmp_eq_u32 s0, 11
	s_cbranch_scc0 .LBB8_208
; %bb.207:
	global_load_u8 v2, v[0:1], off
	s_mov_b32 s13, 0
	s_mov_b32 s11, -1
	s_wait_loadcnt 0x0
	v_cmp_ne_u16_e32 vcc_lo, 0, v2
	v_mov_b32_e32 v2, 0
	v_cndmask_b32_e64 v3, 0, 0x3ff00000, vcc_lo
	s_branch .LBB8_209
.LBB8_208:
	s_mov_b32 s13, -1
                                        ; implicit-def: $vgpr2_vgpr3
.LBB8_209:
	s_branch .LBB8_10
.LBB8_210:
	s_cmp_lt_i32 s0, 5
	s_cbranch_scc1 .LBB8_215
; %bb.211:
	s_cmp_lt_i32 s0, 8
	s_cbranch_scc1 .LBB8_216
; %bb.212:
	;; [unrolled: 3-line block ×3, first 2 shown]
	s_cmp_gt_i32 s0, 9
	s_cbranch_scc0 .LBB8_218
; %bb.214:
	global_load_b64 v[2:3], v[0:1], off
	s_mov_b32 s11, 0
	s_branch .LBB8_219
.LBB8_215:
                                        ; implicit-def: $vgpr2_vgpr3
	s_branch .LBB8_237
.LBB8_216:
	s_mov_b32 s11, -1
                                        ; implicit-def: $vgpr2_vgpr3
	s_branch .LBB8_225
.LBB8_217:
	s_mov_b32 s11, -1
                                        ; implicit-def: $vgpr2_vgpr3
	s_branch .LBB8_222
.LBB8_218:
	s_mov_b32 s11, -1
                                        ; implicit-def: $vgpr2_vgpr3
.LBB8_219:
	s_delay_alu instid0(SALU_CYCLE_1)
	s_and_not1_b32 vcc_lo, exec_lo, s11
	s_cbranch_vccnz .LBB8_221
; %bb.220:
	s_wait_loadcnt 0x0
	global_load_b32 v2, v[0:1], off
	s_wait_loadcnt 0x0
	v_cvt_f64_f32_e32 v[2:3], v2
.LBB8_221:
	s_mov_b32 s11, 0
.LBB8_222:
	s_delay_alu instid0(SALU_CYCLE_1)
	s_and_not1_b32 vcc_lo, exec_lo, s11
	s_cbranch_vccnz .LBB8_224
; %bb.223:
	s_wait_loadcnt 0x0
	global_load_b32 v2, v[0:1], off
	s_wait_loadcnt 0x0
	v_cvt_f32_f16_e32 v2, v2
	s_delay_alu instid0(VALU_DEP_1)
	v_cvt_f64_f32_e32 v[2:3], v2
.LBB8_224:
	s_mov_b32 s11, 0
.LBB8_225:
	s_delay_alu instid0(SALU_CYCLE_1)
	s_and_not1_b32 vcc_lo, exec_lo, s11
	s_cbranch_vccnz .LBB8_236
; %bb.226:
	s_cmp_lt_i32 s0, 6
	s_cbranch_scc1 .LBB8_229
; %bb.227:
	s_cmp_gt_i32 s0, 6
	s_cbranch_scc0 .LBB8_230
; %bb.228:
	s_wait_loadcnt 0x0
	global_load_b64 v[2:3], v[0:1], off
	s_mov_b32 s11, 0
	s_branch .LBB8_231
.LBB8_229:
	s_mov_b32 s11, -1
                                        ; implicit-def: $vgpr2_vgpr3
	s_branch .LBB8_234
.LBB8_230:
	s_mov_b32 s11, -1
                                        ; implicit-def: $vgpr2_vgpr3
.LBB8_231:
	s_delay_alu instid0(SALU_CYCLE_1)
	s_and_not1_b32 vcc_lo, exec_lo, s11
	s_cbranch_vccnz .LBB8_233
; %bb.232:
	s_wait_loadcnt 0x0
	global_load_b32 v2, v[0:1], off
	s_wait_loadcnt 0x0
	v_cvt_f64_f32_e32 v[2:3], v2
.LBB8_233:
	s_mov_b32 s11, 0
.LBB8_234:
	s_delay_alu instid0(SALU_CYCLE_1)
	s_and_not1_b32 vcc_lo, exec_lo, s11
	s_cbranch_vccnz .LBB8_236
; %bb.235:
	s_wait_loadcnt 0x0
	global_load_u16 v2, v[0:1], off
	s_wait_loadcnt 0x0
	v_cvt_f32_f16_e32 v2, v2
	s_delay_alu instid0(VALU_DEP_1)
	v_cvt_f64_f32_e32 v[2:3], v2
.LBB8_236:
	s_cbranch_execnz .LBB8_256
.LBB8_237:
	s_cmp_lt_i32 s0, 2
	s_cbranch_scc1 .LBB8_241
; %bb.238:
	s_cmp_lt_i32 s0, 3
	s_cbranch_scc1 .LBB8_242
; %bb.239:
	s_cmp_gt_i32 s0, 3
	s_cbranch_scc0 .LBB8_243
; %bb.240:
	s_wait_loadcnt 0x0
	global_load_b64 v[2:3], v[0:1], off
	s_mov_b32 s11, 0
	s_wait_loadcnt 0x0
	v_cvt_f64_i32_e32 v[4:5], v3
	v_cvt_f64_u32_e32 v[2:3], v2
	s_delay_alu instid0(VALU_DEP_2) | instskip(NEXT) | instid1(VALU_DEP_1)
	v_ldexp_f64 v[4:5], v[4:5], 32
	v_add_f64_e32 v[2:3], v[4:5], v[2:3]
	s_branch .LBB8_244
.LBB8_241:
	s_mov_b32 s11, -1
                                        ; implicit-def: $vgpr2_vgpr3
	s_branch .LBB8_250
.LBB8_242:
	s_mov_b32 s11, -1
                                        ; implicit-def: $vgpr2_vgpr3
	s_branch .LBB8_247
.LBB8_243:
	s_mov_b32 s11, -1
                                        ; implicit-def: $vgpr2_vgpr3
.LBB8_244:
	s_delay_alu instid0(SALU_CYCLE_1)
	s_and_not1_b32 vcc_lo, exec_lo, s11
	s_cbranch_vccnz .LBB8_246
; %bb.245:
	s_wait_loadcnt 0x0
	global_load_b32 v2, v[0:1], off
	s_wait_loadcnt 0x0
	v_cvt_f64_i32_e32 v[2:3], v2
.LBB8_246:
	s_mov_b32 s11, 0
.LBB8_247:
	s_delay_alu instid0(SALU_CYCLE_1)
	s_and_not1_b32 vcc_lo, exec_lo, s11
	s_cbranch_vccnz .LBB8_249
; %bb.248:
	s_wait_loadcnt 0x0
	global_load_i16 v2, v[0:1], off
	s_wait_loadcnt 0x0
	v_cvt_f64_i32_e32 v[2:3], v2
.LBB8_249:
	s_mov_b32 s11, 0
.LBB8_250:
	s_delay_alu instid0(SALU_CYCLE_1)
	s_and_not1_b32 vcc_lo, exec_lo, s11
	s_cbranch_vccnz .LBB8_256
; %bb.251:
	s_cmp_gt_i32 s0, 0
	s_mov_b32 s0, 0
	s_cbranch_scc0 .LBB8_253
; %bb.252:
	s_wait_loadcnt 0x0
	global_load_i8 v2, v[0:1], off
	s_wait_loadcnt 0x0
	v_cvt_f64_i32_e32 v[2:3], v2
	s_branch .LBB8_254
.LBB8_253:
	s_mov_b32 s0, -1
                                        ; implicit-def: $vgpr2_vgpr3
.LBB8_254:
	s_delay_alu instid0(SALU_CYCLE_1)
	s_and_not1_b32 vcc_lo, exec_lo, s0
	s_cbranch_vccnz .LBB8_256
; %bb.255:
	global_load_u8 v0, v[0:1], off
	s_wait_loadcnt 0x0
	v_cvt_f64_u32_e32 v[2:3], v0
.LBB8_256:
	s_branch .LBB8_11
.LBB8_257:
	s_mov_b32 s0, 0
.LBB8_258:
	s_mov_b32 s16, 0
                                        ; implicit-def: $vgpr10
.LBB8_259:
	s_and_b32 s11, s0, exec_lo
	s_and_b32 s13, s13, exec_lo
	s_or_not1_b32 s17, s16, exec_lo
.LBB8_260:
	s_wait_xcnt 0x0
	s_or_b32 exec_lo, exec_lo, s14
	s_mov_b32 s16, 0
	s_mov_b32 s0, 0
                                        ; implicit-def: $vgpr0_vgpr1
                                        ; implicit-def: $vgpr2_vgpr3
	s_and_saveexec_b32 s14, s17
	s_cbranch_execz .LBB8_269
; %bb.261:
	s_mov_b32 s0, -1
	s_mov_b32 s15, s13
	s_mov_b32 s16, s11
	s_mov_b32 s17, exec_lo
	v_cmpx_gt_i32_e64 s12, v10
	s_cbranch_execz .LBB8_531
; %bb.262:
	v_mul_lo_u32 v0, v10, s3
	s_and_b32 s0, 0xffff, s9
	s_delay_alu instid0(SALU_CYCLE_1) | instskip(NEXT) | instid1(VALU_DEP_1)
	s_cmp_lt_i32 s0, 11
	v_ashrrev_i32_e32 v1, 31, v0
	s_delay_alu instid0(VALU_DEP_1)
	v_add_nc_u64_e32 v[0:1], s[6:7], v[0:1]
	s_cbranch_scc1 .LBB8_272
; %bb.263:
	s_cmp_gt_i32 s0, 25
	s_cbranch_scc0 .LBB8_289
; %bb.264:
	s_cmp_gt_i32 s0, 28
	s_cbranch_scc0 .LBB8_291
	;; [unrolled: 3-line block ×4, first 2 shown]
; %bb.267:
	s_cmp_eq_u32 s0, 46
	s_mov_b32 s18, 0
	s_cbranch_scc0 .LBB8_301
; %bb.268:
	s_wait_loadcnt 0x0
	global_load_b32 v2, v[0:1], off
	s_mov_b32 s16, -1
	s_mov_b32 s15, 0
	s_wait_loadcnt 0x0
	v_lshlrev_b32_e32 v2, 16, v2
	s_delay_alu instid0(VALU_DEP_1)
	v_cvt_f64_f32_e32 v[2:3], v2
	s_branch .LBB8_303
.LBB8_269:
	s_or_b32 exec_lo, exec_lo, s14
	s_mov_b32 s12, 0
	s_and_saveexec_b32 s14, s13
	s_cbranch_execnz .LBB8_887
.LBB8_270:
	s_or_b32 exec_lo, exec_lo, s14
	s_and_saveexec_b32 s13, s15
	s_delay_alu instid0(SALU_CYCLE_1)
	s_xor_b32 s13, exec_lo, s13
	s_cbranch_execz .LBB8_888
.LBB8_271:
	s_wait_loadcnt 0x0
	global_load_u8 v2, v[0:1], off
	s_or_b32 s0, s0, exec_lo
	s_wait_loadcnt 0x0
	v_cmp_ne_u16_e32 vcc_lo, 0, v2
	v_mov_b32_e32 v2, 0
	v_cndmask_b32_e64 v3, 0, 0x3ff00000, vcc_lo
	s_wait_xcnt 0x0
	s_or_b32 exec_lo, exec_lo, s13
	s_and_saveexec_b32 s13, s16
	s_cbranch_execz .LBB8_934
	s_branch .LBB8_889
.LBB8_272:
	s_mov_b32 s16, 0
	s_mov_b32 s15, s13
                                        ; implicit-def: $vgpr2_vgpr3
	s_cbranch_execnz .LBB8_480
.LBB8_273:
	s_and_not1_b32 vcc_lo, exec_lo, s16
	s_cbranch_vccnz .LBB8_528
.LBB8_274:
	s_wait_xcnt 0x0
	v_mov_b64_e32 v[0:1], 0x7ff0000000000000
	s_mov_b32 s16, exec_lo
	s_wait_loadcnt 0x0
	s_delay_alu instid0(VALU_DEP_2)
	v_cmpx_neq_f64_e32 0, v[2:3]
	s_cbranch_execz .LBB8_282
; %bb.275:
	v_mov_b64_e32 v[0:1], 0x7ff8000000000000
	s_mov_b32 s18, exec_lo
	v_cmpx_ngt_f64_e32 0, v[2:3]
	s_cbranch_execz .LBB8_281
; %bb.276:
                                        ; implicit-def: $vgpr0_vgpr1
	s_mov_b32 s0, exec_lo
	v_cmpx_ge_f64_e32 2.0, v[2:3]
	s_xor_b32 s19, exec_lo, s0
	s_cbranch_execz .LBB8_278
; %bb.277:
	v_fma_f64 v[0:1], v[2:3], 0.5, -2.0
	s_mov_b64 s[20:21], 0xbc545cb72134d0ef
	v_mul_f64_e32 v[8:9], 0.5, v[2:3]
	s_delay_alu instid0(VALU_DEP_2) | instskip(SKIP_1) | instid1(VALU_DEP_2)
	v_fmaak_f64 v[4:5], s[20:21], v[0:1], 0x3c833362977da589
	s_mov_b64 s[20:21], 0x3fe5555555555555
	v_frexp_mant_f64_e32 v[12:13], v[8:9]
	v_cmp_neq_f64_e64 s0, 0, v[8:9]
	s_delay_alu instid0(VALU_DEP_3) | instskip(NEXT) | instid1(VALU_DEP_1)
	v_fmaak_f64 v[6:7], v[0:1], v[4:5], 0x3c545cb72134d0ef
	v_add_f64_e32 v[6:7], 0xbcb184eb721ebbb4, v[6:7]
	s_delay_alu instid0(VALU_DEP_4) | instskip(SKIP_1) | instid1(VALU_DEP_2)
	v_cmp_gt_f64_e32 vcc_lo, s[20:21], v[12:13]
	s_mov_b64 s[20:21], 0x3fc3ab76bf559e2b
	v_fma_f64 v[4:5], v[0:1], v[6:7], -v[4:5]
	v_cndmask_b32_e64 v11, 0, 1, vcc_lo
	s_delay_alu instid0(VALU_DEP_1) | instskip(SKIP_1) | instid1(VALU_DEP_4)
	v_ldexp_f64 v[12:13], v[12:13], v11
	v_frexp_exp_i32_f64_e32 v11, v[8:9]
	v_add_f64_e32 v[4:5], 0x3cdee6d893f65eba, v[4:5]
	s_delay_alu instid0(VALU_DEP_3) | instskip(SKIP_1) | instid1(VALU_DEP_4)
	v_add_f64_e32 v[14:15], 1.0, v[12:13]
	v_add_f64_e32 v[20:21], -1.0, v[12:13]
	v_subrev_co_ci_u32_e64 v11, null, 0, v11, vcc_lo
	v_cmp_neq_f64_e32 vcc_lo, 0x7ff00000, v[8:9]
	v_fma_f64 v[6:7], v[0:1], v[4:5], -v[6:7]
	v_rcp_f64_e32 v[16:17], v[14:15]
	v_add_f64_e32 v[22:23], -1.0, v[14:15]
	s_delay_alu instid0(VALU_DEP_2) | instskip(NEXT) | instid1(VALU_DEP_2)
	v_add_f64_e32 v[6:7], 0xbd0a5022c297fbeb, v[6:7]
	v_add_f64_e64 v[12:13], v[12:13], -v[22:23]
	s_delay_alu instid0(TRANS32_DEP_1) | instskip(NEXT) | instid1(VALU_DEP_3)
	v_fma_f64 v[18:19], -v[14:15], v[16:17], 1.0
	v_fma_f64 v[4:5], v[0:1], v[6:7], -v[4:5]
	s_delay_alu instid0(VALU_DEP_2) | instskip(NEXT) | instid1(VALU_DEP_2)
	v_fmac_f64_e32 v[16:17], v[18:19], v[16:17]
	v_add_f64_e32 v[4:5], 0x3d359b464b262627, v[4:5]
	s_delay_alu instid0(VALU_DEP_2) | instskip(NEXT) | instid1(VALU_DEP_2)
	v_fma_f64 v[18:19], -v[14:15], v[16:17], 1.0
	v_fma_f64 v[6:7], v[0:1], v[4:5], -v[6:7]
	s_delay_alu instid0(VALU_DEP_2) | instskip(NEXT) | instid1(VALU_DEP_2)
	v_fmac_f64_e32 v[16:17], v[18:19], v[16:17]
	v_add_f64_e32 v[6:7], 0xbd61164c62ee1af0, v[6:7]
	s_delay_alu instid0(VALU_DEP_2) | instskip(NEXT) | instid1(VALU_DEP_2)
	v_mul_f64_e32 v[18:19], v[20:21], v[16:17]
	v_fma_f64 v[4:5], v[0:1], v[6:7], -v[4:5]
	s_delay_alu instid0(VALU_DEP_2) | instskip(NEXT) | instid1(VALU_DEP_2)
	v_mul_f64_e32 v[24:25], v[14:15], v[18:19]
	v_add_f64_e32 v[4:5], 0x3d89fe2fe19bd324, v[4:5]
	s_delay_alu instid0(VALU_DEP_2) | instskip(NEXT) | instid1(VALU_DEP_2)
	v_fma_f64 v[14:15], v[18:19], v[14:15], -v[24:25]
	v_fma_f64 v[6:7], v[0:1], v[4:5], -v[6:7]
	s_delay_alu instid0(VALU_DEP_2) | instskip(NEXT) | instid1(VALU_DEP_2)
	v_fmac_f64_e32 v[14:15], v[18:19], v[12:13]
	v_add_f64_e32 v[6:7], 0xbdb2fc957a946abc, v[6:7]
	s_delay_alu instid0(VALU_DEP_2) | instskip(NEXT) | instid1(VALU_DEP_2)
	v_add_f64_e32 v[12:13], v[24:25], v[14:15]
	v_fma_f64 v[4:5], v[0:1], v[6:7], -v[4:5]
	s_delay_alu instid0(VALU_DEP_2) | instskip(NEXT) | instid1(VALU_DEP_2)
	v_add_f64_e64 v[22:23], v[20:21], -v[12:13]
	v_add_f64_e32 v[4:5], 0x3dda98becc743c10, v[4:5]
	v_add_f64_e64 v[24:25], v[12:13], -v[24:25]
	s_delay_alu instid0(VALU_DEP_3) | instskip(NEXT) | instid1(VALU_DEP_3)
	v_add_f64_e64 v[20:21], v[20:21], -v[22:23]
	v_fma_f64 v[6:7], v[0:1], v[4:5], -v[6:7]
	s_delay_alu instid0(VALU_DEP_3) | instskip(SKIP_1) | instid1(VALU_DEP_4)
	v_add_f64_e64 v[14:15], v[24:25], -v[14:15]
	v_cvt_f64_i32_e32 v[24:25], v11
	v_add_f64_e64 v[12:13], v[20:21], -v[12:13]
	s_delay_alu instid0(VALU_DEP_4) | instskip(NEXT) | instid1(VALU_DEP_3)
	v_add_f64_e32 v[6:7], 0xbe01d4fe13ae9556, v[6:7]
	v_mul_f64_e32 v[26:27], 0x3fe62e42fefa39ef, v[24:25]
	s_delay_alu instid0(VALU_DEP_3) | instskip(NEXT) | instid1(VALU_DEP_3)
	v_add_f64_e32 v[12:13], v[14:15], v[12:13]
	v_fma_f64 v[4:5], v[0:1], v[6:7], -v[4:5]
	s_delay_alu instid0(VALU_DEP_2) | instskip(NEXT) | instid1(VALU_DEP_2)
	v_add_f64_e32 v[12:13], v[22:23], v[12:13]
	v_add_f64_e32 v[4:5], 0x3e26d903a454cb34, v[4:5]
	s_delay_alu instid0(VALU_DEP_2) | instskip(NEXT) | instid1(VALU_DEP_2)
	v_mul_f64_e32 v[12:13], v[16:17], v[12:13]
	v_fma_f64 v[6:7], v[0:1], v[4:5], -v[6:7]
	s_delay_alu instid0(VALU_DEP_2) | instskip(NEXT) | instid1(VALU_DEP_2)
	v_add_f64_e32 v[14:15], v[18:19], v[12:13]
	v_add_f64_e32 v[6:7], 0xbe4beaf68c0b30ab, v[6:7]
	s_delay_alu instid0(VALU_DEP_2) | instskip(NEXT) | instid1(VALU_DEP_2)
	v_mul_f64_e32 v[16:17], v[14:15], v[14:15]
	v_fma_f64 v[4:5], v[0:1], v[6:7], -v[4:5]
	s_delay_alu instid0(VALU_DEP_2) | instskip(NEXT) | instid1(VALU_DEP_2)
	v_fmaak_f64 v[20:21], s[20:21], v[16:17], 0x3fc385386b47b09a
	v_add_f64_e32 v[4:5], 0x3e703b769d4d6435, v[4:5]
	v_mul_f64_e32 v[22:23], v[14:15], v[16:17]
	s_mov_b64 s[20:21], 0x3ca3cee1e6a7fd77
	s_delay_alu instid0(VALU_DEP_3) | instskip(NEXT) | instid1(VALU_DEP_1)
	v_fmaak_f64 v[20:21], v[16:17], v[20:21], 0x3fc7474dd7f4df2e
	v_fmaak_f64 v[20:21], v[16:17], v[20:21], 0x3fcc71c016291751
	s_delay_alu instid0(VALU_DEP_1) | instskip(NEXT) | instid1(VALU_DEP_1)
	v_fmaak_f64 v[20:21], v[16:17], v[20:21], 0x3fd249249b27acf1
	v_fmaak_f64 v[20:21], v[16:17], v[20:21], 0x3fd99999998ef7b6
	v_fma_f64 v[6:7], v[0:1], v[4:5], -v[6:7]
	s_delay_alu instid0(VALU_DEP_2) | instskip(SKIP_2) | instid1(VALU_DEP_3)
	v_fmaak_f64 v[16:17], v[16:17], v[20:21], 0x3fe5555555555780
	v_ldexp_f64 v[20:21], v[14:15], 1
	v_add_f64_e64 v[14:15], v[14:15], -v[18:19]
	v_mul_f64_e32 v[16:17], v[22:23], v[16:17]
	v_fma_f64 v[22:23], v[2:3], v[2:3], -2.0
	v_add_f64_e32 v[6:7], 0xbe91ec638f227f8d, v[6:7]
	s_delay_alu instid0(VALU_DEP_4) | instskip(NEXT) | instid1(VALU_DEP_4)
	v_add_f64_e64 v[12:13], v[12:13], -v[14:15]
	v_add_f64_e32 v[18:19], v[20:21], v[16:17]
	s_delay_alu instid0(VALU_DEP_3) | instskip(NEXT) | instid1(VALU_DEP_3)
	v_fma_f64 v[4:5], v[0:1], v[6:7], -v[4:5]
	v_ldexp_f64 v[12:13], v[12:13], 1
	s_delay_alu instid0(VALU_DEP_3) | instskip(SKIP_2) | instid1(VALU_DEP_1)
	v_add_f64_e64 v[14:15], v[18:19], -v[20:21]
	v_fmaak_f64 v[20:21], s[20:21], v[22:23], 0x3d27fb0ac384c2aa
	s_mov_b64 s[20:21], 0x3fe62e42fefa39ef
	v_fmaak_f64 v[28:29], v[22:23], v[20:21], 0xbca3cee1e6a7fd77
	v_add_f64_e32 v[4:5], 0x3eb2bf24978cf4ac, v[4:5]
	s_delay_alu instid0(VALU_DEP_4) | instskip(NEXT) | instid1(VALU_DEP_3)
	v_add_f64_e64 v[14:15], v[16:17], -v[14:15]
	v_add_f64_e32 v[16:17], 0x3da6c25c47512144, v[28:29]
	v_fma_f64 v[28:29], v[24:25], s[20:21], -v[26:27]
	s_mov_b64 s[20:21], 0x3e5ade156a5dcb37
	s_delay_alu instid0(VALU_DEP_4) | instskip(NEXT) | instid1(VALU_DEP_4)
	v_fma_f64 v[6:7], v[0:1], v[4:5], -v[6:7]
	v_add_f64_e32 v[12:13], v[12:13], v[14:15]
	s_delay_alu instid0(VALU_DEP_4) | instskip(NEXT) | instid1(VALU_DEP_4)
	v_fma_f64 v[14:15], v[22:23], v[16:17], -v[20:21]
	v_fmamk_f64 v[20:21], v[24:25], 0x3c7abc9e3b39803f, v[28:29]
	s_delay_alu instid0(VALU_DEP_1) | instskip(SKIP_3) | instid1(VALU_DEP_4)
	v_add_f64_e32 v[28:29], v[26:27], v[20:21]
	v_add_f64_e32 v[6:7], 0xbed2866fcba56427, v[6:7]
	;; [unrolled: 1-line block ×4, first 2 shown]
	v_add_f64_e64 v[26:27], v[28:29], -v[26:27]
	s_delay_alu instid0(VALU_DEP_4) | instskip(NEXT) | instid1(VALU_DEP_4)
	v_fma_f64 v[4:5], v[0:1], v[6:7], -v[4:5]
	v_add_f64_e32 v[30:31], v[28:29], v[24:25]
	s_delay_alu instid0(VALU_DEP_4) | instskip(SKIP_1) | instid1(VALU_DEP_4)
	v_fma_f64 v[16:17], v[22:23], v[14:15], -v[16:17]
	v_add_f64_e64 v[18:19], v[24:25], -v[18:19]
	v_add_f64_e32 v[4:5], 0x3ef13f58be9a2859, v[4:5]
	s_delay_alu instid0(VALU_DEP_4) | instskip(NEXT) | instid1(VALU_DEP_4)
	v_add_f64_e64 v[32:33], v[30:31], -v[28:29]
	v_add_f64_e32 v[16:17], 0x3e9102bce7f95efc, v[16:17]
	s_delay_alu instid0(VALU_DEP_4)
	v_add_f64_e64 v[12:13], v[12:13], -v[18:19]
	v_add_f64_e64 v[18:19], v[20:21], -v[26:27]
	v_mul_f64_e32 v[26:27], 0x3ff71547652b82fe, v[2:3]
	v_fma_f64 v[6:7], v[0:1], v[4:5], -v[6:7]
	v_add_f64_e64 v[34:35], v[30:31], -v[32:33]
	v_fma_f64 v[14:15], v[22:23], v[16:17], -v[14:15]
	v_add_f64_e64 v[24:25], v[24:25], -v[32:33]
	s_delay_alu instid0(VALU_DEP_4) | instskip(NEXT) | instid1(VALU_DEP_4)
	v_add_f64_e32 v[6:7], 0xbf0e2b2659c41d5a, v[6:7]
	v_add_f64_e64 v[20:21], v[28:29], -v[34:35]
	s_delay_alu instid0(VALU_DEP_4) | instskip(SKIP_1) | instid1(VALU_DEP_4)
	v_add_f64_e32 v[14:15], 0x3ef7f900fe8cfca0, v[14:15]
	v_add_f64_e32 v[28:29], v[18:19], v[12:13]
	v_fma_f64 v[4:5], v[0:1], v[6:7], -v[4:5]
	s_delay_alu instid0(VALU_DEP_4) | instskip(NEXT) | instid1(VALU_DEP_4)
	v_add_f64_e32 v[20:21], v[24:25], v[20:21]
	v_fma_f64 v[16:17], v[22:23], v[14:15], -v[16:17]
	v_rndne_f64_e32 v[24:25], v[26:27]
	v_add_f64_e64 v[26:27], v[28:29], -v[18:19]
	v_add_f64_e32 v[4:5], 0x3f28b51b74107cab, v[4:5]
	v_add_f64_e32 v[20:21], v[28:29], v[20:21]
	;; [unrolled: 1-line block ×3, first 2 shown]
	v_fmamk_f64 v[2:3], v[24:25], 0xbfe62e42fefa39ef, v[2:3]
	v_add_f64_e64 v[28:29], v[28:29], -v[26:27]
	v_add_f64_e64 v[12:13], v[12:13], -v[26:27]
	v_cvt_i32_f64_e32 v11, v[24:25]
	s_delay_alu instid0(VALU_DEP_4) | instskip(NEXT) | instid1(VALU_DEP_1)
	v_fmamk_f64 v[2:3], v[24:25], 0xbc7abc9e3b39803f, v[2:3]
	v_fmaak_f64 v[34:35], s[20:21], v[2:3], 0x3e928af3fca7ab0c
	s_delay_alu instid0(VALU_DEP_1) | instskip(SKIP_1) | instid1(VALU_DEP_2)
	v_fmaak_f64 v[34:35], v[2:3], v[34:35], 0x3ec71dee623fde64
	v_fma_f64 v[6:7], v[0:1], v[4:5], -v[6:7]
	v_fmaak_f64 v[34:35], v[2:3], v[34:35], 0x3efa01997c89e6b0
	v_add_f64_e32 v[32:33], v[30:31], v[20:21]
	v_fma_f64 v[14:15], v[22:23], v[16:17], -v[14:15]
	v_add_f64_e64 v[18:19], v[18:19], -v[28:29]
	s_delay_alu instid0(VALU_DEP_4) | instskip(NEXT) | instid1(VALU_DEP_1)
	v_fmaak_f64 v[34:35], v[2:3], v[34:35], 0x3f2a01a014761f6e
	v_fmaak_f64 v[28:29], v[2:3], v[34:35], 0x3f56c16c1852b7b0
	v_add_f64_e32 v[6:7], 0xbf42e2fd1f15eb52, v[6:7]
	v_add_f64_e64 v[26:27], v[32:33], -v[30:31]
	v_add_f64_e32 v[14:15], 0x3fa26bf6554a9085, v[14:15]
	v_add_f64_e32 v[12:13], v[12:13], v[18:19]
	s_delay_alu instid0(VALU_DEP_4) | instskip(NEXT) | instid1(VALU_DEP_4)
	v_fma_f64 v[4:5], v[0:1], v[6:7], -v[4:5]
	v_add_f64_e64 v[18:19], v[20:21], -v[26:27]
	s_delay_alu instid0(VALU_DEP_4) | instskip(NEXT) | instid1(VALU_DEP_3)
	v_fma_f64 v[16:17], v[22:23], v[14:15], -v[16:17]
	v_add_f64_e32 v[4:5], 0x3f5adc758a12100e, v[4:5]
	s_delay_alu instid0(VALU_DEP_3) | instskip(NEXT) | instid1(VALU_DEP_3)
	v_add_f64_e32 v[12:13], v[12:13], v[18:19]
	v_add_f64_e32 v[16:17], 0x3fd608d881213db9, v[16:17]
	s_delay_alu instid0(VALU_DEP_3) | instskip(NEXT) | instid1(VALU_DEP_1)
	v_fma_f64 v[6:7], v[0:1], v[4:5], -v[6:7]
	v_add_f64_e32 v[6:7], 0xbf71b65e201aa849, v[6:7]
	s_delay_alu instid0(VALU_DEP_1) | instskip(NEXT) | instid1(VALU_DEP_1)
	v_fma_f64 v[4:5], v[0:1], v[6:7], -v[4:5]
	v_add_f64_e32 v[4:5], 0x3f859961f3dde3dd, v[4:5]
	s_delay_alu instid0(VALU_DEP_1) | instskip(NEXT) | instid1(VALU_DEP_1)
	;; [unrolled: 3-line block ×6, first 2 shown]
	v_fma_f64 v[6:7], v[0:1], v[4:5], -v[6:7]
	v_add_f64_e32 v[6:7], 0xbfd37febc057cd8d, v[6:7]
	s_delay_alu instid0(VALU_DEP_1) | instskip(SKIP_1) | instid1(VALU_DEP_1)
	v_fma_f64 v[0:1], v[0:1], v[6:7], -v[4:5]
	v_fmaak_f64 v[6:7], v[2:3], v[28:29], 0x3f81111111122322
	v_fmaak_f64 v[6:7], v[2:3], v[6:7], 0x3fa55555555502a1
	s_delay_alu instid0(VALU_DEP_1) | instskip(NEXT) | instid1(VALU_DEP_1)
	v_fmaak_f64 v[6:7], v[2:3], v[6:7], 0x3fc5555555555511
	v_fmaak_f64 v[6:7], v[2:3], v[6:7], 0x3fe000000000000b
	s_delay_alu instid0(VALU_DEP_1) | instskip(SKIP_1) | instid1(VALU_DEP_2)
	v_fma_f64 v[6:7], v[2:3], v[6:7], 1.0
	v_add_f64_e32 v[0:1], 0x3fe5a84e9035a22a, v[0:1]
	v_fma_f64 v[2:3], v[2:3], v[6:7], 1.0
	v_fma_f64 v[6:7], v[22:23], v[16:17], -v[14:15]
	s_delay_alu instid0(VALU_DEP_3) | instskip(SKIP_1) | instid1(VALU_DEP_4)
	v_add_f64_e64 v[0:1], v[0:1], -v[4:5]
	v_add_f64_e32 v[4:5], v[32:33], v[12:13]
	v_ldexp_f64 v[2:3], v[2:3], v11
	s_delay_alu instid0(VALU_DEP_4) | instskip(NEXT) | instid1(VALU_DEP_4)
	v_add_f64_e32 v[6:7], 0xbfe12166e9d2f61f, v[6:7]
	v_mul_f64_e32 v[0:1], 0.5, v[0:1]
	s_delay_alu instid0(VALU_DEP_4) | instskip(SKIP_2) | instid1(VALU_DEP_2)
	v_cndmask_b32_e32 v5, 0x7ff00000, v5, vcc_lo
	s_and_b32 vcc_lo, s0, vcc_lo
	v_cndmask_b32_e32 v4, 0, v4, vcc_lo
	v_cndmask_b32_e64 v5, 0xfff00000, v5, s0
	v_add_f64_e64 v[6:7], v[6:7], -v[14:15]
	v_mul_f64_e32 v[0:1], v[2:3], v[0:1]
	s_delay_alu instid0(VALU_DEP_1) | instskip(NEXT) | instid1(VALU_DEP_1)
	v_mul_f64_e32 v[0:1], v[4:5], v[0:1]
	v_fma_f64 v[0:1], v[6:7], 0.5, -v[0:1]
	s_delay_alu instid0(VALU_DEP_1)
	v_mul_f64_e32 v[0:1], v[2:3], v[0:1]
                                        ; implicit-def: $vgpr2_vgpr3
.LBB8_278:
	s_and_not1_saveexec_b32 s0, s19
	s_cbranch_execz .LBB8_280
; %bb.279:
	v_div_scale_f64 v[0:1], null, v[2:3], v[2:3], 0x40200000
	v_div_scale_f64 v[8:9], vcc_lo, 0x40200000, v[2:3], 0x40200000
	s_mov_b64 s[20:21], 0x3c5871a5cf8c9ee1
	v_rcp_f64_e32 v[4:5], v[0:1]
	v_nop
	s_delay_alu instid0(TRANS32_DEP_1) | instskip(NEXT) | instid1(VALU_DEP_1)
	v_fma_f64 v[6:7], -v[0:1], v[4:5], 1.0
	v_fmac_f64_e32 v[4:5], v[4:5], v[6:7]
	s_delay_alu instid0(VALU_DEP_1) | instskip(NEXT) | instid1(VALU_DEP_1)
	v_fma_f64 v[6:7], -v[0:1], v[4:5], 1.0
	v_fmac_f64_e32 v[4:5], v[4:5], v[6:7]
	s_delay_alu instid0(VALU_DEP_1) | instskip(NEXT) | instid1(VALU_DEP_1)
	v_mul_f64_e32 v[6:7], v[8:9], v[4:5]
	v_fma_f64 v[0:1], -v[0:1], v[6:7], v[8:9]
	s_delay_alu instid0(VALU_DEP_1) | instskip(SKIP_1) | instid1(VALU_DEP_2)
	v_div_fmas_f64 v[0:1], v[0:1], v[4:5], v[6:7]
	v_cmp_gt_f64_e32 vcc_lo, 0x10000000, v[2:3]
	v_div_fixup_f64 v[0:1], v[0:1], v[2:3], 0x40200000
	v_cndmask_b32_e64 v8, 0, 0x100, vcc_lo
	s_delay_alu instid0(VALU_DEP_1) | instskip(NEXT) | instid1(VALU_DEP_3)
	v_ldexp_f64 v[2:3], v[2:3], v8
	v_add_f64_e32 v[0:1], -2.0, v[0:1]
	s_delay_alu instid0(VALU_DEP_2) | instskip(NEXT) | instid1(VALU_DEP_1)
	v_rsq_f64_e32 v[8:9], v[2:3]
	v_fmaak_f64 v[4:5], s[20:21], v[0:1], 0xbc72fecc93812603
	s_delay_alu instid0(VALU_DEP_1) | instskip(NEXT) | instid1(TRANS32_DEP_1)
	v_fmaak_f64 v[6:7], v[0:1], v[4:5], 0xbc5871a5cf8c9ee1
	v_mul_f64_e32 v[12:13], v[2:3], v[8:9]
	v_mul_f64_e32 v[8:9], 0.5, v[8:9]
	s_delay_alu instid0(VALU_DEP_3) | instskip(NEXT) | instid1(VALU_DEP_2)
	v_add_f64_e32 v[6:7], 0x3c8e092e41a8cdf4, v[6:7]
	v_fma_f64 v[14:15], -v[8:9], v[12:13], 0.5
	s_delay_alu instid0(VALU_DEP_2) | instskip(NEXT) | instid1(VALU_DEP_2)
	v_fma_f64 v[4:5], v[0:1], v[6:7], -v[4:5]
	v_fmac_f64_e32 v[12:13], v[12:13], v[14:15]
	s_delay_alu instid0(VALU_DEP_2) | instskip(SKIP_1) | instid1(VALU_DEP_3)
	v_add_f64_e32 v[4:5], 0xbca82f9474d77641, v[4:5]
	v_fmac_f64_e32 v[8:9], v[8:9], v[14:15]
	v_fma_f64 v[14:15], -v[12:13], v[12:13], v[2:3]
	s_delay_alu instid0(VALU_DEP_3) | instskip(NEXT) | instid1(VALU_DEP_2)
	v_fma_f64 v[6:7], v[0:1], v[4:5], -v[6:7]
	v_fmac_f64_e32 v[12:13], v[14:15], v[8:9]
	s_delay_alu instid0(VALU_DEP_2) | instskip(NEXT) | instid1(VALU_DEP_1)
	v_add_f64_e32 v[6:7], 0x3cc3dbf96b94785b, v[6:7]
	v_fma_f64 v[4:5], v[0:1], v[6:7], -v[4:5]
	s_delay_alu instid0(VALU_DEP_1) | instskip(NEXT) | instid1(VALU_DEP_1)
	v_add_f64_e32 v[4:5], 0xbce0a690ecfadd36, v[4:5]
	v_fma_f64 v[6:7], v[0:1], v[4:5], -v[6:7]
	s_delay_alu instid0(VALU_DEP_1) | instskip(NEXT) | instid1(VALU_DEP_1)
	;; [unrolled: 3-line block ×19, first 2 shown]
	v_add_f64_e32 v[4:5], 0xbfa019f72d4ff71e, v[4:5]
	v_fma_f64 v[0:1], v[0:1], v[4:5], -v[6:7]
	v_fma_f64 v[4:5], -v[12:13], v[12:13], v[2:3]
	s_delay_alu instid0(VALU_DEP_2) | instskip(NEXT) | instid1(VALU_DEP_2)
	v_add_f64_e32 v[0:1], 0x400385bd9f4e6907, v[0:1]
	v_fmac_f64_e32 v[12:13], v[4:5], v[8:9]
	v_cndmask_b32_e64 v4, 0, 0xffffff80, vcc_lo
	v_cmp_class_f64_e64 vcc_lo, v[2:3], 0x260
	s_delay_alu instid0(VALU_DEP_4) | instskip(NEXT) | instid1(VALU_DEP_3)
	v_add_f64_e64 v[0:1], v[0:1], -v[6:7]
	v_ldexp_f64 v[4:5], v[12:13], v4
	s_delay_alu instid0(VALU_DEP_1) | instskip(NEXT) | instid1(VALU_DEP_2)
	v_dual_mul_f64 v[0:1], 0.5, v[0:1] :: v_dual_cndmask_b32 v3, v5, v3, vcc_lo
	v_cndmask_b32_e32 v2, v4, v2, vcc_lo
	s_delay_alu instid0(VALU_DEP_1) | instskip(NEXT) | instid1(VALU_DEP_1)
	v_div_scale_f64 v[4:5], null, v[2:3], v[2:3], v[0:1]
	v_rcp_f64_e32 v[6:7], v[4:5]
	v_nop
	s_delay_alu instid0(TRANS32_DEP_1) | instskip(NEXT) | instid1(VALU_DEP_1)
	v_fma_f64 v[8:9], -v[4:5], v[6:7], 1.0
	v_fmac_f64_e32 v[6:7], v[6:7], v[8:9]
	s_delay_alu instid0(VALU_DEP_1) | instskip(NEXT) | instid1(VALU_DEP_1)
	v_fma_f64 v[8:9], -v[4:5], v[6:7], 1.0
	v_fmac_f64_e32 v[6:7], v[6:7], v[8:9]
	v_div_scale_f64 v[8:9], vcc_lo, v[0:1], v[2:3], v[0:1]
	s_delay_alu instid0(VALU_DEP_1) | instskip(NEXT) | instid1(VALU_DEP_1)
	v_mul_f64_e32 v[12:13], v[8:9], v[6:7]
	v_fma_f64 v[4:5], -v[4:5], v[12:13], v[8:9]
	s_delay_alu instid0(VALU_DEP_1) | instskip(NEXT) | instid1(VALU_DEP_1)
	v_div_fmas_f64 v[4:5], v[4:5], v[6:7], v[12:13]
	v_div_fixup_f64 v[0:1], v[4:5], v[2:3], v[0:1]
.LBB8_280:
	s_or_b32 exec_lo, exec_lo, s0
.LBB8_281:
	s_delay_alu instid0(SALU_CYCLE_1)
	s_or_b32 exec_lo, exec_lo, s18
.LBB8_282:
	s_delay_alu instid0(SALU_CYCLE_1) | instskip(SKIP_2) | instid1(SALU_CYCLE_1)
	s_or_b32 exec_lo, exec_lo, s16
	v_mul_lo_u32 v2, v10, s2
	s_and_b32 s16, s8, 0xff
	s_cmp_lt_i32 s16, 11
	s_delay_alu instid0(VALU_DEP_1) | instskip(NEXT) | instid1(VALU_DEP_1)
	v_ashrrev_i32_e32 v3, 31, v2
	v_add_nc_u64_e32 v[4:5], s[4:5], v[2:3]
	s_cbranch_scc1 .LBB8_290
; %bb.283:
	s_and_b32 s18, 0xffff, s16
	s_delay_alu instid0(SALU_CYCLE_1)
	s_cmp_gt_i32 s18, 25
	s_cbranch_scc0 .LBB8_292
; %bb.284:
	s_cmp_gt_i32 s18, 28
	s_cbranch_scc0 .LBB8_294
; %bb.285:
	;; [unrolled: 3-line block ×4, first 2 shown]
	s_mov_b32 s20, 0
	s_mov_b32 s0, -1
	s_cmp_eq_u32 s18, 46
	s_mov_b32 s19, 0
	s_cbranch_scc0 .LBB8_307
; %bb.288:
	s_delay_alu instid0(VALU_DEP_4) | instskip(SKIP_2) | instid1(VALU_DEP_1)
	v_cvt_f32_f64_e32 v2, v[0:1]
	s_mov_b32 s19, -1
	s_mov_b32 s0, 0
	v_bfe_u32 v3, v2, 16, 1
	v_cmp_o_f32_e32 vcc_lo, v2, v2
	s_delay_alu instid0(VALU_DEP_2) | instskip(NEXT) | instid1(VALU_DEP_1)
	v_add3_u32 v3, v2, v3, 0x7fff
	v_lshrrev_b32_e32 v3, 16, v3
	s_delay_alu instid0(VALU_DEP_1)
	v_cndmask_b32_e32 v2, 0x7fc0, v3, vcc_lo
	global_store_b32 v[4:5], v2, off
	s_branch .LBB8_307
.LBB8_289:
	s_mov_b32 s18, -1
	s_mov_b32 s16, 0
	s_mov_b32 s15, s13
                                        ; implicit-def: $vgpr2_vgpr3
	s_branch .LBB8_444
.LBB8_290:
	s_mov_b32 s18, -1
	s_mov_b32 s19, 0
	s_mov_b32 s0, s11
	s_branch .LBB8_376
.LBB8_291:
	s_mov_b32 s18, -1
	s_mov_b32 s16, 0
	s_mov_b32 s15, s13
                                        ; implicit-def: $vgpr2_vgpr3
	s_branch .LBB8_425
.LBB8_292:
	s_mov_b32 s20, -1
	s_mov_b32 s19, 0
	s_mov_b32 s0, s11
	s_branch .LBB8_334
.LBB8_293:
	s_mov_b32 s18, -1
	s_mov_b32 s16, 0
	s_mov_b32 s15, s13
                                        ; implicit-def: $vgpr2_vgpr3
	s_branch .LBB8_420
.LBB8_294:
	s_mov_b32 s20, -1
	s_mov_b32 s19, 0
	s_mov_b32 s0, s11
	s_branch .LBB8_317
.LBB8_295:
	s_and_not1_saveexec_b32 s19, s19
	s_cbranch_execz .LBB8_62
.LBB8_296:
	v_add_f32_e64 v3, 0x46000000, |v2|
	s_and_not1_b32 s18, s18, exec_lo
	s_delay_alu instid0(VALU_DEP_1) | instskip(NEXT) | instid1(VALU_DEP_1)
	v_and_b32_e32 v3, 0xff, v3
	v_cmp_ne_u32_e32 vcc_lo, 0, v3
	s_and_b32 s20, vcc_lo, exec_lo
	s_delay_alu instid0(SALU_CYCLE_1)
	s_or_b32 s18, s18, s20
	s_or_b32 exec_lo, exec_lo, s19
	v_mov_b32_e32 v6, 0
	s_and_saveexec_b32 s19, s18
	s_cbranch_execnz .LBB8_63
	s_branch .LBB8_64
.LBB8_297:
	s_mov_b32 s18, -1
	s_mov_b32 s16, 0
	s_mov_b32 s15, s13
	s_branch .LBB8_302
.LBB8_298:
	s_mov_b32 s20, -1
	s_mov_b32 s19, 0
	s_mov_b32 s0, s11
	s_branch .LBB8_313
.LBB8_299:
	s_and_not1_saveexec_b32 s19, s19
	s_cbranch_execz .LBB8_75
.LBB8_300:
	v_add_f32_e64 v3, 0x42800000, |v2|
	s_and_not1_b32 s18, s18, exec_lo
	s_delay_alu instid0(VALU_DEP_1) | instskip(NEXT) | instid1(VALU_DEP_1)
	v_and_b32_e32 v3, 0xff, v3
	v_cmp_ne_u32_e32 vcc_lo, 0, v3
	s_and_b32 s20, vcc_lo, exec_lo
	s_delay_alu instid0(SALU_CYCLE_1)
	s_or_b32 s18, s18, s20
	s_or_b32 exec_lo, exec_lo, s19
	v_mov_b32_e32 v6, 0
	s_and_saveexec_b32 s19, s18
	s_cbranch_execnz .LBB8_76
	s_branch .LBB8_77
.LBB8_301:
	s_mov_b32 s15, -1
	s_mov_b32 s16, 0
.LBB8_302:
                                        ; implicit-def: $vgpr2_vgpr3
.LBB8_303:
	s_and_b32 vcc_lo, exec_lo, s18
	s_cbranch_vccz .LBB8_419
; %bb.304:
	s_cmp_eq_u32 s0, 44
	s_cbranch_scc0 .LBB8_418
; %bb.305:
	global_load_u8 v4, v[0:1], off
	s_mov_b32 s15, 0
	s_mov_b32 s16, -1
	s_wait_loadcnt 0x0
	v_cmp_ne_u32_e32 vcc_lo, 0xff, v4
	v_lshlrev_b32_e32 v2, 23, v4
	s_delay_alu instid0(VALU_DEP_1) | instskip(NEXT) | instid1(VALU_DEP_1)
	v_cvt_f64_f32_e32 v[2:3], v2
	v_cndmask_b32_e32 v2, 0x20000000, v2, vcc_lo
	s_delay_alu instid0(VALU_DEP_2) | instskip(SKIP_1) | instid1(VALU_DEP_2)
	v_cndmask_b32_e32 v3, 0x7ff80000, v3, vcc_lo
	v_cmp_ne_u32_e32 vcc_lo, 0, v4
	v_cndmask_b32_e32 v3, 0x38000000, v3, vcc_lo
	s_delay_alu instid0(VALU_DEP_4)
	v_cndmask_b32_e32 v2, 0, v2, vcc_lo
	s_branch .LBB8_419
.LBB8_306:
	s_mov_b32 s20, -1
	s_mov_b32 s19, 0
	s_mov_b32 s0, s11
.LBB8_307:
	s_and_b32 vcc_lo, exec_lo, s20
	s_cbranch_vccz .LBB8_312
; %bb.308:
	s_cmp_eq_u32 s18, 44
	s_mov_b32 s0, -1
	s_cbranch_scc0 .LBB8_312
; %bb.309:
	s_wait_xcnt 0x0
	s_delay_alu instid0(VALU_DEP_4) | instskip(SKIP_2) | instid1(VALU_DEP_2)
	v_cvt_f32_f64_e32 v2, v[0:1]
	v_mov_b32_e32 v3, 0xff
	s_mov_b32 s19, exec_lo
	v_bfe_u32 v6, v2, 23, 8
	s_delay_alu instid0(VALU_DEP_1)
	v_cmpx_ne_u32_e32 0xff, v6
	s_cbranch_execz .LBB8_311
; %bb.310:
	v_and_b32_e32 v3, 0x400000, v2
	v_and_or_b32 v6, 0x3fffff, v2, v6
	v_lshrrev_b32_e32 v2, 23, v2
	s_delay_alu instid0(VALU_DEP_3) | instskip(NEXT) | instid1(VALU_DEP_3)
	v_cmp_ne_u32_e32 vcc_lo, 0, v3
	v_cmp_ne_u32_e64 s0, 0, v6
	s_and_b32 s0, vcc_lo, s0
	s_delay_alu instid0(SALU_CYCLE_1) | instskip(NEXT) | instid1(VALU_DEP_1)
	v_cndmask_b32_e64 v3, 0, 1, s0
	v_add_nc_u32_e32 v3, v2, v3
.LBB8_311:
	s_or_b32 exec_lo, exec_lo, s19
	s_mov_b32 s19, -1
	s_mov_b32 s0, 0
	global_store_b8 v[4:5], v3, off
.LBB8_312:
	s_mov_b32 s20, 0
.LBB8_313:
	s_delay_alu instid0(SALU_CYCLE_1)
	s_and_b32 vcc_lo, exec_lo, s20
	s_cbranch_vccz .LBB8_316
; %bb.314:
	s_cmp_eq_u32 s18, 29
	s_mov_b32 s0, -1
	s_cbranch_scc0 .LBB8_316
; %bb.315:
	s_wait_xcnt 0x0
	s_delay_alu instid0(VALU_DEP_4) | instskip(SKIP_3) | instid1(VALU_DEP_1)
	v_trunc_f64_e32 v[2:3], v[0:1]
	s_mov_b32 s19, -1
	s_mov_b32 s0, 0
	s_mov_b32 s20, 0
	v_ldexp_f64 v[6:7], v[2:3], 0xffffffe0
	s_delay_alu instid0(VALU_DEP_1) | instskip(NEXT) | instid1(VALU_DEP_1)
	v_floor_f64_e32 v[6:7], v[6:7]
	v_fmamk_f64 v[2:3], v[6:7], 0xc1f00000, v[2:3]
	v_cvt_u32_f64_e32 v7, v[6:7]
	s_delay_alu instid0(VALU_DEP_2)
	v_cvt_u32_f64_e32 v6, v[2:3]
	global_store_b64 v[4:5], v[6:7], off
	s_branch .LBB8_317
.LBB8_316:
	s_mov_b32 s20, 0
.LBB8_317:
	s_delay_alu instid0(SALU_CYCLE_1)
	s_and_b32 vcc_lo, exec_lo, s20
	s_cbranch_vccz .LBB8_333
; %bb.318:
	s_cmp_lt_i32 s18, 27
	s_mov_b32 s19, -1
	s_cbranch_scc1 .LBB8_324
; %bb.319:
	s_wait_xcnt 0x0
	s_delay_alu instid0(VALU_DEP_4)
	v_cvt_u32_f64_e32 v2, v[0:1]
	s_cmp_gt_i32 s18, 27
	s_cbranch_scc0 .LBB8_321
; %bb.320:
	s_mov_b32 s19, 0
	global_store_b32 v[4:5], v2, off
.LBB8_321:
	s_and_not1_b32 vcc_lo, exec_lo, s19
	s_cbranch_vccnz .LBB8_323
; %bb.322:
	global_store_b16 v[4:5], v2, off
.LBB8_323:
	s_mov_b32 s19, 0
.LBB8_324:
	s_delay_alu instid0(SALU_CYCLE_1)
	s_and_not1_b32 vcc_lo, exec_lo, s19
	s_cbranch_vccnz .LBB8_332
; %bb.325:
	s_wait_xcnt 0x0
	s_delay_alu instid0(VALU_DEP_4) | instskip(SKIP_2) | instid1(VALU_DEP_2)
	v_cvt_f32_f64_e32 v2, v[0:1]
	v_mov_b32_e32 v6, 0x80
	s_mov_b32 s19, exec_lo
	v_and_b32_e32 v3, 0x7fffffff, v2
	s_delay_alu instid0(VALU_DEP_1)
	v_cmpx_gt_u32_e32 0x43800000, v3
	s_cbranch_execz .LBB8_331
; %bb.326:
	v_cmp_lt_u32_e32 vcc_lo, 0x3bffffff, v3
	s_mov_b32 s20, 0
                                        ; implicit-def: $vgpr3
	s_and_saveexec_b32 s21, vcc_lo
	s_delay_alu instid0(SALU_CYCLE_1)
	s_xor_b32 s21, exec_lo, s21
	s_cbranch_execz .LBB8_544
; %bb.327:
	v_bfe_u32 v3, v2, 20, 1
	s_mov_b32 s20, exec_lo
	s_delay_alu instid0(VALU_DEP_1) | instskip(NEXT) | instid1(VALU_DEP_1)
	v_add3_u32 v3, v2, v3, 0x487ffff
	v_lshrrev_b32_e32 v3, 20, v3
	s_and_not1_saveexec_b32 s21, s21
	s_cbranch_execnz .LBB8_545
.LBB8_328:
	s_or_b32 exec_lo, exec_lo, s21
	v_mov_b32_e32 v6, 0
	s_and_saveexec_b32 s21, s20
.LBB8_329:
	v_lshrrev_b32_e32 v2, 24, v2
	s_delay_alu instid0(VALU_DEP_1)
	v_and_or_b32 v6, 0x80, v2, v3
.LBB8_330:
	s_or_b32 exec_lo, exec_lo, s21
.LBB8_331:
	s_delay_alu instid0(SALU_CYCLE_1)
	s_or_b32 exec_lo, exec_lo, s19
	global_store_b8 v[4:5], v6, off
.LBB8_332:
	s_mov_b32 s19, -1
.LBB8_333:
	s_mov_b32 s20, 0
.LBB8_334:
	s_delay_alu instid0(SALU_CYCLE_1)
	s_and_b32 vcc_lo, exec_lo, s20
	s_cbranch_vccz .LBB8_375
; %bb.335:
	s_cmp_gt_i32 s18, 22
	s_mov_b32 s20, -1
	s_cbranch_scc0 .LBB8_367
; %bb.336:
	s_cmp_lt_i32 s18, 24
	s_mov_b32 s19, -1
	s_cbranch_scc1 .LBB8_356
; %bb.337:
	s_cmp_gt_i32 s18, 24
	s_cbranch_scc0 .LBB8_345
; %bb.338:
	s_wait_xcnt 0x0
	s_delay_alu instid0(VALU_DEP_4) | instskip(SKIP_2) | instid1(VALU_DEP_2)
	v_cvt_f32_f64_e32 v2, v[0:1]
	v_mov_b32_e32 v6, 0x80
	s_mov_b32 s19, exec_lo
	v_and_b32_e32 v3, 0x7fffffff, v2
	s_delay_alu instid0(VALU_DEP_1)
	v_cmpx_gt_u32_e32 0x47800000, v3
	s_cbranch_execz .LBB8_344
; %bb.339:
	v_cmp_lt_u32_e32 vcc_lo, 0x37ffffff, v3
	s_mov_b32 s20, 0
                                        ; implicit-def: $vgpr3
	s_and_saveexec_b32 s21, vcc_lo
	s_delay_alu instid0(SALU_CYCLE_1)
	s_xor_b32 s21, exec_lo, s21
	s_cbranch_execz .LBB8_547
; %bb.340:
	v_bfe_u32 v3, v2, 21, 1
	s_mov_b32 s20, exec_lo
	s_delay_alu instid0(VALU_DEP_1) | instskip(NEXT) | instid1(VALU_DEP_1)
	v_add3_u32 v3, v2, v3, 0x88fffff
	v_lshrrev_b32_e32 v3, 21, v3
	s_and_not1_saveexec_b32 s21, s21
	s_cbranch_execnz .LBB8_548
.LBB8_341:
	s_or_b32 exec_lo, exec_lo, s21
	v_mov_b32_e32 v6, 0
	s_and_saveexec_b32 s21, s20
.LBB8_342:
	v_lshrrev_b32_e32 v2, 24, v2
	s_delay_alu instid0(VALU_DEP_1)
	v_and_or_b32 v6, 0x80, v2, v3
.LBB8_343:
	s_or_b32 exec_lo, exec_lo, s21
.LBB8_344:
	s_delay_alu instid0(SALU_CYCLE_1)
	s_or_b32 exec_lo, exec_lo, s19
	s_mov_b32 s19, 0
	global_store_b8 v[4:5], v6, off
.LBB8_345:
	s_and_b32 vcc_lo, exec_lo, s19
	s_cbranch_vccz .LBB8_355
; %bb.346:
	s_wait_xcnt 0x0
	s_delay_alu instid0(VALU_DEP_4) | instskip(SKIP_1) | instid1(VALU_DEP_1)
	v_cvt_f32_f64_e32 v2, v[0:1]
	s_mov_b32 s19, exec_lo
                                        ; implicit-def: $vgpr3
	v_and_b32_e32 v6, 0x7fffffff, v2
	s_delay_alu instid0(VALU_DEP_1)
	v_cmpx_gt_u32_e32 0x43f00000, v6
	s_xor_b32 s19, exec_lo, s19
	s_cbranch_execz .LBB8_352
; %bb.347:
	s_mov_b32 s20, exec_lo
                                        ; implicit-def: $vgpr3
	v_cmpx_lt_u32_e32 0x3c7fffff, v6
	s_xor_b32 s20, exec_lo, s20
; %bb.348:
	v_bfe_u32 v3, v2, 20, 1
	s_delay_alu instid0(VALU_DEP_1) | instskip(NEXT) | instid1(VALU_DEP_1)
	v_add3_u32 v3, v2, v3, 0x407ffff
	v_and_b32_e32 v6, 0xff00000, v3
	v_lshrrev_b32_e32 v3, 20, v3
	s_delay_alu instid0(VALU_DEP_2) | instskip(NEXT) | instid1(VALU_DEP_2)
	v_cmp_ne_u32_e32 vcc_lo, 0x7f00000, v6
	v_cndmask_b32_e32 v3, 0x7e, v3, vcc_lo
; %bb.349:
	s_and_not1_saveexec_b32 s20, s20
; %bb.350:
	v_add_f32_e64 v3, 0x46800000, |v2|
; %bb.351:
	s_or_b32 exec_lo, exec_lo, s20
                                        ; implicit-def: $vgpr6
.LBB8_352:
	s_and_not1_saveexec_b32 s19, s19
; %bb.353:
	v_mov_b32_e32 v3, 0x7f
	v_cmp_lt_u32_e32 vcc_lo, 0x7f800000, v6
	s_delay_alu instid0(VALU_DEP_2)
	v_cndmask_b32_e32 v3, 0x7e, v3, vcc_lo
; %bb.354:
	s_or_b32 exec_lo, exec_lo, s19
	v_lshrrev_b32_e32 v2, 24, v2
	s_delay_alu instid0(VALU_DEP_1)
	v_and_or_b32 v2, 0x80, v2, v3
	global_store_b8 v[4:5], v2, off
.LBB8_355:
	s_mov_b32 s19, 0
.LBB8_356:
	s_delay_alu instid0(SALU_CYCLE_1)
	s_and_not1_b32 vcc_lo, exec_lo, s19
	s_cbranch_vccnz .LBB8_366
; %bb.357:
	s_wait_xcnt 0x0
	s_delay_alu instid0(VALU_DEP_4) | instskip(SKIP_1) | instid1(VALU_DEP_1)
	v_cvt_f32_f64_e32 v2, v[0:1]
	s_mov_b32 s19, exec_lo
                                        ; implicit-def: $vgpr3
	v_and_b32_e32 v6, 0x7fffffff, v2
	s_delay_alu instid0(VALU_DEP_1)
	v_cmpx_gt_u32_e32 0x47800000, v6
	s_xor_b32 s19, exec_lo, s19
	s_cbranch_execz .LBB8_363
; %bb.358:
	s_mov_b32 s20, exec_lo
                                        ; implicit-def: $vgpr3
	v_cmpx_lt_u32_e32 0x387fffff, v6
	s_xor_b32 s20, exec_lo, s20
; %bb.359:
	v_bfe_u32 v3, v2, 21, 1
	s_delay_alu instid0(VALU_DEP_1) | instskip(NEXT) | instid1(VALU_DEP_1)
	v_add3_u32 v3, v2, v3, 0x80fffff
	v_lshrrev_b32_e32 v3, 21, v3
; %bb.360:
	s_and_not1_saveexec_b32 s20, s20
; %bb.361:
	v_add_f32_e64 v3, 0x43000000, |v2|
; %bb.362:
	s_or_b32 exec_lo, exec_lo, s20
                                        ; implicit-def: $vgpr6
.LBB8_363:
	s_and_not1_saveexec_b32 s19, s19
; %bb.364:
	v_mov_b32_e32 v3, 0x7f
	v_cmp_lt_u32_e32 vcc_lo, 0x7f800000, v6
	s_delay_alu instid0(VALU_DEP_2)
	v_cndmask_b32_e32 v3, 0x7c, v3, vcc_lo
; %bb.365:
	s_or_b32 exec_lo, exec_lo, s19
	v_lshrrev_b32_e32 v2, 24, v2
	s_delay_alu instid0(VALU_DEP_1)
	v_and_or_b32 v2, 0x80, v2, v3
	global_store_b8 v[4:5], v2, off
.LBB8_366:
	s_mov_b32 s20, 0
	s_mov_b32 s19, -1
.LBB8_367:
	s_and_not1_b32 vcc_lo, exec_lo, s20
	s_cbranch_vccnz .LBB8_375
; %bb.368:
	s_cmp_gt_i32 s18, 14
	s_mov_b32 s20, -1
	s_cbranch_scc0 .LBB8_372
; %bb.369:
	s_cmp_eq_u32 s18, 15
	s_mov_b32 s0, -1
	s_cbranch_scc0 .LBB8_371
; %bb.370:
	s_wait_xcnt 0x0
	s_delay_alu instid0(VALU_DEP_4) | instskip(SKIP_2) | instid1(VALU_DEP_1)
	v_cvt_f32_f64_e32 v2, v[0:1]
	s_mov_b32 s19, -1
	s_mov_b32 s0, 0
	v_bfe_u32 v3, v2, 16, 1
	v_cmp_o_f32_e32 vcc_lo, v2, v2
	s_delay_alu instid0(VALU_DEP_2) | instskip(NEXT) | instid1(VALU_DEP_1)
	v_add3_u32 v3, v2, v3, 0x7fff
	v_lshrrev_b32_e32 v3, 16, v3
	s_delay_alu instid0(VALU_DEP_1)
	v_cndmask_b32_e32 v2, 0x7fc0, v3, vcc_lo
	global_store_b16 v[4:5], v2, off
.LBB8_371:
	s_mov_b32 s20, 0
.LBB8_372:
	s_delay_alu instid0(SALU_CYCLE_1)
	s_and_b32 vcc_lo, exec_lo, s20
	s_cbranch_vccz .LBB8_375
; %bb.373:
	s_cmp_eq_u32 s18, 11
	s_mov_b32 s0, -1
	s_cbranch_scc0 .LBB8_375
; %bb.374:
	v_cmp_neq_f64_e32 vcc_lo, 0, v[0:1]
	s_mov_b32 s19, -1
	s_mov_b32 s0, 0
	s_wait_xcnt 0x0
	v_cndmask_b32_e64 v2, 0, 1, vcc_lo
	global_store_b8 v[4:5], v2, off
.LBB8_375:
	s_mov_b32 s18, 0
.LBB8_376:
	s_delay_alu instid0(SALU_CYCLE_1)
	s_and_b32 vcc_lo, exec_lo, s18
	s_cbranch_vccz .LBB8_415
; %bb.377:
	s_and_b32 s16, 0xffff, s16
	s_mov_b32 s18, -1
	s_cmp_lt_i32 s16, 5
	s_cbranch_scc1 .LBB8_398
; %bb.378:
	s_cmp_lt_i32 s16, 8
	s_cbranch_scc1 .LBB8_388
; %bb.379:
	;; [unrolled: 3-line block ×3, first 2 shown]
	s_cmp_gt_i32 s16, 9
	s_cbranch_scc0 .LBB8_382
; %bb.381:
	s_wait_xcnt 0x0
	v_mov_b32_e32 v2, 0
	s_mov_b32 s18, 0
	s_delay_alu instid0(VALU_DEP_1)
	v_mov_b32_e32 v3, v2
	global_store_b128 v[4:5], v[0:3], off
.LBB8_382:
	s_and_not1_b32 vcc_lo, exec_lo, s18
	s_cbranch_vccnz .LBB8_384
; %bb.383:
	s_wait_xcnt 0x0
	s_delay_alu instid0(VALU_DEP_4)
	v_cvt_f32_f64_e32 v2, v[0:1]
	v_mov_b32_e32 v3, 0
	global_store_b64 v[4:5], v[2:3], off
.LBB8_384:
	s_mov_b32 s18, 0
.LBB8_385:
	s_delay_alu instid0(SALU_CYCLE_1)
	s_and_not1_b32 vcc_lo, exec_lo, s18
	s_cbranch_vccnz .LBB8_387
; %bb.386:
	s_wait_xcnt 0x0
	s_delay_alu instid0(VALU_DEP_4) | instskip(SKIP_2) | instid1(VALU_DEP_3)
	v_and_or_b32 v2, 0x1ff, v1, v0
	v_lshrrev_b32_e32 v3, 8, v1
	v_bfe_u32 v6, v1, 20, 11
	v_cmp_ne_u32_e32 vcc_lo, 0, v2
	s_delay_alu instid0(VALU_DEP_2) | instskip(SKIP_1) | instid1(VALU_DEP_1)
	v_sub_nc_u32_e32 v7, 0x3f1, v6
	v_cndmask_b32_e64 v2, 0, 1, vcc_lo
	v_and_or_b32 v2, 0xffe, v3, v2
	s_delay_alu instid0(VALU_DEP_3) | instskip(NEXT) | instid1(VALU_DEP_2)
	v_med3_i32 v3, v7, 0, 13
	v_or_b32_e32 v7, 0x1000, v2
	s_delay_alu instid0(VALU_DEP_1) | instskip(NEXT) | instid1(VALU_DEP_1)
	v_lshrrev_b32_e32 v8, v3, v7
	v_lshlrev_b32_e32 v3, v3, v8
	s_delay_alu instid0(VALU_DEP_1) | instskip(SKIP_1) | instid1(VALU_DEP_1)
	v_cmp_ne_u32_e32 vcc_lo, v3, v7
	v_cndmask_b32_e64 v3, 0, 1, vcc_lo
	v_or_b32_e32 v3, v8, v3
	v_add_nc_u32_e32 v6, 0xfffffc10, v6
	s_delay_alu instid0(VALU_DEP_1) | instskip(SKIP_1) | instid1(VALU_DEP_2)
	v_lshl_or_b32 v7, v6, 12, v2
	v_cmp_gt_i32_e32 vcc_lo, 1, v6
	v_cndmask_b32_e32 v3, v7, v3, vcc_lo
	s_delay_alu instid0(VALU_DEP_1) | instskip(NEXT) | instid1(VALU_DEP_1)
	v_dual_lshrrev_b32 v3, 2, v3 :: v_dual_bitop2_b32 v7, 7, v3 bitop3:0x40
	v_cmp_lt_i32_e32 vcc_lo, 5, v7
	v_cndmask_b32_e64 v8, 0, 1, vcc_lo
	v_cmp_eq_u32_e32 vcc_lo, 3, v7
	v_cndmask_b32_e64 v7, 0, 1, vcc_lo
	v_cmp_ne_u32_e32 vcc_lo, 0, v2
	s_delay_alu instid0(VALU_DEP_2) | instskip(NEXT) | instid1(VALU_DEP_1)
	v_or_b32_e32 v7, v7, v8
	v_dual_mov_b32 v8, 0x7e00 :: v_dual_add_nc_u32 v3, v3, v7
	s_delay_alu instid0(VALU_DEP_1) | instskip(SKIP_2) | instid1(VALU_DEP_4)
	v_cndmask_b32_e32 v2, 0x7c00, v8, vcc_lo
	v_cmp_gt_i32_e32 vcc_lo, 31, v6
	v_lshrrev_b32_e32 v7, 16, v1
	v_cndmask_b32_e32 v3, 0x7c00, v3, vcc_lo
	v_cmp_eq_u32_e32 vcc_lo, 0x40f, v6
	s_delay_alu instid0(VALU_DEP_2) | instskip(NEXT) | instid1(VALU_DEP_4)
	v_cndmask_b32_e32 v2, v3, v2, vcc_lo
	v_and_b32_e32 v3, 0x8000, v7
	s_delay_alu instid0(VALU_DEP_1)
	v_bitop3_b32 v2, v3, 0xffff, v2 bitop3:0xc8
	global_store_b32 v[4:5], v2, off
.LBB8_387:
	s_mov_b32 s18, 0
.LBB8_388:
	s_delay_alu instid0(SALU_CYCLE_1)
	s_and_not1_b32 vcc_lo, exec_lo, s18
	s_cbranch_vccnz .LBB8_397
; %bb.389:
	s_cmp_lt_i32 s16, 6
	s_mov_b32 s18, -1
	s_cbranch_scc1 .LBB8_395
; %bb.390:
	s_cmp_gt_i32 s16, 6
	s_cbranch_scc0 .LBB8_392
; %bb.391:
	s_mov_b32 s18, 0
	global_store_b64 v[4:5], v[0:1], off
.LBB8_392:
	s_and_not1_b32 vcc_lo, exec_lo, s18
	s_cbranch_vccnz .LBB8_394
; %bb.393:
	s_wait_xcnt 0x0
	v_cvt_f32_f64_e32 v2, v[0:1]
	global_store_b32 v[4:5], v2, off
.LBB8_394:
	s_mov_b32 s18, 0
.LBB8_395:
	s_delay_alu instid0(SALU_CYCLE_1)
	s_and_not1_b32 vcc_lo, exec_lo, s18
	s_cbranch_vccnz .LBB8_397
; %bb.396:
	s_wait_xcnt 0x0
	s_delay_alu instid0(VALU_DEP_4) | instskip(SKIP_2) | instid1(VALU_DEP_3)
	v_and_or_b32 v2, 0x1ff, v1, v0
	v_lshrrev_b32_e32 v3, 8, v1
	v_bfe_u32 v6, v1, 20, 11
	v_cmp_ne_u32_e32 vcc_lo, 0, v2
	s_delay_alu instid0(VALU_DEP_2) | instskip(SKIP_1) | instid1(VALU_DEP_1)
	v_sub_nc_u32_e32 v7, 0x3f1, v6
	v_cndmask_b32_e64 v2, 0, 1, vcc_lo
	v_and_or_b32 v2, 0xffe, v3, v2
	s_delay_alu instid0(VALU_DEP_3) | instskip(NEXT) | instid1(VALU_DEP_2)
	v_med3_i32 v3, v7, 0, 13
	v_or_b32_e32 v7, 0x1000, v2
	s_delay_alu instid0(VALU_DEP_1) | instskip(NEXT) | instid1(VALU_DEP_1)
	v_lshrrev_b32_e32 v8, v3, v7
	v_lshlrev_b32_e32 v3, v3, v8
	s_delay_alu instid0(VALU_DEP_1) | instskip(SKIP_1) | instid1(VALU_DEP_1)
	v_cmp_ne_u32_e32 vcc_lo, v3, v7
	v_cndmask_b32_e64 v3, 0, 1, vcc_lo
	v_or_b32_e32 v3, v8, v3
	v_add_nc_u32_e32 v6, 0xfffffc10, v6
	s_delay_alu instid0(VALU_DEP_1) | instskip(SKIP_1) | instid1(VALU_DEP_2)
	v_lshl_or_b32 v7, v6, 12, v2
	v_cmp_gt_i32_e32 vcc_lo, 1, v6
	v_cndmask_b32_e32 v3, v7, v3, vcc_lo
	s_delay_alu instid0(VALU_DEP_1) | instskip(NEXT) | instid1(VALU_DEP_1)
	v_dual_lshrrev_b32 v3, 2, v3 :: v_dual_bitop2_b32 v7, 7, v3 bitop3:0x40
	v_cmp_lt_i32_e32 vcc_lo, 5, v7
	v_cndmask_b32_e64 v8, 0, 1, vcc_lo
	v_cmp_eq_u32_e32 vcc_lo, 3, v7
	v_cndmask_b32_e64 v7, 0, 1, vcc_lo
	v_cmp_ne_u32_e32 vcc_lo, 0, v2
	s_delay_alu instid0(VALU_DEP_2) | instskip(NEXT) | instid1(VALU_DEP_1)
	v_or_b32_e32 v7, v7, v8
	v_dual_mov_b32 v8, 0x7e00 :: v_dual_add_nc_u32 v3, v3, v7
	s_delay_alu instid0(VALU_DEP_1) | instskip(SKIP_1) | instid1(VALU_DEP_3)
	v_cndmask_b32_e32 v2, 0x7c00, v8, vcc_lo
	v_cmp_gt_i32_e32 vcc_lo, 31, v6
	v_cndmask_b32_e32 v3, 0x7c00, v3, vcc_lo
	v_cmp_eq_u32_e32 vcc_lo, 0x40f, v6
	s_delay_alu instid0(VALU_DEP_2) | instskip(NEXT) | instid1(VALU_DEP_1)
	v_dual_cndmask_b32 v2, v3, v2 :: v_dual_lshrrev_b32 v3, 16, v1
	v_and_or_b32 v2, 0x8000, v3, v2
	global_store_b16 v[4:5], v2, off
.LBB8_397:
	s_mov_b32 s18, 0
.LBB8_398:
	s_delay_alu instid0(SALU_CYCLE_1)
	s_and_not1_b32 vcc_lo, exec_lo, s18
	s_cbranch_vccnz .LBB8_414
; %bb.399:
	s_cmp_lt_i32 s16, 2
	s_mov_b32 s18, -1
	s_cbranch_scc1 .LBB8_409
; %bb.400:
	s_cmp_lt_i32 s16, 3
	s_cbranch_scc1 .LBB8_406
; %bb.401:
	s_cmp_gt_i32 s16, 3
	s_cbranch_scc0 .LBB8_403
; %bb.402:
	s_wait_xcnt 0x0
	s_delay_alu instid0(VALU_DEP_4) | instskip(SKIP_1) | instid1(VALU_DEP_1)
	v_trunc_f64_e32 v[2:3], v[0:1]
	s_mov_b32 s18, 0
	v_ldexp_f64 v[6:7], v[2:3], 0xffffffe0
	s_delay_alu instid0(VALU_DEP_1) | instskip(NEXT) | instid1(VALU_DEP_1)
	v_floor_f64_e32 v[6:7], v[6:7]
	v_fmamk_f64 v[2:3], v[6:7], 0xc1f00000, v[2:3]
	v_cvt_i32_f64_e32 v7, v[6:7]
	s_delay_alu instid0(VALU_DEP_2)
	v_cvt_u32_f64_e32 v6, v[2:3]
	global_store_b64 v[4:5], v[6:7], off
.LBB8_403:
	s_and_not1_b32 vcc_lo, exec_lo, s18
	s_cbranch_vccnz .LBB8_405
; %bb.404:
	s_wait_xcnt 0x0
	v_cvt_i32_f64_e32 v2, v[0:1]
	global_store_b32 v[4:5], v2, off
.LBB8_405:
	s_mov_b32 s18, 0
.LBB8_406:
	s_delay_alu instid0(SALU_CYCLE_1)
	s_and_not1_b32 vcc_lo, exec_lo, s18
	s_cbranch_vccnz .LBB8_408
; %bb.407:
	s_wait_xcnt 0x0
	s_delay_alu instid0(VALU_DEP_4)
	v_cvt_i32_f64_e32 v2, v[0:1]
	global_store_b16 v[4:5], v2, off
.LBB8_408:
	s_mov_b32 s18, 0
.LBB8_409:
	s_delay_alu instid0(SALU_CYCLE_1)
	s_and_not1_b32 vcc_lo, exec_lo, s18
	s_cbranch_vccnz .LBB8_414
; %bb.410:
	s_cmp_gt_i32 s16, 0
	s_mov_b32 s16, -1
	s_cbranch_scc0 .LBB8_412
; %bb.411:
	s_wait_xcnt 0x0
	s_delay_alu instid0(VALU_DEP_4)
	v_cvt_i32_f64_e32 v2, v[0:1]
	s_mov_b32 s16, 0
	global_store_b8 v[4:5], v2, off
.LBB8_412:
	s_and_not1_b32 vcc_lo, exec_lo, s16
	s_cbranch_vccnz .LBB8_414
; %bb.413:
	s_wait_xcnt 0x0
	v_trunc_f64_e32 v[0:1], v[0:1]
	s_delay_alu instid0(VALU_DEP_1) | instskip(NEXT) | instid1(VALU_DEP_1)
	v_ldexp_f64 v[2:3], v[0:1], 0xffffffe0
	v_floor_f64_e32 v[2:3], v[2:3]
	s_delay_alu instid0(VALU_DEP_1) | instskip(NEXT) | instid1(VALU_DEP_1)
	v_fmamk_f64 v[0:1], v[2:3], 0xc1f00000, v[0:1]
	v_cvt_u32_f64_e32 v0, v[0:1]
	global_store_b8 v[4:5], v0, off
.LBB8_414:
	s_mov_b32 s19, -1
.LBB8_415:
	s_delay_alu instid0(SALU_CYCLE_1)
	s_and_not1_b32 vcc_lo, exec_lo, s19
	s_cbranch_vccnz .LBB8_417
; %bb.416:
	v_add_nc_u32_e32 v10, 0x80, v10
	s_mov_b32 s18, -1
	s_branch .LBB8_530
.LBB8_417:
	s_mov_b32 s18, 0
	s_branch .LBB8_529
.LBB8_418:
	s_mov_b32 s15, -1
                                        ; implicit-def: $vgpr2_vgpr3
.LBB8_419:
	s_mov_b32 s18, 0
.LBB8_420:
	s_delay_alu instid0(SALU_CYCLE_1)
	s_and_b32 vcc_lo, exec_lo, s18
	s_cbranch_vccz .LBB8_424
; %bb.421:
	s_cmp_eq_u32 s0, 29
	s_cbranch_scc0 .LBB8_423
; %bb.422:
	s_wait_loadcnt 0x0
	global_load_b64 v[2:3], v[0:1], off
	s_mov_b32 s16, -1
	s_mov_b32 s15, 0
	s_mov_b32 s18, 0
	s_wait_loadcnt 0x0
	v_cvt_f64_u32_e32 v[4:5], v3
	v_cvt_f64_u32_e32 v[2:3], v2
	s_delay_alu instid0(VALU_DEP_2) | instskip(NEXT) | instid1(VALU_DEP_1)
	v_ldexp_f64 v[4:5], v[4:5], 32
	v_add_f64_e32 v[2:3], v[4:5], v[2:3]
	s_branch .LBB8_425
.LBB8_423:
	s_mov_b32 s15, -1
                                        ; implicit-def: $vgpr2_vgpr3
.LBB8_424:
	s_mov_b32 s18, 0
.LBB8_425:
	s_delay_alu instid0(SALU_CYCLE_1)
	s_and_b32 vcc_lo, exec_lo, s18
	s_cbranch_vccz .LBB8_443
; %bb.426:
	s_cmp_lt_i32 s0, 27
	s_cbranch_scc1 .LBB8_429
; %bb.427:
	s_cmp_gt_i32 s0, 27
	s_cbranch_scc0 .LBB8_430
; %bb.428:
	s_wait_loadcnt 0x0
	global_load_b32 v2, v[0:1], off
	s_mov_b32 s16, 0
	s_wait_loadcnt 0x0
	v_cvt_f64_u32_e32 v[2:3], v2
	s_branch .LBB8_431
.LBB8_429:
	s_mov_b32 s16, -1
                                        ; implicit-def: $vgpr2_vgpr3
	s_branch .LBB8_434
.LBB8_430:
	s_mov_b32 s16, -1
                                        ; implicit-def: $vgpr2_vgpr3
.LBB8_431:
	s_delay_alu instid0(SALU_CYCLE_1)
	s_and_not1_b32 vcc_lo, exec_lo, s16
	s_cbranch_vccnz .LBB8_433
; %bb.432:
	s_wait_loadcnt 0x0
	global_load_u16 v2, v[0:1], off
	s_wait_loadcnt 0x0
	v_cvt_f64_u32_e32 v[2:3], v2
.LBB8_433:
	s_mov_b32 s16, 0
.LBB8_434:
	s_delay_alu instid0(SALU_CYCLE_1)
	s_and_not1_b32 vcc_lo, exec_lo, s16
	s_cbranch_vccnz .LBB8_442
; %bb.435:
	global_load_u8 v4, v[0:1], off
	s_mov_b32 s16, 0
	s_mov_b32 s18, exec_lo
	s_wait_loadcnt 0x0
	v_cmpx_lt_i16_e32 0x7f, v4
	s_xor_b32 s18, exec_lo, s18
	s_cbranch_execz .LBB8_456
; %bb.436:
	s_mov_b32 s16, -1
	s_mov_b32 s19, exec_lo
	v_cmpx_eq_u16_e32 0x80, v4
; %bb.437:
	s_xor_b32 s16, exec_lo, -1
; %bb.438:
	s_or_b32 exec_lo, exec_lo, s19
	s_delay_alu instid0(SALU_CYCLE_1)
	s_and_b32 s16, s16, exec_lo
	s_or_saveexec_b32 s18, s18
	v_mov_b64_e32 v[2:3], 0x7ff8000020000000
	s_xor_b32 exec_lo, exec_lo, s18
	s_cbranch_execnz .LBB8_457
.LBB8_439:
	s_or_b32 exec_lo, exec_lo, s18
	s_and_saveexec_b32 s18, s16
	s_cbranch_execz .LBB8_441
.LBB8_440:
	v_and_b32_e32 v2, 0xffff, v4
	s_delay_alu instid0(VALU_DEP_1) | instskip(SKIP_1) | instid1(VALU_DEP_2)
	v_and_b32_e32 v3, 7, v2
	v_bfe_u32 v7, v2, 3, 4
	v_clz_i32_u32_e32 v5, v3
	s_delay_alu instid0(VALU_DEP_2) | instskip(NEXT) | instid1(VALU_DEP_2)
	v_cmp_eq_u32_e32 vcc_lo, 0, v7
	v_min_u32_e32 v5, 32, v5
	s_delay_alu instid0(VALU_DEP_1) | instskip(NEXT) | instid1(VALU_DEP_1)
	v_subrev_nc_u32_e32 v6, 28, v5
	v_dual_lshlrev_b32 v2, v6, v2 :: v_dual_sub_nc_u32 v5, 29, v5
	s_delay_alu instid0(VALU_DEP_1) | instskip(NEXT) | instid1(VALU_DEP_2)
	v_dual_lshlrev_b32 v4, 24, v4 :: v_dual_bitop2_b32 v2, 7, v2 bitop3:0x40
	v_cndmask_b32_e32 v5, v7, v5, vcc_lo
	s_delay_alu instid0(VALU_DEP_2) | instskip(NEXT) | instid1(VALU_DEP_3)
	v_cndmask_b32_e32 v2, v3, v2, vcc_lo
	v_and_b32_e32 v3, 0x80000000, v4
	s_delay_alu instid0(VALU_DEP_3) | instskip(NEXT) | instid1(VALU_DEP_3)
	v_lshl_add_u32 v4, v5, 23, 0x3b800000
	v_lshlrev_b32_e32 v2, 20, v2
	s_delay_alu instid0(VALU_DEP_1) | instskip(NEXT) | instid1(VALU_DEP_1)
	v_or3_b32 v2, v3, v4, v2
	v_cvt_f64_f32_e32 v[2:3], v2
.LBB8_441:
	s_or_b32 exec_lo, exec_lo, s18
.LBB8_442:
	s_mov_b32 s16, -1
.LBB8_443:
	s_mov_b32 s18, 0
.LBB8_444:
	s_delay_alu instid0(SALU_CYCLE_1)
	s_and_b32 vcc_lo, exec_lo, s18
	s_cbranch_vccz .LBB8_479
; %bb.445:
	s_cmp_gt_i32 s0, 22
	s_cbranch_scc0 .LBB8_455
; %bb.446:
	s_cmp_lt_i32 s0, 24
	s_cbranch_scc1 .LBB8_458
; %bb.447:
	s_cmp_gt_i32 s0, 24
	s_cbranch_scc0 .LBB8_459
; %bb.448:
	global_load_u8 v4, v[0:1], off
	s_mov_b32 s16, 0
	s_mov_b32 s18, exec_lo
	s_wait_loadcnt 0x0
	v_cmpx_lt_i16_e32 0x7f, v4
	s_xor_b32 s18, exec_lo, s18
	s_cbranch_execz .LBB8_471
; %bb.449:
	s_mov_b32 s16, -1
	s_mov_b32 s19, exec_lo
	v_cmpx_eq_u16_e32 0x80, v4
; %bb.450:
	s_xor_b32 s16, exec_lo, -1
; %bb.451:
	s_or_b32 exec_lo, exec_lo, s19
	s_delay_alu instid0(SALU_CYCLE_1)
	s_and_b32 s16, s16, exec_lo
	s_or_saveexec_b32 s18, s18
	v_mov_b64_e32 v[2:3], 0x7ff8000020000000
	s_xor_b32 exec_lo, exec_lo, s18
	s_cbranch_execnz .LBB8_472
.LBB8_452:
	s_or_b32 exec_lo, exec_lo, s18
	s_and_saveexec_b32 s18, s16
	s_cbranch_execz .LBB8_454
.LBB8_453:
	v_and_b32_e32 v2, 0xffff, v4
	s_delay_alu instid0(VALU_DEP_1) | instskip(SKIP_1) | instid1(VALU_DEP_2)
	v_and_b32_e32 v3, 3, v2
	v_bfe_u32 v7, v2, 2, 5
	v_clz_i32_u32_e32 v5, v3
	s_delay_alu instid0(VALU_DEP_2) | instskip(NEXT) | instid1(VALU_DEP_2)
	v_cmp_eq_u32_e32 vcc_lo, 0, v7
	v_min_u32_e32 v5, 32, v5
	s_delay_alu instid0(VALU_DEP_1) | instskip(NEXT) | instid1(VALU_DEP_1)
	v_subrev_nc_u32_e32 v6, 29, v5
	v_dual_lshlrev_b32 v2, v6, v2 :: v_dual_sub_nc_u32 v5, 30, v5
	s_delay_alu instid0(VALU_DEP_1) | instskip(NEXT) | instid1(VALU_DEP_2)
	v_dual_lshlrev_b32 v4, 24, v4 :: v_dual_bitop2_b32 v2, 3, v2 bitop3:0x40
	v_cndmask_b32_e32 v5, v7, v5, vcc_lo
	s_delay_alu instid0(VALU_DEP_2) | instskip(NEXT) | instid1(VALU_DEP_3)
	v_cndmask_b32_e32 v2, v3, v2, vcc_lo
	v_and_b32_e32 v3, 0x80000000, v4
	s_delay_alu instid0(VALU_DEP_3) | instskip(NEXT) | instid1(VALU_DEP_3)
	v_lshl_add_u32 v4, v5, 23, 0x37800000
	v_lshlrev_b32_e32 v2, 21, v2
	s_delay_alu instid0(VALU_DEP_1) | instskip(NEXT) | instid1(VALU_DEP_1)
	v_or3_b32 v2, v3, v4, v2
	v_cvt_f64_f32_e32 v[2:3], v2
.LBB8_454:
	s_or_b32 exec_lo, exec_lo, s18
	s_mov_b32 s16, 0
	s_branch .LBB8_460
.LBB8_455:
	s_mov_b32 s18, -1
                                        ; implicit-def: $vgpr2_vgpr3
	s_branch .LBB8_466
.LBB8_456:
	s_or_saveexec_b32 s18, s18
	v_mov_b64_e32 v[2:3], 0x7ff8000020000000
	s_xor_b32 exec_lo, exec_lo, s18
	s_cbranch_execz .LBB8_439
.LBB8_457:
	v_cmp_ne_u16_e32 vcc_lo, 0, v4
	v_mov_b64_e32 v[2:3], 0
	s_and_not1_b32 s16, s16, exec_lo
	s_and_b32 s19, vcc_lo, exec_lo
	s_delay_alu instid0(SALU_CYCLE_1)
	s_or_b32 s16, s16, s19
	s_or_b32 exec_lo, exec_lo, s18
	s_and_saveexec_b32 s18, s16
	s_cbranch_execnz .LBB8_440
	s_branch .LBB8_441
.LBB8_458:
	s_mov_b32 s16, -1
                                        ; implicit-def: $vgpr2_vgpr3
	s_branch .LBB8_463
.LBB8_459:
	s_mov_b32 s16, -1
                                        ; implicit-def: $vgpr2_vgpr3
.LBB8_460:
	s_delay_alu instid0(SALU_CYCLE_1)
	s_and_b32 vcc_lo, exec_lo, s16
	s_cbranch_vccz .LBB8_462
; %bb.461:
	s_wait_loadcnt 0x0
	global_load_u8 v2, v[0:1], off
	s_wait_loadcnt 0x0
	v_lshlrev_b32_e32 v2, 24, v2
	s_delay_alu instid0(VALU_DEP_1) | instskip(NEXT) | instid1(VALU_DEP_1)
	v_and_b32_e32 v3, 0x7f000000, v2
	v_clz_i32_u32_e32 v4, v3
	v_cmp_ne_u32_e32 vcc_lo, 0, v3
	v_add_nc_u32_e32 v6, 0x1000000, v3
	s_delay_alu instid0(VALU_DEP_3) | instskip(NEXT) | instid1(VALU_DEP_1)
	v_min_u32_e32 v4, 32, v4
	v_sub_nc_u32_e64 v4, v4, 4 clamp
	s_delay_alu instid0(VALU_DEP_1) | instskip(NEXT) | instid1(VALU_DEP_1)
	v_dual_lshlrev_b32 v5, v4, v3 :: v_dual_lshlrev_b32 v4, 23, v4
	v_lshrrev_b32_e32 v5, 4, v5
	s_delay_alu instid0(VALU_DEP_1) | instskip(NEXT) | instid1(VALU_DEP_1)
	v_dual_sub_nc_u32 v4, v5, v4 :: v_dual_ashrrev_i32 v5, 8, v6
	v_add_nc_u32_e32 v4, 0x3c000000, v4
	s_delay_alu instid0(VALU_DEP_1) | instskip(NEXT) | instid1(VALU_DEP_1)
	v_and_or_b32 v4, 0x7f800000, v5, v4
	v_cndmask_b32_e32 v3, 0, v4, vcc_lo
	s_delay_alu instid0(VALU_DEP_1) | instskip(NEXT) | instid1(VALU_DEP_1)
	v_and_or_b32 v2, 0x80000000, v2, v3
	v_cvt_f64_f32_e32 v[2:3], v2
.LBB8_462:
	s_mov_b32 s16, 0
.LBB8_463:
	s_delay_alu instid0(SALU_CYCLE_1)
	s_and_not1_b32 vcc_lo, exec_lo, s16
	s_cbranch_vccnz .LBB8_465
; %bb.464:
	s_wait_loadcnt 0x0
	global_load_u8 v2, v[0:1], off
	s_wait_loadcnt 0x0
	v_lshlrev_b32_e32 v3, 25, v2
	v_lshlrev_b16 v2, 8, v2
	s_delay_alu instid0(VALU_DEP_1) | instskip(SKIP_1) | instid1(VALU_DEP_2)
	v_and_or_b32 v5, 0x7f00, v2, 0.5
	v_bfe_i32 v2, v2, 0, 16
	v_dual_add_f32 v5, -0.5, v5 :: v_dual_lshrrev_b32 v4, 4, v3
	v_cmp_gt_u32_e32 vcc_lo, 0x8000000, v3
	s_delay_alu instid0(VALU_DEP_2) | instskip(NEXT) | instid1(VALU_DEP_1)
	v_or_b32_e32 v4, 0x70000000, v4
	v_mul_f32_e32 v4, 0x7800000, v4
	s_delay_alu instid0(VALU_DEP_1) | instskip(NEXT) | instid1(VALU_DEP_1)
	v_cndmask_b32_e32 v3, v4, v5, vcc_lo
	v_and_or_b32 v2, 0x80000000, v2, v3
	s_delay_alu instid0(VALU_DEP_1)
	v_cvt_f64_f32_e32 v[2:3], v2
.LBB8_465:
	s_mov_b32 s18, 0
	s_mov_b32 s16, -1
.LBB8_466:
	s_and_not1_b32 vcc_lo, exec_lo, s18
	s_cbranch_vccnz .LBB8_479
; %bb.467:
	s_cmp_gt_i32 s0, 14
	s_cbranch_scc0 .LBB8_470
; %bb.468:
	s_cmp_eq_u32 s0, 15
	s_cbranch_scc0 .LBB8_473
; %bb.469:
	s_wait_loadcnt 0x0
	global_load_u16 v2, v[0:1], off
	s_mov_b32 s16, -1
	s_mov_b32 s15, 0
	s_wait_loadcnt 0x0
	v_lshlrev_b32_e32 v2, 16, v2
	s_delay_alu instid0(VALU_DEP_1)
	v_cvt_f64_f32_e32 v[2:3], v2
	s_branch .LBB8_474
.LBB8_470:
	s_mov_b32 s18, -1
                                        ; implicit-def: $vgpr2_vgpr3
	s_branch .LBB8_475
.LBB8_471:
	s_or_saveexec_b32 s18, s18
	v_mov_b64_e32 v[2:3], 0x7ff8000020000000
	s_xor_b32 exec_lo, exec_lo, s18
	s_cbranch_execz .LBB8_452
.LBB8_472:
	v_cmp_ne_u16_e32 vcc_lo, 0, v4
	v_mov_b64_e32 v[2:3], 0
	s_and_not1_b32 s16, s16, exec_lo
	s_and_b32 s19, vcc_lo, exec_lo
	s_delay_alu instid0(SALU_CYCLE_1)
	s_or_b32 s16, s16, s19
	s_or_b32 exec_lo, exec_lo, s18
	s_and_saveexec_b32 s18, s16
	s_cbranch_execnz .LBB8_453
	s_branch .LBB8_454
.LBB8_473:
	s_mov_b32 s15, -1
                                        ; implicit-def: $vgpr2_vgpr3
.LBB8_474:
	s_mov_b32 s18, 0
.LBB8_475:
	s_delay_alu instid0(SALU_CYCLE_1)
	s_and_b32 vcc_lo, exec_lo, s18
	s_cbranch_vccz .LBB8_479
; %bb.476:
	s_cmp_eq_u32 s0, 11
	s_cbranch_scc0 .LBB8_478
; %bb.477:
	s_wait_loadcnt 0x0
	global_load_u8 v2, v[0:1], off
	s_mov_b32 s15, 0
	s_mov_b32 s16, -1
	s_wait_loadcnt 0x0
	v_cmp_ne_u16_e32 vcc_lo, 0, v2
	v_mov_b32_e32 v2, 0
	v_cndmask_b32_e64 v3, 0, 0x3ff00000, vcc_lo
	s_branch .LBB8_479
.LBB8_478:
	s_mov_b32 s15, -1
                                        ; implicit-def: $vgpr2_vgpr3
.LBB8_479:
	s_branch .LBB8_273
.LBB8_480:
	s_cmp_lt_i32 s0, 5
	s_cbranch_scc1 .LBB8_485
; %bb.481:
	s_cmp_lt_i32 s0, 8
	s_cbranch_scc1 .LBB8_486
; %bb.482:
	;; [unrolled: 3-line block ×3, first 2 shown]
	s_cmp_gt_i32 s0, 9
	s_cbranch_scc0 .LBB8_488
; %bb.484:
	s_wait_loadcnt 0x0
	global_load_b64 v[2:3], v[0:1], off
	s_mov_b32 s16, 0
	s_branch .LBB8_489
.LBB8_485:
	s_mov_b32 s16, -1
                                        ; implicit-def: $vgpr2_vgpr3
	s_branch .LBB8_507
.LBB8_486:
	s_mov_b32 s16, -1
                                        ; implicit-def: $vgpr2_vgpr3
	s_branch .LBB8_495
.LBB8_487:
	s_mov_b32 s16, -1
                                        ; implicit-def: $vgpr2_vgpr3
	s_branch .LBB8_492
.LBB8_488:
	s_mov_b32 s16, -1
                                        ; implicit-def: $vgpr2_vgpr3
.LBB8_489:
	s_delay_alu instid0(SALU_CYCLE_1)
	s_and_not1_b32 vcc_lo, exec_lo, s16
	s_cbranch_vccnz .LBB8_491
; %bb.490:
	s_wait_loadcnt 0x0
	global_load_b32 v2, v[0:1], off
	s_wait_loadcnt 0x0
	v_cvt_f64_f32_e32 v[2:3], v2
.LBB8_491:
	s_mov_b32 s16, 0
.LBB8_492:
	s_delay_alu instid0(SALU_CYCLE_1)
	s_and_not1_b32 vcc_lo, exec_lo, s16
	s_cbranch_vccnz .LBB8_494
; %bb.493:
	s_wait_loadcnt 0x0
	global_load_b32 v2, v[0:1], off
	s_wait_loadcnt 0x0
	v_cvt_f32_f16_e32 v2, v2
	s_delay_alu instid0(VALU_DEP_1)
	v_cvt_f64_f32_e32 v[2:3], v2
.LBB8_494:
	s_mov_b32 s16, 0
.LBB8_495:
	s_delay_alu instid0(SALU_CYCLE_1)
	s_and_not1_b32 vcc_lo, exec_lo, s16
	s_cbranch_vccnz .LBB8_506
; %bb.496:
	s_cmp_lt_i32 s0, 6
	s_cbranch_scc1 .LBB8_499
; %bb.497:
	s_cmp_gt_i32 s0, 6
	s_cbranch_scc0 .LBB8_500
; %bb.498:
	s_wait_loadcnt 0x0
	global_load_b64 v[2:3], v[0:1], off
	s_mov_b32 s16, 0
	s_branch .LBB8_501
.LBB8_499:
	s_mov_b32 s16, -1
                                        ; implicit-def: $vgpr2_vgpr3
	s_branch .LBB8_504
.LBB8_500:
	s_mov_b32 s16, -1
                                        ; implicit-def: $vgpr2_vgpr3
.LBB8_501:
	s_delay_alu instid0(SALU_CYCLE_1)
	s_and_not1_b32 vcc_lo, exec_lo, s16
	s_cbranch_vccnz .LBB8_503
; %bb.502:
	s_wait_loadcnt 0x0
	global_load_b32 v2, v[0:1], off
	s_wait_loadcnt 0x0
	v_cvt_f64_f32_e32 v[2:3], v2
.LBB8_503:
	s_mov_b32 s16, 0
.LBB8_504:
	s_delay_alu instid0(SALU_CYCLE_1)
	s_and_not1_b32 vcc_lo, exec_lo, s16
	s_cbranch_vccnz .LBB8_506
; %bb.505:
	s_wait_loadcnt 0x0
	global_load_u16 v2, v[0:1], off
	s_wait_loadcnt 0x0
	v_cvt_f32_f16_e32 v2, v2
	s_delay_alu instid0(VALU_DEP_1)
	v_cvt_f64_f32_e32 v[2:3], v2
.LBB8_506:
	s_mov_b32 s16, 0
.LBB8_507:
	s_delay_alu instid0(SALU_CYCLE_1)
	s_and_not1_b32 vcc_lo, exec_lo, s16
	s_cbranch_vccnz .LBB8_527
; %bb.508:
	s_cmp_lt_i32 s0, 2
	s_cbranch_scc1 .LBB8_512
; %bb.509:
	s_cmp_lt_i32 s0, 3
	s_cbranch_scc1 .LBB8_513
; %bb.510:
	s_cmp_gt_i32 s0, 3
	s_cbranch_scc0 .LBB8_514
; %bb.511:
	s_wait_loadcnt 0x0
	global_load_b64 v[2:3], v[0:1], off
	s_mov_b32 s16, 0
	s_wait_loadcnt 0x0
	v_cvt_f64_i32_e32 v[4:5], v3
	v_cvt_f64_u32_e32 v[2:3], v2
	s_delay_alu instid0(VALU_DEP_2) | instskip(NEXT) | instid1(VALU_DEP_1)
	v_ldexp_f64 v[4:5], v[4:5], 32
	v_add_f64_e32 v[2:3], v[4:5], v[2:3]
	s_branch .LBB8_515
.LBB8_512:
	s_mov_b32 s16, -1
                                        ; implicit-def: $vgpr2_vgpr3
	s_branch .LBB8_521
.LBB8_513:
	s_mov_b32 s16, -1
                                        ; implicit-def: $vgpr2_vgpr3
	s_branch .LBB8_518
.LBB8_514:
	s_mov_b32 s16, -1
                                        ; implicit-def: $vgpr2_vgpr3
.LBB8_515:
	s_delay_alu instid0(SALU_CYCLE_1)
	s_and_not1_b32 vcc_lo, exec_lo, s16
	s_cbranch_vccnz .LBB8_517
; %bb.516:
	s_wait_loadcnt 0x0
	global_load_b32 v2, v[0:1], off
	s_wait_loadcnt 0x0
	v_cvt_f64_i32_e32 v[2:3], v2
.LBB8_517:
	s_mov_b32 s16, 0
.LBB8_518:
	s_delay_alu instid0(SALU_CYCLE_1)
	s_and_not1_b32 vcc_lo, exec_lo, s16
	s_cbranch_vccnz .LBB8_520
; %bb.519:
	s_wait_loadcnt 0x0
	global_load_i16 v2, v[0:1], off
	s_wait_loadcnt 0x0
	v_cvt_f64_i32_e32 v[2:3], v2
.LBB8_520:
	s_mov_b32 s16, 0
.LBB8_521:
	s_delay_alu instid0(SALU_CYCLE_1)
	s_and_not1_b32 vcc_lo, exec_lo, s16
	s_cbranch_vccnz .LBB8_527
; %bb.522:
	s_cmp_gt_i32 s0, 0
	s_mov_b32 s0, 0
	s_cbranch_scc0 .LBB8_524
; %bb.523:
	s_wait_loadcnt 0x0
	global_load_i8 v2, v[0:1], off
	s_wait_loadcnt 0x0
	v_cvt_f64_i32_e32 v[2:3], v2
	s_branch .LBB8_525
.LBB8_524:
	s_mov_b32 s0, -1
                                        ; implicit-def: $vgpr2_vgpr3
.LBB8_525:
	s_delay_alu instid0(SALU_CYCLE_1)
	s_and_not1_b32 vcc_lo, exec_lo, s0
	s_cbranch_vccnz .LBB8_527
; %bb.526:
	global_load_u8 v0, v[0:1], off
	s_wait_loadcnt 0x0
	v_cvt_f64_u32_e32 v[2:3], v0
.LBB8_527:
	s_branch .LBB8_274
.LBB8_528:
	s_mov_b32 s18, 0
	s_mov_b32 s0, s11
.LBB8_529:
                                        ; implicit-def: $vgpr10
.LBB8_530:
	s_and_not1_b32 s16, s11, exec_lo
	s_and_b32 s0, s0, exec_lo
	s_and_not1_b32 s19, s13, exec_lo
	s_and_b32 s15, s15, exec_lo
	s_or_b32 s16, s16, s0
	s_or_b32 s15, s19, s15
	s_or_not1_b32 s0, s18, exec_lo
.LBB8_531:
	s_wait_xcnt 0x0
	s_or_b32 exec_lo, exec_lo, s17
	s_mov_b32 s18, 0
	s_mov_b32 s19, 0
	;; [unrolled: 1-line block ×3, first 2 shown]
                                        ; implicit-def: $vgpr0_vgpr1
                                        ; implicit-def: $vgpr2_vgpr3
	s_and_saveexec_b32 s17, s0
	s_cbranch_execz .LBB8_886
; %bb.532:
	s_mov_b32 s20, -1
	s_mov_b32 s0, s15
	s_mov_b32 s19, s16
	s_mov_b32 s18, exec_lo
	v_cmpx_gt_i32_e64 s12, v10
	s_cbranch_execz .LBB8_800
; %bb.533:
	v_mul_lo_u32 v0, v10, s3
	s_and_b32 s0, 0xffff, s9
	s_delay_alu instid0(SALU_CYCLE_1) | instskip(NEXT) | instid1(VALU_DEP_1)
	s_cmp_lt_i32 s0, 11
	v_ashrrev_i32_e32 v1, 31, v0
	s_delay_alu instid0(VALU_DEP_1)
	v_add_nc_u64_e32 v[0:1], s[6:7], v[0:1]
	s_cbranch_scc1 .LBB8_540
; %bb.534:
	s_cmp_gt_i32 s0, 25
	s_cbranch_scc0 .LBB8_541
; %bb.535:
	s_cmp_gt_i32 s0, 28
	s_cbranch_scc0 .LBB8_542
	;; [unrolled: 3-line block ×4, first 2 shown]
; %bb.538:
	s_cmp_eq_u32 s0, 46
	s_mov_b32 s21, 0
	s_cbranch_scc0 .LBB8_549
; %bb.539:
	s_wait_loadcnt 0x0
	global_load_b32 v2, v[0:1], off
	s_mov_b32 s19, 0
	s_wait_loadcnt 0x0
	v_lshlrev_b32_e32 v2, 16, v2
	s_delay_alu instid0(VALU_DEP_1)
	v_cvt_f64_f32_e32 v[2:3], v2
	s_branch .LBB8_551
.LBB8_540:
	s_mov_b32 s21, -1
	s_mov_b32 s20, 0
	s_mov_b32 s19, s15
                                        ; implicit-def: $vgpr2_vgpr3
	s_branch .LBB8_616
.LBB8_541:
	s_mov_b32 s21, -1
	s_mov_b32 s20, 0
	s_mov_b32 s19, s15
                                        ; implicit-def: $vgpr2_vgpr3
	s_branch .LBB8_580
.LBB8_542:
	s_mov_b32 s21, -1
	s_mov_b32 s20, 0
	s_mov_b32 s19, s15
                                        ; implicit-def: $vgpr2_vgpr3
	s_branch .LBB8_561
.LBB8_543:
	s_mov_b32 s21, -1
	s_mov_b32 s20, 0
	s_mov_b32 s19, s15
                                        ; implicit-def: $vgpr2_vgpr3
	s_branch .LBB8_556
.LBB8_544:
	s_and_not1_saveexec_b32 s21, s21
	s_cbranch_execz .LBB8_328
.LBB8_545:
	v_add_f32_e64 v3, 0x46000000, |v2|
	s_and_not1_b32 s20, s20, exec_lo
	s_delay_alu instid0(VALU_DEP_1) | instskip(NEXT) | instid1(VALU_DEP_1)
	v_and_b32_e32 v3, 0xff, v3
	v_cmp_ne_u32_e32 vcc_lo, 0, v3
	s_and_b32 s22, vcc_lo, exec_lo
	s_delay_alu instid0(SALU_CYCLE_1)
	s_or_b32 s20, s20, s22
	s_or_b32 exec_lo, exec_lo, s21
	v_mov_b32_e32 v6, 0
	s_and_saveexec_b32 s21, s20
	s_cbranch_execnz .LBB8_329
	s_branch .LBB8_330
.LBB8_546:
	s_mov_b32 s21, -1
	s_mov_b32 s20, 0
	s_mov_b32 s19, s15
	s_branch .LBB8_550
.LBB8_547:
	s_and_not1_saveexec_b32 s21, s21
	s_cbranch_execz .LBB8_341
.LBB8_548:
	v_add_f32_e64 v3, 0x42800000, |v2|
	s_and_not1_b32 s20, s20, exec_lo
	s_delay_alu instid0(VALU_DEP_1) | instskip(NEXT) | instid1(VALU_DEP_1)
	v_and_b32_e32 v3, 0xff, v3
	v_cmp_ne_u32_e32 vcc_lo, 0, v3
	s_and_b32 s22, vcc_lo, exec_lo
	s_delay_alu instid0(SALU_CYCLE_1)
	s_or_b32 s20, s20, s22
	s_or_b32 exec_lo, exec_lo, s21
	v_mov_b32_e32 v6, 0
	s_and_saveexec_b32 s21, s20
	s_cbranch_execnz .LBB8_342
	s_branch .LBB8_343
.LBB8_549:
	s_mov_b32 s19, -1
	s_mov_b32 s20, 0
.LBB8_550:
                                        ; implicit-def: $vgpr2_vgpr3
.LBB8_551:
	s_and_b32 vcc_lo, exec_lo, s21
	s_cbranch_vccz .LBB8_555
; %bb.552:
	s_cmp_eq_u32 s0, 44
	s_cbranch_scc0 .LBB8_554
; %bb.553:
	global_load_u8 v4, v[0:1], off
	s_mov_b32 s19, 0
	s_mov_b32 s20, -1
	s_wait_loadcnt 0x0
	v_cmp_ne_u32_e32 vcc_lo, 0xff, v4
	v_lshlrev_b32_e32 v2, 23, v4
	s_delay_alu instid0(VALU_DEP_1) | instskip(NEXT) | instid1(VALU_DEP_1)
	v_cvt_f64_f32_e32 v[2:3], v2
	v_cndmask_b32_e32 v2, 0x20000000, v2, vcc_lo
	s_delay_alu instid0(VALU_DEP_2) | instskip(SKIP_1) | instid1(VALU_DEP_2)
	v_cndmask_b32_e32 v3, 0x7ff80000, v3, vcc_lo
	v_cmp_ne_u32_e32 vcc_lo, 0, v4
	v_cndmask_b32_e32 v3, 0x38000000, v3, vcc_lo
	s_delay_alu instid0(VALU_DEP_4)
	v_cndmask_b32_e32 v2, 0, v2, vcc_lo
	s_branch .LBB8_555
.LBB8_554:
	s_mov_b32 s19, -1
                                        ; implicit-def: $vgpr2_vgpr3
.LBB8_555:
	s_mov_b32 s21, 0
.LBB8_556:
	s_delay_alu instid0(SALU_CYCLE_1)
	s_and_b32 vcc_lo, exec_lo, s21
	s_cbranch_vccz .LBB8_560
; %bb.557:
	s_cmp_eq_u32 s0, 29
	s_cbranch_scc0 .LBB8_559
; %bb.558:
	s_wait_loadcnt 0x0
	global_load_b64 v[2:3], v[0:1], off
	s_mov_b32 s20, -1
	s_mov_b32 s19, 0
	s_mov_b32 s21, 0
	s_wait_loadcnt 0x0
	v_cvt_f64_u32_e32 v[4:5], v3
	v_cvt_f64_u32_e32 v[2:3], v2
	s_delay_alu instid0(VALU_DEP_2) | instskip(NEXT) | instid1(VALU_DEP_1)
	v_ldexp_f64 v[4:5], v[4:5], 32
	v_add_f64_e32 v[2:3], v[4:5], v[2:3]
	s_branch .LBB8_561
.LBB8_559:
	s_mov_b32 s19, -1
                                        ; implicit-def: $vgpr2_vgpr3
.LBB8_560:
	s_mov_b32 s21, 0
.LBB8_561:
	s_delay_alu instid0(SALU_CYCLE_1)
	s_and_b32 vcc_lo, exec_lo, s21
	s_cbranch_vccz .LBB8_579
; %bb.562:
	s_cmp_lt_i32 s0, 27
	s_cbranch_scc1 .LBB8_565
; %bb.563:
	s_cmp_gt_i32 s0, 27
	s_cbranch_scc0 .LBB8_566
; %bb.564:
	s_wait_loadcnt 0x0
	global_load_b32 v2, v[0:1], off
	s_mov_b32 s20, 0
	s_wait_loadcnt 0x0
	v_cvt_f64_u32_e32 v[2:3], v2
	s_branch .LBB8_567
.LBB8_565:
	s_mov_b32 s20, -1
                                        ; implicit-def: $vgpr2_vgpr3
	s_branch .LBB8_570
.LBB8_566:
	s_mov_b32 s20, -1
                                        ; implicit-def: $vgpr2_vgpr3
.LBB8_567:
	s_delay_alu instid0(SALU_CYCLE_1)
	s_and_not1_b32 vcc_lo, exec_lo, s20
	s_cbranch_vccnz .LBB8_569
; %bb.568:
	s_wait_loadcnt 0x0
	global_load_u16 v2, v[0:1], off
	s_wait_loadcnt 0x0
	v_cvt_f64_u32_e32 v[2:3], v2
.LBB8_569:
	s_mov_b32 s20, 0
.LBB8_570:
	s_delay_alu instid0(SALU_CYCLE_1)
	s_and_not1_b32 vcc_lo, exec_lo, s20
	s_cbranch_vccnz .LBB8_578
; %bb.571:
	global_load_u8 v4, v[0:1], off
	s_mov_b32 s20, 0
	s_mov_b32 s21, exec_lo
	s_wait_loadcnt 0x0
	v_cmpx_lt_i16_e32 0x7f, v4
	s_xor_b32 s21, exec_lo, s21
	s_cbranch_execz .LBB8_592
; %bb.572:
	s_mov_b32 s20, -1
	s_mov_b32 s22, exec_lo
	v_cmpx_eq_u16_e32 0x80, v4
; %bb.573:
	s_xor_b32 s20, exec_lo, -1
; %bb.574:
	s_or_b32 exec_lo, exec_lo, s22
	s_delay_alu instid0(SALU_CYCLE_1)
	s_and_b32 s20, s20, exec_lo
	s_or_saveexec_b32 s21, s21
	v_mov_b64_e32 v[2:3], 0x7ff8000020000000
	s_xor_b32 exec_lo, exec_lo, s21
	s_cbranch_execnz .LBB8_593
.LBB8_575:
	s_or_b32 exec_lo, exec_lo, s21
	s_and_saveexec_b32 s21, s20
	s_cbranch_execz .LBB8_577
.LBB8_576:
	v_and_b32_e32 v2, 0xffff, v4
	s_delay_alu instid0(VALU_DEP_1) | instskip(SKIP_1) | instid1(VALU_DEP_2)
	v_and_b32_e32 v3, 7, v2
	v_bfe_u32 v7, v2, 3, 4
	v_clz_i32_u32_e32 v5, v3
	s_delay_alu instid0(VALU_DEP_2) | instskip(NEXT) | instid1(VALU_DEP_2)
	v_cmp_eq_u32_e32 vcc_lo, 0, v7
	v_min_u32_e32 v5, 32, v5
	s_delay_alu instid0(VALU_DEP_1) | instskip(NEXT) | instid1(VALU_DEP_1)
	v_subrev_nc_u32_e32 v6, 28, v5
	v_dual_lshlrev_b32 v2, v6, v2 :: v_dual_sub_nc_u32 v5, 29, v5
	s_delay_alu instid0(VALU_DEP_1) | instskip(NEXT) | instid1(VALU_DEP_2)
	v_dual_lshlrev_b32 v4, 24, v4 :: v_dual_bitop2_b32 v2, 7, v2 bitop3:0x40
	v_cndmask_b32_e32 v5, v7, v5, vcc_lo
	s_delay_alu instid0(VALU_DEP_2) | instskip(NEXT) | instid1(VALU_DEP_3)
	v_cndmask_b32_e32 v2, v3, v2, vcc_lo
	v_and_b32_e32 v3, 0x80000000, v4
	s_delay_alu instid0(VALU_DEP_3) | instskip(NEXT) | instid1(VALU_DEP_3)
	v_lshl_add_u32 v4, v5, 23, 0x3b800000
	v_lshlrev_b32_e32 v2, 20, v2
	s_delay_alu instid0(VALU_DEP_1) | instskip(NEXT) | instid1(VALU_DEP_1)
	v_or3_b32 v2, v3, v4, v2
	v_cvt_f64_f32_e32 v[2:3], v2
.LBB8_577:
	s_or_b32 exec_lo, exec_lo, s21
.LBB8_578:
	s_mov_b32 s20, -1
.LBB8_579:
	s_mov_b32 s21, 0
.LBB8_580:
	s_delay_alu instid0(SALU_CYCLE_1)
	s_and_b32 vcc_lo, exec_lo, s21
	s_cbranch_vccz .LBB8_615
; %bb.581:
	s_cmp_gt_i32 s0, 22
	s_cbranch_scc0 .LBB8_591
; %bb.582:
	s_cmp_lt_i32 s0, 24
	s_cbranch_scc1 .LBB8_594
; %bb.583:
	s_cmp_gt_i32 s0, 24
	s_cbranch_scc0 .LBB8_595
; %bb.584:
	global_load_u8 v4, v[0:1], off
	s_mov_b32 s20, 0
	s_mov_b32 s21, exec_lo
	s_wait_loadcnt 0x0
	v_cmpx_lt_i16_e32 0x7f, v4
	s_xor_b32 s21, exec_lo, s21
	s_cbranch_execz .LBB8_607
; %bb.585:
	s_mov_b32 s20, -1
	s_mov_b32 s22, exec_lo
	v_cmpx_eq_u16_e32 0x80, v4
; %bb.586:
	s_xor_b32 s20, exec_lo, -1
; %bb.587:
	s_or_b32 exec_lo, exec_lo, s22
	s_delay_alu instid0(SALU_CYCLE_1)
	s_and_b32 s20, s20, exec_lo
	s_or_saveexec_b32 s21, s21
	v_mov_b64_e32 v[2:3], 0x7ff8000020000000
	s_xor_b32 exec_lo, exec_lo, s21
	s_cbranch_execnz .LBB8_608
.LBB8_588:
	s_or_b32 exec_lo, exec_lo, s21
	s_and_saveexec_b32 s21, s20
	s_cbranch_execz .LBB8_590
.LBB8_589:
	v_and_b32_e32 v2, 0xffff, v4
	s_delay_alu instid0(VALU_DEP_1) | instskip(SKIP_1) | instid1(VALU_DEP_2)
	v_and_b32_e32 v3, 3, v2
	v_bfe_u32 v7, v2, 2, 5
	v_clz_i32_u32_e32 v5, v3
	s_delay_alu instid0(VALU_DEP_2) | instskip(NEXT) | instid1(VALU_DEP_2)
	v_cmp_eq_u32_e32 vcc_lo, 0, v7
	v_min_u32_e32 v5, 32, v5
	s_delay_alu instid0(VALU_DEP_1) | instskip(NEXT) | instid1(VALU_DEP_1)
	v_subrev_nc_u32_e32 v6, 29, v5
	v_dual_lshlrev_b32 v2, v6, v2 :: v_dual_sub_nc_u32 v5, 30, v5
	s_delay_alu instid0(VALU_DEP_1) | instskip(NEXT) | instid1(VALU_DEP_2)
	v_dual_lshlrev_b32 v4, 24, v4 :: v_dual_bitop2_b32 v2, 3, v2 bitop3:0x40
	v_cndmask_b32_e32 v5, v7, v5, vcc_lo
	s_delay_alu instid0(VALU_DEP_2) | instskip(NEXT) | instid1(VALU_DEP_3)
	v_cndmask_b32_e32 v2, v3, v2, vcc_lo
	v_and_b32_e32 v3, 0x80000000, v4
	s_delay_alu instid0(VALU_DEP_3) | instskip(NEXT) | instid1(VALU_DEP_3)
	v_lshl_add_u32 v4, v5, 23, 0x37800000
	v_lshlrev_b32_e32 v2, 21, v2
	s_delay_alu instid0(VALU_DEP_1) | instskip(NEXT) | instid1(VALU_DEP_1)
	v_or3_b32 v2, v3, v4, v2
	v_cvt_f64_f32_e32 v[2:3], v2
.LBB8_590:
	s_or_b32 exec_lo, exec_lo, s21
	s_mov_b32 s20, 0
	s_branch .LBB8_596
.LBB8_591:
	s_mov_b32 s21, -1
                                        ; implicit-def: $vgpr2_vgpr3
	s_branch .LBB8_602
.LBB8_592:
	s_or_saveexec_b32 s21, s21
	v_mov_b64_e32 v[2:3], 0x7ff8000020000000
	s_xor_b32 exec_lo, exec_lo, s21
	s_cbranch_execz .LBB8_575
.LBB8_593:
	v_cmp_ne_u16_e32 vcc_lo, 0, v4
	v_mov_b64_e32 v[2:3], 0
	s_and_not1_b32 s20, s20, exec_lo
	s_and_b32 s22, vcc_lo, exec_lo
	s_delay_alu instid0(SALU_CYCLE_1)
	s_or_b32 s20, s20, s22
	s_or_b32 exec_lo, exec_lo, s21
	s_and_saveexec_b32 s21, s20
	s_cbranch_execnz .LBB8_576
	s_branch .LBB8_577
.LBB8_594:
	s_mov_b32 s20, -1
                                        ; implicit-def: $vgpr2_vgpr3
	s_branch .LBB8_599
.LBB8_595:
	s_mov_b32 s20, -1
                                        ; implicit-def: $vgpr2_vgpr3
.LBB8_596:
	s_delay_alu instid0(SALU_CYCLE_1)
	s_and_b32 vcc_lo, exec_lo, s20
	s_cbranch_vccz .LBB8_598
; %bb.597:
	s_wait_loadcnt 0x0
	global_load_u8 v2, v[0:1], off
	s_wait_loadcnt 0x0
	v_lshlrev_b32_e32 v2, 24, v2
	s_delay_alu instid0(VALU_DEP_1) | instskip(NEXT) | instid1(VALU_DEP_1)
	v_and_b32_e32 v3, 0x7f000000, v2
	v_clz_i32_u32_e32 v4, v3
	v_cmp_ne_u32_e32 vcc_lo, 0, v3
	v_add_nc_u32_e32 v6, 0x1000000, v3
	s_delay_alu instid0(VALU_DEP_3) | instskip(NEXT) | instid1(VALU_DEP_1)
	v_min_u32_e32 v4, 32, v4
	v_sub_nc_u32_e64 v4, v4, 4 clamp
	s_delay_alu instid0(VALU_DEP_1) | instskip(NEXT) | instid1(VALU_DEP_1)
	v_dual_lshlrev_b32 v5, v4, v3 :: v_dual_lshlrev_b32 v4, 23, v4
	v_lshrrev_b32_e32 v5, 4, v5
	s_delay_alu instid0(VALU_DEP_1) | instskip(NEXT) | instid1(VALU_DEP_1)
	v_dual_sub_nc_u32 v4, v5, v4 :: v_dual_ashrrev_i32 v5, 8, v6
	v_add_nc_u32_e32 v4, 0x3c000000, v4
	s_delay_alu instid0(VALU_DEP_1) | instskip(NEXT) | instid1(VALU_DEP_1)
	v_and_or_b32 v4, 0x7f800000, v5, v4
	v_cndmask_b32_e32 v3, 0, v4, vcc_lo
	s_delay_alu instid0(VALU_DEP_1) | instskip(NEXT) | instid1(VALU_DEP_1)
	v_and_or_b32 v2, 0x80000000, v2, v3
	v_cvt_f64_f32_e32 v[2:3], v2
.LBB8_598:
	s_mov_b32 s20, 0
.LBB8_599:
	s_delay_alu instid0(SALU_CYCLE_1)
	s_and_not1_b32 vcc_lo, exec_lo, s20
	s_cbranch_vccnz .LBB8_601
; %bb.600:
	s_wait_loadcnt 0x0
	global_load_u8 v2, v[0:1], off
	s_wait_loadcnt 0x0
	v_lshlrev_b32_e32 v3, 25, v2
	v_lshlrev_b16 v2, 8, v2
	s_delay_alu instid0(VALU_DEP_1) | instskip(SKIP_1) | instid1(VALU_DEP_2)
	v_and_or_b32 v5, 0x7f00, v2, 0.5
	v_bfe_i32 v2, v2, 0, 16
	v_dual_add_f32 v5, -0.5, v5 :: v_dual_lshrrev_b32 v4, 4, v3
	v_cmp_gt_u32_e32 vcc_lo, 0x8000000, v3
	s_delay_alu instid0(VALU_DEP_2) | instskip(NEXT) | instid1(VALU_DEP_1)
	v_or_b32_e32 v4, 0x70000000, v4
	v_mul_f32_e32 v4, 0x7800000, v4
	s_delay_alu instid0(VALU_DEP_1) | instskip(NEXT) | instid1(VALU_DEP_1)
	v_cndmask_b32_e32 v3, v4, v5, vcc_lo
	v_and_or_b32 v2, 0x80000000, v2, v3
	s_delay_alu instid0(VALU_DEP_1)
	v_cvt_f64_f32_e32 v[2:3], v2
.LBB8_601:
	s_mov_b32 s21, 0
	s_mov_b32 s20, -1
.LBB8_602:
	s_and_not1_b32 vcc_lo, exec_lo, s21
	s_cbranch_vccnz .LBB8_615
; %bb.603:
	s_cmp_gt_i32 s0, 14
	s_cbranch_scc0 .LBB8_606
; %bb.604:
	s_cmp_eq_u32 s0, 15
	s_cbranch_scc0 .LBB8_609
; %bb.605:
	s_wait_loadcnt 0x0
	global_load_u16 v2, v[0:1], off
	s_mov_b32 s20, -1
	s_mov_b32 s19, 0
	s_wait_loadcnt 0x0
	v_lshlrev_b32_e32 v2, 16, v2
	s_delay_alu instid0(VALU_DEP_1)
	v_cvt_f64_f32_e32 v[2:3], v2
	s_branch .LBB8_610
.LBB8_606:
	s_mov_b32 s21, -1
                                        ; implicit-def: $vgpr2_vgpr3
	s_branch .LBB8_611
.LBB8_607:
	s_or_saveexec_b32 s21, s21
	v_mov_b64_e32 v[2:3], 0x7ff8000020000000
	s_xor_b32 exec_lo, exec_lo, s21
	s_cbranch_execz .LBB8_588
.LBB8_608:
	v_cmp_ne_u16_e32 vcc_lo, 0, v4
	v_mov_b64_e32 v[2:3], 0
	s_and_not1_b32 s20, s20, exec_lo
	s_and_b32 s22, vcc_lo, exec_lo
	s_delay_alu instid0(SALU_CYCLE_1)
	s_or_b32 s20, s20, s22
	s_or_b32 exec_lo, exec_lo, s21
	s_and_saveexec_b32 s21, s20
	s_cbranch_execnz .LBB8_589
	s_branch .LBB8_590
.LBB8_609:
	s_mov_b32 s19, -1
                                        ; implicit-def: $vgpr2_vgpr3
.LBB8_610:
	s_mov_b32 s21, 0
.LBB8_611:
	s_delay_alu instid0(SALU_CYCLE_1)
	s_and_b32 vcc_lo, exec_lo, s21
	s_cbranch_vccz .LBB8_615
; %bb.612:
	s_cmp_eq_u32 s0, 11
	s_cbranch_scc0 .LBB8_614
; %bb.613:
	s_wait_loadcnt 0x0
	global_load_u8 v2, v[0:1], off
	s_mov_b32 s19, 0
	s_mov_b32 s20, -1
	s_wait_loadcnt 0x0
	v_cmp_ne_u16_e32 vcc_lo, 0, v2
	v_mov_b32_e32 v2, 0
	v_cndmask_b32_e64 v3, 0, 0x3ff00000, vcc_lo
	s_branch .LBB8_615
.LBB8_614:
	s_mov_b32 s19, -1
                                        ; implicit-def: $vgpr2_vgpr3
.LBB8_615:
	s_mov_b32 s21, 0
.LBB8_616:
	s_delay_alu instid0(SALU_CYCLE_1)
	s_and_b32 vcc_lo, exec_lo, s21
	s_cbranch_vccz .LBB8_665
; %bb.617:
	s_cmp_lt_i32 s0, 5
	s_cbranch_scc1 .LBB8_622
; %bb.618:
	s_cmp_lt_i32 s0, 8
	s_cbranch_scc1 .LBB8_623
	;; [unrolled: 3-line block ×3, first 2 shown]
; %bb.620:
	s_cmp_gt_i32 s0, 9
	s_cbranch_scc0 .LBB8_625
; %bb.621:
	s_wait_loadcnt 0x0
	global_load_b64 v[2:3], v[0:1], off
	s_mov_b32 s20, 0
	s_branch .LBB8_626
.LBB8_622:
	s_mov_b32 s20, -1
                                        ; implicit-def: $vgpr2_vgpr3
	s_branch .LBB8_644
.LBB8_623:
	s_mov_b32 s20, -1
                                        ; implicit-def: $vgpr2_vgpr3
	s_branch .LBB8_632
.LBB8_624:
	s_mov_b32 s20, -1
                                        ; implicit-def: $vgpr2_vgpr3
	s_branch .LBB8_629
.LBB8_625:
	s_mov_b32 s20, -1
                                        ; implicit-def: $vgpr2_vgpr3
.LBB8_626:
	s_delay_alu instid0(SALU_CYCLE_1)
	s_and_not1_b32 vcc_lo, exec_lo, s20
	s_cbranch_vccnz .LBB8_628
; %bb.627:
	s_wait_loadcnt 0x0
	global_load_b32 v2, v[0:1], off
	s_wait_loadcnt 0x0
	v_cvt_f64_f32_e32 v[2:3], v2
.LBB8_628:
	s_mov_b32 s20, 0
.LBB8_629:
	s_delay_alu instid0(SALU_CYCLE_1)
	s_and_not1_b32 vcc_lo, exec_lo, s20
	s_cbranch_vccnz .LBB8_631
; %bb.630:
	s_wait_loadcnt 0x0
	global_load_b32 v2, v[0:1], off
	s_wait_loadcnt 0x0
	v_cvt_f32_f16_e32 v2, v2
	s_delay_alu instid0(VALU_DEP_1)
	v_cvt_f64_f32_e32 v[2:3], v2
.LBB8_631:
	s_mov_b32 s20, 0
.LBB8_632:
	s_delay_alu instid0(SALU_CYCLE_1)
	s_and_not1_b32 vcc_lo, exec_lo, s20
	s_cbranch_vccnz .LBB8_643
; %bb.633:
	s_cmp_lt_i32 s0, 6
	s_cbranch_scc1 .LBB8_636
; %bb.634:
	s_cmp_gt_i32 s0, 6
	s_cbranch_scc0 .LBB8_637
; %bb.635:
	s_wait_loadcnt 0x0
	global_load_b64 v[2:3], v[0:1], off
	s_mov_b32 s20, 0
	s_branch .LBB8_638
.LBB8_636:
	s_mov_b32 s20, -1
                                        ; implicit-def: $vgpr2_vgpr3
	s_branch .LBB8_641
.LBB8_637:
	s_mov_b32 s20, -1
                                        ; implicit-def: $vgpr2_vgpr3
.LBB8_638:
	s_delay_alu instid0(SALU_CYCLE_1)
	s_and_not1_b32 vcc_lo, exec_lo, s20
	s_cbranch_vccnz .LBB8_640
; %bb.639:
	s_wait_loadcnt 0x0
	global_load_b32 v2, v[0:1], off
	s_wait_loadcnt 0x0
	v_cvt_f64_f32_e32 v[2:3], v2
.LBB8_640:
	s_mov_b32 s20, 0
.LBB8_641:
	s_delay_alu instid0(SALU_CYCLE_1)
	s_and_not1_b32 vcc_lo, exec_lo, s20
	s_cbranch_vccnz .LBB8_643
; %bb.642:
	s_wait_loadcnt 0x0
	global_load_u16 v2, v[0:1], off
	s_wait_loadcnt 0x0
	v_cvt_f32_f16_e32 v2, v2
	s_delay_alu instid0(VALU_DEP_1)
	v_cvt_f64_f32_e32 v[2:3], v2
.LBB8_643:
	s_mov_b32 s20, 0
.LBB8_644:
	s_delay_alu instid0(SALU_CYCLE_1)
	s_and_not1_b32 vcc_lo, exec_lo, s20
	s_cbranch_vccnz .LBB8_664
; %bb.645:
	s_cmp_lt_i32 s0, 2
	s_cbranch_scc1 .LBB8_649
; %bb.646:
	s_cmp_lt_i32 s0, 3
	s_cbranch_scc1 .LBB8_650
; %bb.647:
	s_cmp_gt_i32 s0, 3
	s_cbranch_scc0 .LBB8_651
; %bb.648:
	s_wait_loadcnt 0x0
	global_load_b64 v[2:3], v[0:1], off
	s_mov_b32 s20, 0
	s_wait_loadcnt 0x0
	v_cvt_f64_i32_e32 v[4:5], v3
	v_cvt_f64_u32_e32 v[2:3], v2
	s_delay_alu instid0(VALU_DEP_2) | instskip(NEXT) | instid1(VALU_DEP_1)
	v_ldexp_f64 v[4:5], v[4:5], 32
	v_add_f64_e32 v[2:3], v[4:5], v[2:3]
	s_branch .LBB8_652
.LBB8_649:
	s_mov_b32 s20, -1
                                        ; implicit-def: $vgpr2_vgpr3
	s_branch .LBB8_658
.LBB8_650:
	s_mov_b32 s20, -1
                                        ; implicit-def: $vgpr2_vgpr3
	s_branch .LBB8_655
.LBB8_651:
	s_mov_b32 s20, -1
                                        ; implicit-def: $vgpr2_vgpr3
.LBB8_652:
	s_delay_alu instid0(SALU_CYCLE_1)
	s_and_not1_b32 vcc_lo, exec_lo, s20
	s_cbranch_vccnz .LBB8_654
; %bb.653:
	s_wait_loadcnt 0x0
	global_load_b32 v2, v[0:1], off
	s_wait_loadcnt 0x0
	v_cvt_f64_i32_e32 v[2:3], v2
.LBB8_654:
	s_mov_b32 s20, 0
.LBB8_655:
	s_delay_alu instid0(SALU_CYCLE_1)
	s_and_not1_b32 vcc_lo, exec_lo, s20
	s_cbranch_vccnz .LBB8_657
; %bb.656:
	s_wait_loadcnt 0x0
	global_load_i16 v2, v[0:1], off
	s_wait_loadcnt 0x0
	v_cvt_f64_i32_e32 v[2:3], v2
.LBB8_657:
	s_mov_b32 s20, 0
.LBB8_658:
	s_delay_alu instid0(SALU_CYCLE_1)
	s_and_not1_b32 vcc_lo, exec_lo, s20
	s_cbranch_vccnz .LBB8_664
; %bb.659:
	s_cmp_gt_i32 s0, 0
	s_mov_b32 s0, 0
	s_cbranch_scc0 .LBB8_661
; %bb.660:
	s_wait_loadcnt 0x0
	global_load_i8 v2, v[0:1], off
	s_wait_loadcnt 0x0
	v_cvt_f64_i32_e32 v[2:3], v2
	s_branch .LBB8_662
.LBB8_661:
	s_mov_b32 s0, -1
                                        ; implicit-def: $vgpr2_vgpr3
.LBB8_662:
	s_delay_alu instid0(SALU_CYCLE_1)
	s_and_not1_b32 vcc_lo, exec_lo, s0
	s_cbranch_vccnz .LBB8_664
; %bb.663:
	global_load_u8 v0, v[0:1], off
	s_wait_loadcnt 0x0
	v_cvt_f64_u32_e32 v[2:3], v0
.LBB8_664:
	s_mov_b32 s20, -1
.LBB8_665:
	s_delay_alu instid0(SALU_CYCLE_1)
	s_and_not1_b32 vcc_lo, exec_lo, s20
	s_cbranch_vccnz .LBB8_681
; %bb.666:
	s_wait_xcnt 0x0
	v_mov_b64_e32 v[0:1], 0x7ff0000000000000
	s_mov_b32 s20, exec_lo
	s_wait_loadcnt 0x0
	s_delay_alu instid0(VALU_DEP_2)
	v_cmpx_neq_f64_e32 0, v[2:3]
	s_cbranch_execz .LBB8_674
; %bb.667:
	v_mov_b64_e32 v[0:1], 0x7ff8000000000000
	s_mov_b32 s21, exec_lo
	v_cmpx_ngt_f64_e32 0, v[2:3]
	s_cbranch_execz .LBB8_673
; %bb.668:
                                        ; implicit-def: $vgpr0_vgpr1
	s_mov_b32 s0, exec_lo
	v_cmpx_ge_f64_e32 2.0, v[2:3]
	s_xor_b32 s22, exec_lo, s0
	s_cbranch_execz .LBB8_670
; %bb.669:
	v_fma_f64 v[0:1], v[2:3], 0.5, -2.0
	s_mov_b64 s[24:25], 0xbc545cb72134d0ef
	v_mul_f64_e32 v[8:9], 0.5, v[2:3]
	s_delay_alu instid0(VALU_DEP_2) | instskip(SKIP_1) | instid1(VALU_DEP_2)
	v_fmaak_f64 v[4:5], s[24:25], v[0:1], 0x3c833362977da589
	s_mov_b64 s[24:25], 0x3fe5555555555555
	v_frexp_mant_f64_e32 v[12:13], v[8:9]
	v_cmp_neq_f64_e64 s0, 0, v[8:9]
	s_delay_alu instid0(VALU_DEP_3) | instskip(NEXT) | instid1(VALU_DEP_1)
	v_fmaak_f64 v[6:7], v[0:1], v[4:5], 0x3c545cb72134d0ef
	v_add_f64_e32 v[6:7], 0xbcb184eb721ebbb4, v[6:7]
	s_delay_alu instid0(VALU_DEP_4) | instskip(SKIP_1) | instid1(VALU_DEP_2)
	v_cmp_gt_f64_e32 vcc_lo, s[24:25], v[12:13]
	s_mov_b64 s[24:25], 0x3fc3ab76bf559e2b
	v_fma_f64 v[4:5], v[0:1], v[6:7], -v[4:5]
	v_cndmask_b32_e64 v11, 0, 1, vcc_lo
	s_delay_alu instid0(VALU_DEP_1) | instskip(SKIP_1) | instid1(VALU_DEP_4)
	v_ldexp_f64 v[12:13], v[12:13], v11
	v_frexp_exp_i32_f64_e32 v11, v[8:9]
	v_add_f64_e32 v[4:5], 0x3cdee6d893f65eba, v[4:5]
	s_delay_alu instid0(VALU_DEP_3) | instskip(SKIP_1) | instid1(VALU_DEP_4)
	v_add_f64_e32 v[14:15], 1.0, v[12:13]
	v_add_f64_e32 v[20:21], -1.0, v[12:13]
	v_subrev_co_ci_u32_e64 v11, null, 0, v11, vcc_lo
	v_cmp_neq_f64_e32 vcc_lo, 0x7ff00000, v[8:9]
	v_fma_f64 v[6:7], v[0:1], v[4:5], -v[6:7]
	v_rcp_f64_e32 v[16:17], v[14:15]
	v_add_f64_e32 v[22:23], -1.0, v[14:15]
	s_delay_alu instid0(VALU_DEP_2) | instskip(NEXT) | instid1(VALU_DEP_2)
	v_add_f64_e32 v[6:7], 0xbd0a5022c297fbeb, v[6:7]
	v_add_f64_e64 v[12:13], v[12:13], -v[22:23]
	s_delay_alu instid0(TRANS32_DEP_1) | instskip(NEXT) | instid1(VALU_DEP_3)
	v_fma_f64 v[18:19], -v[14:15], v[16:17], 1.0
	v_fma_f64 v[4:5], v[0:1], v[6:7], -v[4:5]
	s_delay_alu instid0(VALU_DEP_2) | instskip(NEXT) | instid1(VALU_DEP_2)
	v_fmac_f64_e32 v[16:17], v[18:19], v[16:17]
	v_add_f64_e32 v[4:5], 0x3d359b464b262627, v[4:5]
	s_delay_alu instid0(VALU_DEP_2) | instskip(NEXT) | instid1(VALU_DEP_2)
	v_fma_f64 v[18:19], -v[14:15], v[16:17], 1.0
	v_fma_f64 v[6:7], v[0:1], v[4:5], -v[6:7]
	s_delay_alu instid0(VALU_DEP_2) | instskip(NEXT) | instid1(VALU_DEP_2)
	v_fmac_f64_e32 v[16:17], v[18:19], v[16:17]
	v_add_f64_e32 v[6:7], 0xbd61164c62ee1af0, v[6:7]
	s_delay_alu instid0(VALU_DEP_2) | instskip(NEXT) | instid1(VALU_DEP_2)
	v_mul_f64_e32 v[18:19], v[20:21], v[16:17]
	v_fma_f64 v[4:5], v[0:1], v[6:7], -v[4:5]
	s_delay_alu instid0(VALU_DEP_2) | instskip(NEXT) | instid1(VALU_DEP_2)
	v_mul_f64_e32 v[24:25], v[14:15], v[18:19]
	v_add_f64_e32 v[4:5], 0x3d89fe2fe19bd324, v[4:5]
	s_delay_alu instid0(VALU_DEP_2) | instskip(NEXT) | instid1(VALU_DEP_2)
	v_fma_f64 v[14:15], v[18:19], v[14:15], -v[24:25]
	v_fma_f64 v[6:7], v[0:1], v[4:5], -v[6:7]
	s_delay_alu instid0(VALU_DEP_2) | instskip(NEXT) | instid1(VALU_DEP_2)
	v_fmac_f64_e32 v[14:15], v[18:19], v[12:13]
	v_add_f64_e32 v[6:7], 0xbdb2fc957a946abc, v[6:7]
	s_delay_alu instid0(VALU_DEP_2) | instskip(NEXT) | instid1(VALU_DEP_2)
	v_add_f64_e32 v[12:13], v[24:25], v[14:15]
	v_fma_f64 v[4:5], v[0:1], v[6:7], -v[4:5]
	s_delay_alu instid0(VALU_DEP_2) | instskip(NEXT) | instid1(VALU_DEP_2)
	v_add_f64_e64 v[22:23], v[20:21], -v[12:13]
	v_add_f64_e32 v[4:5], 0x3dda98becc743c10, v[4:5]
	v_add_f64_e64 v[24:25], v[12:13], -v[24:25]
	s_delay_alu instid0(VALU_DEP_3) | instskip(NEXT) | instid1(VALU_DEP_3)
	v_add_f64_e64 v[20:21], v[20:21], -v[22:23]
	v_fma_f64 v[6:7], v[0:1], v[4:5], -v[6:7]
	s_delay_alu instid0(VALU_DEP_3) | instskip(SKIP_1) | instid1(VALU_DEP_4)
	v_add_f64_e64 v[14:15], v[24:25], -v[14:15]
	v_cvt_f64_i32_e32 v[24:25], v11
	v_add_f64_e64 v[12:13], v[20:21], -v[12:13]
	s_delay_alu instid0(VALU_DEP_4) | instskip(NEXT) | instid1(VALU_DEP_3)
	v_add_f64_e32 v[6:7], 0xbe01d4fe13ae9556, v[6:7]
	v_mul_f64_e32 v[26:27], 0x3fe62e42fefa39ef, v[24:25]
	s_delay_alu instid0(VALU_DEP_3) | instskip(NEXT) | instid1(VALU_DEP_3)
	v_add_f64_e32 v[12:13], v[14:15], v[12:13]
	v_fma_f64 v[4:5], v[0:1], v[6:7], -v[4:5]
	s_delay_alu instid0(VALU_DEP_2) | instskip(NEXT) | instid1(VALU_DEP_2)
	v_add_f64_e32 v[12:13], v[22:23], v[12:13]
	v_add_f64_e32 v[4:5], 0x3e26d903a454cb34, v[4:5]
	s_delay_alu instid0(VALU_DEP_2) | instskip(NEXT) | instid1(VALU_DEP_2)
	v_mul_f64_e32 v[12:13], v[16:17], v[12:13]
	v_fma_f64 v[6:7], v[0:1], v[4:5], -v[6:7]
	s_delay_alu instid0(VALU_DEP_2) | instskip(NEXT) | instid1(VALU_DEP_2)
	v_add_f64_e32 v[14:15], v[18:19], v[12:13]
	v_add_f64_e32 v[6:7], 0xbe4beaf68c0b30ab, v[6:7]
	s_delay_alu instid0(VALU_DEP_2) | instskip(NEXT) | instid1(VALU_DEP_2)
	v_mul_f64_e32 v[16:17], v[14:15], v[14:15]
	v_fma_f64 v[4:5], v[0:1], v[6:7], -v[4:5]
	s_delay_alu instid0(VALU_DEP_2) | instskip(NEXT) | instid1(VALU_DEP_2)
	v_fmaak_f64 v[20:21], s[24:25], v[16:17], 0x3fc385386b47b09a
	v_add_f64_e32 v[4:5], 0x3e703b769d4d6435, v[4:5]
	v_mul_f64_e32 v[22:23], v[14:15], v[16:17]
	s_mov_b64 s[24:25], 0x3ca3cee1e6a7fd77
	s_delay_alu instid0(VALU_DEP_3) | instskip(NEXT) | instid1(VALU_DEP_1)
	v_fmaak_f64 v[20:21], v[16:17], v[20:21], 0x3fc7474dd7f4df2e
	v_fmaak_f64 v[20:21], v[16:17], v[20:21], 0x3fcc71c016291751
	s_delay_alu instid0(VALU_DEP_1) | instskip(NEXT) | instid1(VALU_DEP_1)
	v_fmaak_f64 v[20:21], v[16:17], v[20:21], 0x3fd249249b27acf1
	v_fmaak_f64 v[20:21], v[16:17], v[20:21], 0x3fd99999998ef7b6
	v_fma_f64 v[6:7], v[0:1], v[4:5], -v[6:7]
	s_delay_alu instid0(VALU_DEP_2) | instskip(SKIP_2) | instid1(VALU_DEP_3)
	v_fmaak_f64 v[16:17], v[16:17], v[20:21], 0x3fe5555555555780
	v_ldexp_f64 v[20:21], v[14:15], 1
	v_add_f64_e64 v[14:15], v[14:15], -v[18:19]
	v_mul_f64_e32 v[16:17], v[22:23], v[16:17]
	v_fma_f64 v[22:23], v[2:3], v[2:3], -2.0
	v_add_f64_e32 v[6:7], 0xbe91ec638f227f8d, v[6:7]
	s_delay_alu instid0(VALU_DEP_4) | instskip(NEXT) | instid1(VALU_DEP_4)
	v_add_f64_e64 v[12:13], v[12:13], -v[14:15]
	v_add_f64_e32 v[18:19], v[20:21], v[16:17]
	s_delay_alu instid0(VALU_DEP_3) | instskip(NEXT) | instid1(VALU_DEP_3)
	v_fma_f64 v[4:5], v[0:1], v[6:7], -v[4:5]
	v_ldexp_f64 v[12:13], v[12:13], 1
	s_delay_alu instid0(VALU_DEP_3) | instskip(SKIP_2) | instid1(VALU_DEP_1)
	v_add_f64_e64 v[14:15], v[18:19], -v[20:21]
	v_fmaak_f64 v[20:21], s[24:25], v[22:23], 0x3d27fb0ac384c2aa
	s_mov_b64 s[24:25], 0x3fe62e42fefa39ef
	v_fmaak_f64 v[28:29], v[22:23], v[20:21], 0xbca3cee1e6a7fd77
	v_add_f64_e32 v[4:5], 0x3eb2bf24978cf4ac, v[4:5]
	s_delay_alu instid0(VALU_DEP_4) | instskip(NEXT) | instid1(VALU_DEP_3)
	v_add_f64_e64 v[14:15], v[16:17], -v[14:15]
	v_add_f64_e32 v[16:17], 0x3da6c25c47512144, v[28:29]
	v_fma_f64 v[28:29], v[24:25], s[24:25], -v[26:27]
	s_mov_b64 s[24:25], 0x3e5ade156a5dcb37
	s_delay_alu instid0(VALU_DEP_4) | instskip(NEXT) | instid1(VALU_DEP_4)
	v_fma_f64 v[6:7], v[0:1], v[4:5], -v[6:7]
	v_add_f64_e32 v[12:13], v[12:13], v[14:15]
	s_delay_alu instid0(VALU_DEP_4) | instskip(NEXT) | instid1(VALU_DEP_4)
	v_fma_f64 v[14:15], v[22:23], v[16:17], -v[20:21]
	v_fmamk_f64 v[20:21], v[24:25], 0x3c7abc9e3b39803f, v[28:29]
	s_delay_alu instid0(VALU_DEP_1) | instskip(SKIP_3) | instid1(VALU_DEP_4)
	v_add_f64_e32 v[28:29], v[26:27], v[20:21]
	v_add_f64_e32 v[6:7], 0xbed2866fcba56427, v[6:7]
	v_add_f64_e32 v[24:25], v[18:19], v[12:13]
	v_add_f64_e32 v[14:15], 0x3e205c1367e58a13, v[14:15]
	v_add_f64_e64 v[26:27], v[28:29], -v[26:27]
	s_delay_alu instid0(VALU_DEP_4) | instskip(NEXT) | instid1(VALU_DEP_4)
	v_fma_f64 v[4:5], v[0:1], v[6:7], -v[4:5]
	v_add_f64_e32 v[30:31], v[28:29], v[24:25]
	s_delay_alu instid0(VALU_DEP_4) | instskip(SKIP_1) | instid1(VALU_DEP_4)
	v_fma_f64 v[16:17], v[22:23], v[14:15], -v[16:17]
	v_add_f64_e64 v[18:19], v[24:25], -v[18:19]
	v_add_f64_e32 v[4:5], 0x3ef13f58be9a2859, v[4:5]
	s_delay_alu instid0(VALU_DEP_4) | instskip(NEXT) | instid1(VALU_DEP_4)
	v_add_f64_e64 v[32:33], v[30:31], -v[28:29]
	v_add_f64_e32 v[16:17], 0x3e9102bce7f95efc, v[16:17]
	s_delay_alu instid0(VALU_DEP_4)
	v_add_f64_e64 v[12:13], v[12:13], -v[18:19]
	v_add_f64_e64 v[18:19], v[20:21], -v[26:27]
	v_mul_f64_e32 v[26:27], 0x3ff71547652b82fe, v[2:3]
	v_fma_f64 v[6:7], v[0:1], v[4:5], -v[6:7]
	v_add_f64_e64 v[34:35], v[30:31], -v[32:33]
	v_fma_f64 v[14:15], v[22:23], v[16:17], -v[14:15]
	v_add_f64_e64 v[24:25], v[24:25], -v[32:33]
	s_delay_alu instid0(VALU_DEP_4) | instskip(NEXT) | instid1(VALU_DEP_4)
	v_add_f64_e32 v[6:7], 0xbf0e2b2659c41d5a, v[6:7]
	v_add_f64_e64 v[20:21], v[28:29], -v[34:35]
	s_delay_alu instid0(VALU_DEP_4) | instskip(SKIP_1) | instid1(VALU_DEP_4)
	v_add_f64_e32 v[14:15], 0x3ef7f900fe8cfca0, v[14:15]
	v_add_f64_e32 v[28:29], v[18:19], v[12:13]
	v_fma_f64 v[4:5], v[0:1], v[6:7], -v[4:5]
	s_delay_alu instid0(VALU_DEP_4) | instskip(NEXT) | instid1(VALU_DEP_4)
	v_add_f64_e32 v[20:21], v[24:25], v[20:21]
	v_fma_f64 v[16:17], v[22:23], v[14:15], -v[16:17]
	v_rndne_f64_e32 v[24:25], v[26:27]
	v_add_f64_e64 v[26:27], v[28:29], -v[18:19]
	v_add_f64_e32 v[4:5], 0x3f28b51b74107cab, v[4:5]
	v_add_f64_e32 v[20:21], v[28:29], v[20:21]
	;; [unrolled: 1-line block ×3, first 2 shown]
	v_fmamk_f64 v[2:3], v[24:25], 0xbfe62e42fefa39ef, v[2:3]
	v_add_f64_e64 v[28:29], v[28:29], -v[26:27]
	v_add_f64_e64 v[12:13], v[12:13], -v[26:27]
	v_cvt_i32_f64_e32 v11, v[24:25]
	s_delay_alu instid0(VALU_DEP_4) | instskip(NEXT) | instid1(VALU_DEP_1)
	v_fmamk_f64 v[2:3], v[24:25], 0xbc7abc9e3b39803f, v[2:3]
	v_fmaak_f64 v[34:35], s[24:25], v[2:3], 0x3e928af3fca7ab0c
	s_delay_alu instid0(VALU_DEP_1) | instskip(SKIP_1) | instid1(VALU_DEP_2)
	v_fmaak_f64 v[34:35], v[2:3], v[34:35], 0x3ec71dee623fde64
	v_fma_f64 v[6:7], v[0:1], v[4:5], -v[6:7]
	v_fmaak_f64 v[34:35], v[2:3], v[34:35], 0x3efa01997c89e6b0
	v_add_f64_e32 v[32:33], v[30:31], v[20:21]
	v_fma_f64 v[14:15], v[22:23], v[16:17], -v[14:15]
	v_add_f64_e64 v[18:19], v[18:19], -v[28:29]
	s_delay_alu instid0(VALU_DEP_4) | instskip(NEXT) | instid1(VALU_DEP_1)
	v_fmaak_f64 v[34:35], v[2:3], v[34:35], 0x3f2a01a014761f6e
	v_fmaak_f64 v[28:29], v[2:3], v[34:35], 0x3f56c16c1852b7b0
	v_add_f64_e32 v[6:7], 0xbf42e2fd1f15eb52, v[6:7]
	v_add_f64_e64 v[26:27], v[32:33], -v[30:31]
	v_add_f64_e32 v[14:15], 0x3fa26bf6554a9085, v[14:15]
	v_add_f64_e32 v[12:13], v[12:13], v[18:19]
	s_delay_alu instid0(VALU_DEP_4) | instskip(NEXT) | instid1(VALU_DEP_4)
	v_fma_f64 v[4:5], v[0:1], v[6:7], -v[4:5]
	v_add_f64_e64 v[18:19], v[20:21], -v[26:27]
	s_delay_alu instid0(VALU_DEP_4) | instskip(NEXT) | instid1(VALU_DEP_3)
	v_fma_f64 v[16:17], v[22:23], v[14:15], -v[16:17]
	v_add_f64_e32 v[4:5], 0x3f5adc758a12100e, v[4:5]
	s_delay_alu instid0(VALU_DEP_3) | instskip(NEXT) | instid1(VALU_DEP_3)
	v_add_f64_e32 v[12:13], v[12:13], v[18:19]
	v_add_f64_e32 v[16:17], 0x3fd608d881213db9, v[16:17]
	s_delay_alu instid0(VALU_DEP_3) | instskip(NEXT) | instid1(VALU_DEP_1)
	v_fma_f64 v[6:7], v[0:1], v[4:5], -v[6:7]
	v_add_f64_e32 v[6:7], 0xbf71b65e201aa849, v[6:7]
	s_delay_alu instid0(VALU_DEP_1) | instskip(NEXT) | instid1(VALU_DEP_1)
	v_fma_f64 v[4:5], v[0:1], v[6:7], -v[4:5]
	v_add_f64_e32 v[4:5], 0x3f859961f3dde3dd, v[4:5]
	s_delay_alu instid0(VALU_DEP_1) | instskip(NEXT) | instid1(VALU_DEP_1)
	;; [unrolled: 3-line block ×6, first 2 shown]
	v_fma_f64 v[6:7], v[0:1], v[4:5], -v[6:7]
	v_add_f64_e32 v[6:7], 0xbfd37febc057cd8d, v[6:7]
	s_delay_alu instid0(VALU_DEP_1) | instskip(SKIP_1) | instid1(VALU_DEP_1)
	v_fma_f64 v[0:1], v[0:1], v[6:7], -v[4:5]
	v_fmaak_f64 v[6:7], v[2:3], v[28:29], 0x3f81111111122322
	v_fmaak_f64 v[6:7], v[2:3], v[6:7], 0x3fa55555555502a1
	s_delay_alu instid0(VALU_DEP_1) | instskip(NEXT) | instid1(VALU_DEP_1)
	v_fmaak_f64 v[6:7], v[2:3], v[6:7], 0x3fc5555555555511
	v_fmaak_f64 v[6:7], v[2:3], v[6:7], 0x3fe000000000000b
	s_delay_alu instid0(VALU_DEP_1) | instskip(SKIP_1) | instid1(VALU_DEP_2)
	v_fma_f64 v[6:7], v[2:3], v[6:7], 1.0
	v_add_f64_e32 v[0:1], 0x3fe5a84e9035a22a, v[0:1]
	v_fma_f64 v[2:3], v[2:3], v[6:7], 1.0
	v_fma_f64 v[6:7], v[22:23], v[16:17], -v[14:15]
	s_delay_alu instid0(VALU_DEP_3) | instskip(SKIP_1) | instid1(VALU_DEP_4)
	v_add_f64_e64 v[0:1], v[0:1], -v[4:5]
	v_add_f64_e32 v[4:5], v[32:33], v[12:13]
	v_ldexp_f64 v[2:3], v[2:3], v11
	s_delay_alu instid0(VALU_DEP_4) | instskip(NEXT) | instid1(VALU_DEP_4)
	v_add_f64_e32 v[6:7], 0xbfe12166e9d2f61f, v[6:7]
	v_mul_f64_e32 v[0:1], 0.5, v[0:1]
	s_delay_alu instid0(VALU_DEP_4) | instskip(SKIP_2) | instid1(VALU_DEP_2)
	v_cndmask_b32_e32 v5, 0x7ff00000, v5, vcc_lo
	s_and_b32 vcc_lo, s0, vcc_lo
	v_cndmask_b32_e32 v4, 0, v4, vcc_lo
	v_cndmask_b32_e64 v5, 0xfff00000, v5, s0
	v_add_f64_e64 v[6:7], v[6:7], -v[14:15]
	v_mul_f64_e32 v[0:1], v[2:3], v[0:1]
	s_delay_alu instid0(VALU_DEP_1) | instskip(NEXT) | instid1(VALU_DEP_1)
	v_mul_f64_e32 v[0:1], v[4:5], v[0:1]
	v_fma_f64 v[0:1], v[6:7], 0.5, -v[0:1]
	s_delay_alu instid0(VALU_DEP_1)
	v_mul_f64_e32 v[0:1], v[2:3], v[0:1]
                                        ; implicit-def: $vgpr2_vgpr3
.LBB8_670:
	s_and_not1_saveexec_b32 s0, s22
	s_cbranch_execz .LBB8_672
; %bb.671:
	v_div_scale_f64 v[0:1], null, v[2:3], v[2:3], 0x40200000
	v_div_scale_f64 v[8:9], vcc_lo, 0x40200000, v[2:3], 0x40200000
	s_mov_b64 s[22:23], 0x3c5871a5cf8c9ee1
	v_rcp_f64_e32 v[4:5], v[0:1]
	v_nop
	s_delay_alu instid0(TRANS32_DEP_1) | instskip(NEXT) | instid1(VALU_DEP_1)
	v_fma_f64 v[6:7], -v[0:1], v[4:5], 1.0
	v_fmac_f64_e32 v[4:5], v[4:5], v[6:7]
	s_delay_alu instid0(VALU_DEP_1) | instskip(NEXT) | instid1(VALU_DEP_1)
	v_fma_f64 v[6:7], -v[0:1], v[4:5], 1.0
	v_fmac_f64_e32 v[4:5], v[4:5], v[6:7]
	s_delay_alu instid0(VALU_DEP_1) | instskip(NEXT) | instid1(VALU_DEP_1)
	v_mul_f64_e32 v[6:7], v[8:9], v[4:5]
	v_fma_f64 v[0:1], -v[0:1], v[6:7], v[8:9]
	s_delay_alu instid0(VALU_DEP_1) | instskip(SKIP_1) | instid1(VALU_DEP_2)
	v_div_fmas_f64 v[0:1], v[0:1], v[4:5], v[6:7]
	v_cmp_gt_f64_e32 vcc_lo, 0x10000000, v[2:3]
	v_div_fixup_f64 v[0:1], v[0:1], v[2:3], 0x40200000
	v_cndmask_b32_e64 v8, 0, 0x100, vcc_lo
	s_delay_alu instid0(VALU_DEP_1) | instskip(NEXT) | instid1(VALU_DEP_3)
	v_ldexp_f64 v[2:3], v[2:3], v8
	v_add_f64_e32 v[0:1], -2.0, v[0:1]
	s_delay_alu instid0(VALU_DEP_2) | instskip(NEXT) | instid1(VALU_DEP_1)
	v_rsq_f64_e32 v[8:9], v[2:3]
	v_fmaak_f64 v[4:5], s[22:23], v[0:1], 0xbc72fecc93812603
	s_delay_alu instid0(VALU_DEP_1) | instskip(NEXT) | instid1(TRANS32_DEP_1)
	v_fmaak_f64 v[6:7], v[0:1], v[4:5], 0xbc5871a5cf8c9ee1
	v_mul_f64_e32 v[12:13], v[2:3], v[8:9]
	v_mul_f64_e32 v[8:9], 0.5, v[8:9]
	s_delay_alu instid0(VALU_DEP_3) | instskip(NEXT) | instid1(VALU_DEP_2)
	v_add_f64_e32 v[6:7], 0x3c8e092e41a8cdf4, v[6:7]
	v_fma_f64 v[14:15], -v[8:9], v[12:13], 0.5
	s_delay_alu instid0(VALU_DEP_2) | instskip(NEXT) | instid1(VALU_DEP_2)
	v_fma_f64 v[4:5], v[0:1], v[6:7], -v[4:5]
	v_fmac_f64_e32 v[12:13], v[12:13], v[14:15]
	s_delay_alu instid0(VALU_DEP_2) | instskip(SKIP_1) | instid1(VALU_DEP_3)
	v_add_f64_e32 v[4:5], 0xbca82f9474d77641, v[4:5]
	v_fmac_f64_e32 v[8:9], v[8:9], v[14:15]
	v_fma_f64 v[14:15], -v[12:13], v[12:13], v[2:3]
	s_delay_alu instid0(VALU_DEP_3) | instskip(NEXT) | instid1(VALU_DEP_2)
	v_fma_f64 v[6:7], v[0:1], v[4:5], -v[6:7]
	v_fmac_f64_e32 v[12:13], v[14:15], v[8:9]
	s_delay_alu instid0(VALU_DEP_2) | instskip(NEXT) | instid1(VALU_DEP_1)
	v_add_f64_e32 v[6:7], 0x3cc3dbf96b94785b, v[6:7]
	v_fma_f64 v[4:5], v[0:1], v[6:7], -v[4:5]
	s_delay_alu instid0(VALU_DEP_1) | instskip(NEXT) | instid1(VALU_DEP_1)
	v_add_f64_e32 v[4:5], 0xbce0a690ecfadd36, v[4:5]
	v_fma_f64 v[6:7], v[0:1], v[4:5], -v[6:7]
	s_delay_alu instid0(VALU_DEP_1) | instskip(NEXT) | instid1(VALU_DEP_1)
	;; [unrolled: 3-line block ×19, first 2 shown]
	v_add_f64_e32 v[4:5], 0xbfa019f72d4ff71e, v[4:5]
	v_fma_f64 v[0:1], v[0:1], v[4:5], -v[6:7]
	v_fma_f64 v[4:5], -v[12:13], v[12:13], v[2:3]
	s_delay_alu instid0(VALU_DEP_2) | instskip(NEXT) | instid1(VALU_DEP_2)
	v_add_f64_e32 v[0:1], 0x400385bd9f4e6907, v[0:1]
	v_fmac_f64_e32 v[12:13], v[4:5], v[8:9]
	v_cndmask_b32_e64 v4, 0, 0xffffff80, vcc_lo
	v_cmp_class_f64_e64 vcc_lo, v[2:3], 0x260
	s_delay_alu instid0(VALU_DEP_4) | instskip(NEXT) | instid1(VALU_DEP_3)
	v_add_f64_e64 v[0:1], v[0:1], -v[6:7]
	v_ldexp_f64 v[4:5], v[12:13], v4
	s_delay_alu instid0(VALU_DEP_1) | instskip(NEXT) | instid1(VALU_DEP_2)
	v_dual_mul_f64 v[0:1], 0.5, v[0:1] :: v_dual_cndmask_b32 v3, v5, v3, vcc_lo
	v_cndmask_b32_e32 v2, v4, v2, vcc_lo
	s_delay_alu instid0(VALU_DEP_1) | instskip(NEXT) | instid1(VALU_DEP_1)
	v_div_scale_f64 v[4:5], null, v[2:3], v[2:3], v[0:1]
	v_rcp_f64_e32 v[6:7], v[4:5]
	v_nop
	s_delay_alu instid0(TRANS32_DEP_1) | instskip(NEXT) | instid1(VALU_DEP_1)
	v_fma_f64 v[8:9], -v[4:5], v[6:7], 1.0
	v_fmac_f64_e32 v[6:7], v[6:7], v[8:9]
	s_delay_alu instid0(VALU_DEP_1) | instskip(NEXT) | instid1(VALU_DEP_1)
	v_fma_f64 v[8:9], -v[4:5], v[6:7], 1.0
	v_fmac_f64_e32 v[6:7], v[6:7], v[8:9]
	v_div_scale_f64 v[8:9], vcc_lo, v[0:1], v[2:3], v[0:1]
	s_delay_alu instid0(VALU_DEP_1) | instskip(NEXT) | instid1(VALU_DEP_1)
	v_mul_f64_e32 v[12:13], v[8:9], v[6:7]
	v_fma_f64 v[4:5], -v[4:5], v[12:13], v[8:9]
	s_delay_alu instid0(VALU_DEP_1) | instskip(NEXT) | instid1(VALU_DEP_1)
	v_div_fmas_f64 v[4:5], v[4:5], v[6:7], v[12:13]
	v_div_fixup_f64 v[0:1], v[4:5], v[2:3], v[0:1]
.LBB8_672:
	s_or_b32 exec_lo, exec_lo, s0
.LBB8_673:
	s_delay_alu instid0(SALU_CYCLE_1)
	s_or_b32 exec_lo, exec_lo, s21
.LBB8_674:
	s_delay_alu instid0(SALU_CYCLE_1) | instskip(SKIP_2) | instid1(SALU_CYCLE_1)
	s_or_b32 exec_lo, exec_lo, s20
	v_mul_lo_u32 v2, v10, s2
	s_and_b32 s20, s8, 0xff
	s_cmp_lt_i32 s20, 11
	s_delay_alu instid0(VALU_DEP_1) | instskip(NEXT) | instid1(VALU_DEP_1)
	v_ashrrev_i32_e32 v3, 31, v2
	v_add_nc_u64_e32 v[4:5], s[4:5], v[2:3]
	s_cbranch_scc1 .LBB8_682
; %bb.675:
	s_and_b32 s21, 0xffff, s20
	s_delay_alu instid0(SALU_CYCLE_1)
	s_cmp_gt_i32 s21, 25
	s_cbranch_scc0 .LBB8_683
; %bb.676:
	s_cmp_gt_i32 s21, 28
	s_cbranch_scc0 .LBB8_684
; %bb.677:
	;; [unrolled: 3-line block ×4, first 2 shown]
	s_mov_b32 s23, 0
	s_mov_b32 s0, -1
	s_cmp_eq_u32 s21, 46
	s_mov_b32 s22, 0
	s_cbranch_scc0 .LBB8_687
; %bb.680:
	s_delay_alu instid0(VALU_DEP_4) | instskip(SKIP_2) | instid1(VALU_DEP_1)
	v_cvt_f32_f64_e32 v2, v[0:1]
	s_mov_b32 s22, -1
	s_mov_b32 s0, 0
	v_bfe_u32 v3, v2, 16, 1
	v_cmp_o_f32_e32 vcc_lo, v2, v2
	s_delay_alu instid0(VALU_DEP_2) | instskip(NEXT) | instid1(VALU_DEP_1)
	v_add3_u32 v3, v2, v3, 0x7fff
	v_lshrrev_b32_e32 v3, 16, v3
	s_delay_alu instid0(VALU_DEP_1)
	v_cndmask_b32_e32 v2, 0x7fc0, v3, vcc_lo
	global_store_b32 v[4:5], v2, off
	s_branch .LBB8_687
.LBB8_681:
	s_mov_b32 s20, 0
	s_mov_b32 s0, s16
	s_branch .LBB8_798
.LBB8_682:
	s_mov_b32 s21, -1
	s_mov_b32 s22, 0
	s_mov_b32 s0, s16
	s_branch .LBB8_756
.LBB8_683:
	s_mov_b32 s23, -1
	s_mov_b32 s22, 0
	s_mov_b32 s0, s16
	s_branch .LBB8_714
.LBB8_684:
	s_mov_b32 s23, -1
	s_mov_b32 s22, 0
	s_mov_b32 s0, s16
	s_branch .LBB8_697
.LBB8_685:
	s_mov_b32 s23, -1
	s_mov_b32 s22, 0
	s_mov_b32 s0, s16
	s_branch .LBB8_693
.LBB8_686:
	s_mov_b32 s23, -1
	s_mov_b32 s22, 0
	s_mov_b32 s0, s16
.LBB8_687:
	s_and_b32 vcc_lo, exec_lo, s23
	s_cbranch_vccz .LBB8_692
; %bb.688:
	s_cmp_eq_u32 s21, 44
	s_mov_b32 s0, -1
	s_cbranch_scc0 .LBB8_692
; %bb.689:
	s_wait_xcnt 0x0
	s_delay_alu instid0(VALU_DEP_4) | instskip(SKIP_2) | instid1(VALU_DEP_2)
	v_cvt_f32_f64_e32 v2, v[0:1]
	v_mov_b32_e32 v3, 0xff
	s_mov_b32 s22, exec_lo
	v_bfe_u32 v6, v2, 23, 8
	s_delay_alu instid0(VALU_DEP_1)
	v_cmpx_ne_u32_e32 0xff, v6
	s_cbranch_execz .LBB8_691
; %bb.690:
	v_and_b32_e32 v3, 0x400000, v2
	v_and_or_b32 v6, 0x3fffff, v2, v6
	v_lshrrev_b32_e32 v2, 23, v2
	s_delay_alu instid0(VALU_DEP_3) | instskip(NEXT) | instid1(VALU_DEP_3)
	v_cmp_ne_u32_e32 vcc_lo, 0, v3
	v_cmp_ne_u32_e64 s0, 0, v6
	s_and_b32 s0, vcc_lo, s0
	s_delay_alu instid0(SALU_CYCLE_1) | instskip(NEXT) | instid1(VALU_DEP_1)
	v_cndmask_b32_e64 v3, 0, 1, s0
	v_add_nc_u32_e32 v3, v2, v3
.LBB8_691:
	s_or_b32 exec_lo, exec_lo, s22
	s_mov_b32 s22, -1
	s_mov_b32 s0, 0
	global_store_b8 v[4:5], v3, off
.LBB8_692:
	s_mov_b32 s23, 0
.LBB8_693:
	s_delay_alu instid0(SALU_CYCLE_1)
	s_and_b32 vcc_lo, exec_lo, s23
	s_cbranch_vccz .LBB8_696
; %bb.694:
	s_cmp_eq_u32 s21, 29
	s_mov_b32 s0, -1
	s_cbranch_scc0 .LBB8_696
; %bb.695:
	s_wait_xcnt 0x0
	s_delay_alu instid0(VALU_DEP_4) | instskip(SKIP_3) | instid1(VALU_DEP_1)
	v_trunc_f64_e32 v[2:3], v[0:1]
	s_mov_b32 s22, -1
	s_mov_b32 s0, 0
	s_mov_b32 s23, 0
	v_ldexp_f64 v[6:7], v[2:3], 0xffffffe0
	s_delay_alu instid0(VALU_DEP_1) | instskip(NEXT) | instid1(VALU_DEP_1)
	v_floor_f64_e32 v[6:7], v[6:7]
	v_fmamk_f64 v[2:3], v[6:7], 0xc1f00000, v[2:3]
	v_cvt_u32_f64_e32 v7, v[6:7]
	s_delay_alu instid0(VALU_DEP_2)
	v_cvt_u32_f64_e32 v6, v[2:3]
	global_store_b64 v[4:5], v[6:7], off
	s_branch .LBB8_697
.LBB8_696:
	s_mov_b32 s23, 0
.LBB8_697:
	s_delay_alu instid0(SALU_CYCLE_1)
	s_and_b32 vcc_lo, exec_lo, s23
	s_cbranch_vccz .LBB8_713
; %bb.698:
	s_cmp_lt_i32 s21, 27
	s_mov_b32 s22, -1
	s_cbranch_scc1 .LBB8_704
; %bb.699:
	s_wait_xcnt 0x0
	s_delay_alu instid0(VALU_DEP_4)
	v_cvt_u32_f64_e32 v2, v[0:1]
	s_cmp_gt_i32 s21, 27
	s_cbranch_scc0 .LBB8_701
; %bb.700:
	s_mov_b32 s22, 0
	global_store_b32 v[4:5], v2, off
.LBB8_701:
	s_and_not1_b32 vcc_lo, exec_lo, s22
	s_cbranch_vccnz .LBB8_703
; %bb.702:
	global_store_b16 v[4:5], v2, off
.LBB8_703:
	s_mov_b32 s22, 0
.LBB8_704:
	s_delay_alu instid0(SALU_CYCLE_1)
	s_and_not1_b32 vcc_lo, exec_lo, s22
	s_cbranch_vccnz .LBB8_712
; %bb.705:
	s_wait_xcnt 0x0
	s_delay_alu instid0(VALU_DEP_4) | instskip(SKIP_2) | instid1(VALU_DEP_2)
	v_cvt_f32_f64_e32 v2, v[0:1]
	v_mov_b32_e32 v6, 0x80
	s_mov_b32 s22, exec_lo
	v_and_b32_e32 v3, 0x7fffffff, v2
	s_delay_alu instid0(VALU_DEP_1)
	v_cmpx_gt_u32_e32 0x43800000, v3
	s_cbranch_execz .LBB8_711
; %bb.706:
	v_cmp_lt_u32_e32 vcc_lo, 0x3bffffff, v3
	s_mov_b32 s23, 0
                                        ; implicit-def: $vgpr3
	s_and_saveexec_b32 s24, vcc_lo
	s_delay_alu instid0(SALU_CYCLE_1)
	s_xor_b32 s24, exec_lo, s24
	s_cbranch_execz .LBB8_813
; %bb.707:
	v_bfe_u32 v3, v2, 20, 1
	s_mov_b32 s23, exec_lo
	s_delay_alu instid0(VALU_DEP_1) | instskip(NEXT) | instid1(VALU_DEP_1)
	v_add3_u32 v3, v2, v3, 0x487ffff
	v_lshrrev_b32_e32 v3, 20, v3
	s_and_not1_saveexec_b32 s24, s24
	s_cbranch_execnz .LBB8_814
.LBB8_708:
	s_or_b32 exec_lo, exec_lo, s24
	v_mov_b32_e32 v6, 0
	s_and_saveexec_b32 s24, s23
.LBB8_709:
	v_lshrrev_b32_e32 v2, 24, v2
	s_delay_alu instid0(VALU_DEP_1)
	v_and_or_b32 v6, 0x80, v2, v3
.LBB8_710:
	s_or_b32 exec_lo, exec_lo, s24
.LBB8_711:
	s_delay_alu instid0(SALU_CYCLE_1)
	s_or_b32 exec_lo, exec_lo, s22
	global_store_b8 v[4:5], v6, off
.LBB8_712:
	s_mov_b32 s22, -1
.LBB8_713:
	s_mov_b32 s23, 0
.LBB8_714:
	s_delay_alu instid0(SALU_CYCLE_1)
	s_and_b32 vcc_lo, exec_lo, s23
	s_cbranch_vccz .LBB8_755
; %bb.715:
	s_cmp_gt_i32 s21, 22
	s_mov_b32 s23, -1
	s_cbranch_scc0 .LBB8_747
; %bb.716:
	s_cmp_lt_i32 s21, 24
	s_mov_b32 s22, -1
	s_cbranch_scc1 .LBB8_736
; %bb.717:
	s_cmp_gt_i32 s21, 24
	s_cbranch_scc0 .LBB8_725
; %bb.718:
	s_wait_xcnt 0x0
	s_delay_alu instid0(VALU_DEP_4) | instskip(SKIP_2) | instid1(VALU_DEP_2)
	v_cvt_f32_f64_e32 v2, v[0:1]
	v_mov_b32_e32 v6, 0x80
	s_mov_b32 s22, exec_lo
	v_and_b32_e32 v3, 0x7fffffff, v2
	s_delay_alu instid0(VALU_DEP_1)
	v_cmpx_gt_u32_e32 0x47800000, v3
	s_cbranch_execz .LBB8_724
; %bb.719:
	v_cmp_lt_u32_e32 vcc_lo, 0x37ffffff, v3
	s_mov_b32 s23, 0
                                        ; implicit-def: $vgpr3
	s_and_saveexec_b32 s24, vcc_lo
	s_delay_alu instid0(SALU_CYCLE_1)
	s_xor_b32 s24, exec_lo, s24
	s_cbranch_execz .LBB8_816
; %bb.720:
	v_bfe_u32 v3, v2, 21, 1
	s_mov_b32 s23, exec_lo
	s_delay_alu instid0(VALU_DEP_1) | instskip(NEXT) | instid1(VALU_DEP_1)
	v_add3_u32 v3, v2, v3, 0x88fffff
	v_lshrrev_b32_e32 v3, 21, v3
	s_and_not1_saveexec_b32 s24, s24
	s_cbranch_execnz .LBB8_817
.LBB8_721:
	s_or_b32 exec_lo, exec_lo, s24
	v_mov_b32_e32 v6, 0
	s_and_saveexec_b32 s24, s23
.LBB8_722:
	v_lshrrev_b32_e32 v2, 24, v2
	s_delay_alu instid0(VALU_DEP_1)
	v_and_or_b32 v6, 0x80, v2, v3
.LBB8_723:
	s_or_b32 exec_lo, exec_lo, s24
.LBB8_724:
	s_delay_alu instid0(SALU_CYCLE_1)
	s_or_b32 exec_lo, exec_lo, s22
	s_mov_b32 s22, 0
	global_store_b8 v[4:5], v6, off
.LBB8_725:
	s_and_b32 vcc_lo, exec_lo, s22
	s_cbranch_vccz .LBB8_735
; %bb.726:
	s_wait_xcnt 0x0
	s_delay_alu instid0(VALU_DEP_4) | instskip(SKIP_1) | instid1(VALU_DEP_1)
	v_cvt_f32_f64_e32 v2, v[0:1]
	s_mov_b32 s22, exec_lo
                                        ; implicit-def: $vgpr3
	v_and_b32_e32 v6, 0x7fffffff, v2
	s_delay_alu instid0(VALU_DEP_1)
	v_cmpx_gt_u32_e32 0x43f00000, v6
	s_xor_b32 s22, exec_lo, s22
	s_cbranch_execz .LBB8_732
; %bb.727:
	s_mov_b32 s23, exec_lo
                                        ; implicit-def: $vgpr3
	v_cmpx_lt_u32_e32 0x3c7fffff, v6
	s_xor_b32 s23, exec_lo, s23
; %bb.728:
	v_bfe_u32 v3, v2, 20, 1
	s_delay_alu instid0(VALU_DEP_1) | instskip(NEXT) | instid1(VALU_DEP_1)
	v_add3_u32 v3, v2, v3, 0x407ffff
	v_and_b32_e32 v6, 0xff00000, v3
	v_lshrrev_b32_e32 v3, 20, v3
	s_delay_alu instid0(VALU_DEP_2) | instskip(NEXT) | instid1(VALU_DEP_2)
	v_cmp_ne_u32_e32 vcc_lo, 0x7f00000, v6
	v_cndmask_b32_e32 v3, 0x7e, v3, vcc_lo
; %bb.729:
	s_and_not1_saveexec_b32 s23, s23
; %bb.730:
	v_add_f32_e64 v3, 0x46800000, |v2|
; %bb.731:
	s_or_b32 exec_lo, exec_lo, s23
                                        ; implicit-def: $vgpr6
.LBB8_732:
	s_and_not1_saveexec_b32 s22, s22
; %bb.733:
	v_mov_b32_e32 v3, 0x7f
	v_cmp_lt_u32_e32 vcc_lo, 0x7f800000, v6
	s_delay_alu instid0(VALU_DEP_2)
	v_cndmask_b32_e32 v3, 0x7e, v3, vcc_lo
; %bb.734:
	s_or_b32 exec_lo, exec_lo, s22
	v_lshrrev_b32_e32 v2, 24, v2
	s_delay_alu instid0(VALU_DEP_1)
	v_and_or_b32 v2, 0x80, v2, v3
	global_store_b8 v[4:5], v2, off
.LBB8_735:
	s_mov_b32 s22, 0
.LBB8_736:
	s_delay_alu instid0(SALU_CYCLE_1)
	s_and_not1_b32 vcc_lo, exec_lo, s22
	s_cbranch_vccnz .LBB8_746
; %bb.737:
	s_wait_xcnt 0x0
	s_delay_alu instid0(VALU_DEP_4) | instskip(SKIP_1) | instid1(VALU_DEP_1)
	v_cvt_f32_f64_e32 v2, v[0:1]
	s_mov_b32 s22, exec_lo
                                        ; implicit-def: $vgpr3
	v_and_b32_e32 v6, 0x7fffffff, v2
	s_delay_alu instid0(VALU_DEP_1)
	v_cmpx_gt_u32_e32 0x47800000, v6
	s_xor_b32 s22, exec_lo, s22
	s_cbranch_execz .LBB8_743
; %bb.738:
	s_mov_b32 s23, exec_lo
                                        ; implicit-def: $vgpr3
	v_cmpx_lt_u32_e32 0x387fffff, v6
	s_xor_b32 s23, exec_lo, s23
; %bb.739:
	v_bfe_u32 v3, v2, 21, 1
	s_delay_alu instid0(VALU_DEP_1) | instskip(NEXT) | instid1(VALU_DEP_1)
	v_add3_u32 v3, v2, v3, 0x80fffff
	v_lshrrev_b32_e32 v3, 21, v3
; %bb.740:
	s_and_not1_saveexec_b32 s23, s23
; %bb.741:
	v_add_f32_e64 v3, 0x43000000, |v2|
; %bb.742:
	s_or_b32 exec_lo, exec_lo, s23
                                        ; implicit-def: $vgpr6
.LBB8_743:
	s_and_not1_saveexec_b32 s22, s22
; %bb.744:
	v_mov_b32_e32 v3, 0x7f
	v_cmp_lt_u32_e32 vcc_lo, 0x7f800000, v6
	s_delay_alu instid0(VALU_DEP_2)
	v_cndmask_b32_e32 v3, 0x7c, v3, vcc_lo
; %bb.745:
	s_or_b32 exec_lo, exec_lo, s22
	v_lshrrev_b32_e32 v2, 24, v2
	s_delay_alu instid0(VALU_DEP_1)
	v_and_or_b32 v2, 0x80, v2, v3
	global_store_b8 v[4:5], v2, off
.LBB8_746:
	s_mov_b32 s23, 0
	s_mov_b32 s22, -1
.LBB8_747:
	s_and_not1_b32 vcc_lo, exec_lo, s23
	s_cbranch_vccnz .LBB8_755
; %bb.748:
	s_cmp_gt_i32 s21, 14
	s_mov_b32 s23, -1
	s_cbranch_scc0 .LBB8_752
; %bb.749:
	s_cmp_eq_u32 s21, 15
	s_mov_b32 s0, -1
	s_cbranch_scc0 .LBB8_751
; %bb.750:
	s_wait_xcnt 0x0
	s_delay_alu instid0(VALU_DEP_4) | instskip(SKIP_2) | instid1(VALU_DEP_1)
	v_cvt_f32_f64_e32 v2, v[0:1]
	s_mov_b32 s22, -1
	s_mov_b32 s0, 0
	v_bfe_u32 v3, v2, 16, 1
	v_cmp_o_f32_e32 vcc_lo, v2, v2
	s_delay_alu instid0(VALU_DEP_2) | instskip(NEXT) | instid1(VALU_DEP_1)
	v_add3_u32 v3, v2, v3, 0x7fff
	v_lshrrev_b32_e32 v3, 16, v3
	s_delay_alu instid0(VALU_DEP_1)
	v_cndmask_b32_e32 v2, 0x7fc0, v3, vcc_lo
	global_store_b16 v[4:5], v2, off
.LBB8_751:
	s_mov_b32 s23, 0
.LBB8_752:
	s_delay_alu instid0(SALU_CYCLE_1)
	s_and_b32 vcc_lo, exec_lo, s23
	s_cbranch_vccz .LBB8_755
; %bb.753:
	s_cmp_eq_u32 s21, 11
	s_mov_b32 s0, -1
	s_cbranch_scc0 .LBB8_755
; %bb.754:
	v_cmp_neq_f64_e32 vcc_lo, 0, v[0:1]
	s_mov_b32 s22, -1
	s_mov_b32 s0, 0
	s_wait_xcnt 0x0
	v_cndmask_b32_e64 v2, 0, 1, vcc_lo
	global_store_b8 v[4:5], v2, off
.LBB8_755:
	s_mov_b32 s21, 0
.LBB8_756:
	s_delay_alu instid0(SALU_CYCLE_1)
	s_and_b32 vcc_lo, exec_lo, s21
	s_cbranch_vccz .LBB8_795
; %bb.757:
	s_and_b32 s20, 0xffff, s20
	s_mov_b32 s21, -1
	s_cmp_lt_i32 s20, 5
	s_cbranch_scc1 .LBB8_778
; %bb.758:
	s_cmp_lt_i32 s20, 8
	s_cbranch_scc1 .LBB8_768
; %bb.759:
	;; [unrolled: 3-line block ×3, first 2 shown]
	s_cmp_gt_i32 s20, 9
	s_cbranch_scc0 .LBB8_762
; %bb.761:
	s_wait_xcnt 0x0
	v_mov_b32_e32 v2, 0
	s_mov_b32 s21, 0
	s_delay_alu instid0(VALU_DEP_1)
	v_mov_b32_e32 v3, v2
	global_store_b128 v[4:5], v[0:3], off
.LBB8_762:
	s_and_not1_b32 vcc_lo, exec_lo, s21
	s_cbranch_vccnz .LBB8_764
; %bb.763:
	s_wait_xcnt 0x0
	s_delay_alu instid0(VALU_DEP_4)
	v_cvt_f32_f64_e32 v2, v[0:1]
	v_mov_b32_e32 v3, 0
	global_store_b64 v[4:5], v[2:3], off
.LBB8_764:
	s_mov_b32 s21, 0
.LBB8_765:
	s_delay_alu instid0(SALU_CYCLE_1)
	s_and_not1_b32 vcc_lo, exec_lo, s21
	s_cbranch_vccnz .LBB8_767
; %bb.766:
	s_wait_xcnt 0x0
	s_delay_alu instid0(VALU_DEP_4) | instskip(SKIP_2) | instid1(VALU_DEP_3)
	v_and_or_b32 v2, 0x1ff, v1, v0
	v_lshrrev_b32_e32 v3, 8, v1
	v_bfe_u32 v6, v1, 20, 11
	v_cmp_ne_u32_e32 vcc_lo, 0, v2
	s_delay_alu instid0(VALU_DEP_2) | instskip(SKIP_1) | instid1(VALU_DEP_1)
	v_sub_nc_u32_e32 v7, 0x3f1, v6
	v_cndmask_b32_e64 v2, 0, 1, vcc_lo
	v_and_or_b32 v2, 0xffe, v3, v2
	s_delay_alu instid0(VALU_DEP_3) | instskip(NEXT) | instid1(VALU_DEP_2)
	v_med3_i32 v3, v7, 0, 13
	v_or_b32_e32 v7, 0x1000, v2
	s_delay_alu instid0(VALU_DEP_1) | instskip(NEXT) | instid1(VALU_DEP_1)
	v_lshrrev_b32_e32 v8, v3, v7
	v_lshlrev_b32_e32 v3, v3, v8
	s_delay_alu instid0(VALU_DEP_1) | instskip(SKIP_1) | instid1(VALU_DEP_1)
	v_cmp_ne_u32_e32 vcc_lo, v3, v7
	v_cndmask_b32_e64 v3, 0, 1, vcc_lo
	v_or_b32_e32 v3, v8, v3
	v_add_nc_u32_e32 v6, 0xfffffc10, v6
	s_delay_alu instid0(VALU_DEP_1) | instskip(SKIP_1) | instid1(VALU_DEP_2)
	v_lshl_or_b32 v7, v6, 12, v2
	v_cmp_gt_i32_e32 vcc_lo, 1, v6
	v_cndmask_b32_e32 v3, v7, v3, vcc_lo
	s_delay_alu instid0(VALU_DEP_1) | instskip(NEXT) | instid1(VALU_DEP_1)
	v_dual_lshrrev_b32 v3, 2, v3 :: v_dual_bitop2_b32 v7, 7, v3 bitop3:0x40
	v_cmp_lt_i32_e32 vcc_lo, 5, v7
	v_cndmask_b32_e64 v8, 0, 1, vcc_lo
	v_cmp_eq_u32_e32 vcc_lo, 3, v7
	v_cndmask_b32_e64 v7, 0, 1, vcc_lo
	v_cmp_ne_u32_e32 vcc_lo, 0, v2
	s_delay_alu instid0(VALU_DEP_2) | instskip(NEXT) | instid1(VALU_DEP_1)
	v_or_b32_e32 v7, v7, v8
	v_dual_mov_b32 v8, 0x7e00 :: v_dual_add_nc_u32 v3, v3, v7
	s_delay_alu instid0(VALU_DEP_1) | instskip(SKIP_2) | instid1(VALU_DEP_4)
	v_cndmask_b32_e32 v2, 0x7c00, v8, vcc_lo
	v_cmp_gt_i32_e32 vcc_lo, 31, v6
	v_lshrrev_b32_e32 v7, 16, v1
	v_cndmask_b32_e32 v3, 0x7c00, v3, vcc_lo
	v_cmp_eq_u32_e32 vcc_lo, 0x40f, v6
	s_delay_alu instid0(VALU_DEP_2) | instskip(NEXT) | instid1(VALU_DEP_4)
	v_cndmask_b32_e32 v2, v3, v2, vcc_lo
	v_and_b32_e32 v3, 0x8000, v7
	s_delay_alu instid0(VALU_DEP_1)
	v_bitop3_b32 v2, v3, 0xffff, v2 bitop3:0xc8
	global_store_b32 v[4:5], v2, off
.LBB8_767:
	s_mov_b32 s21, 0
.LBB8_768:
	s_delay_alu instid0(SALU_CYCLE_1)
	s_and_not1_b32 vcc_lo, exec_lo, s21
	s_cbranch_vccnz .LBB8_777
; %bb.769:
	s_cmp_lt_i32 s20, 6
	s_mov_b32 s21, -1
	s_cbranch_scc1 .LBB8_775
; %bb.770:
	s_cmp_gt_i32 s20, 6
	s_cbranch_scc0 .LBB8_772
; %bb.771:
	s_mov_b32 s21, 0
	global_store_b64 v[4:5], v[0:1], off
.LBB8_772:
	s_and_not1_b32 vcc_lo, exec_lo, s21
	s_cbranch_vccnz .LBB8_774
; %bb.773:
	s_wait_xcnt 0x0
	v_cvt_f32_f64_e32 v2, v[0:1]
	global_store_b32 v[4:5], v2, off
.LBB8_774:
	s_mov_b32 s21, 0
.LBB8_775:
	s_delay_alu instid0(SALU_CYCLE_1)
	s_and_not1_b32 vcc_lo, exec_lo, s21
	s_cbranch_vccnz .LBB8_777
; %bb.776:
	s_wait_xcnt 0x0
	s_delay_alu instid0(VALU_DEP_4) | instskip(SKIP_2) | instid1(VALU_DEP_3)
	v_and_or_b32 v2, 0x1ff, v1, v0
	v_lshrrev_b32_e32 v3, 8, v1
	v_bfe_u32 v6, v1, 20, 11
	v_cmp_ne_u32_e32 vcc_lo, 0, v2
	s_delay_alu instid0(VALU_DEP_2) | instskip(SKIP_1) | instid1(VALU_DEP_1)
	v_sub_nc_u32_e32 v7, 0x3f1, v6
	v_cndmask_b32_e64 v2, 0, 1, vcc_lo
	v_and_or_b32 v2, 0xffe, v3, v2
	s_delay_alu instid0(VALU_DEP_3) | instskip(NEXT) | instid1(VALU_DEP_2)
	v_med3_i32 v3, v7, 0, 13
	v_or_b32_e32 v7, 0x1000, v2
	s_delay_alu instid0(VALU_DEP_1) | instskip(NEXT) | instid1(VALU_DEP_1)
	v_lshrrev_b32_e32 v8, v3, v7
	v_lshlrev_b32_e32 v3, v3, v8
	s_delay_alu instid0(VALU_DEP_1) | instskip(SKIP_1) | instid1(VALU_DEP_1)
	v_cmp_ne_u32_e32 vcc_lo, v3, v7
	v_cndmask_b32_e64 v3, 0, 1, vcc_lo
	v_or_b32_e32 v3, v8, v3
	v_add_nc_u32_e32 v6, 0xfffffc10, v6
	s_delay_alu instid0(VALU_DEP_1) | instskip(SKIP_1) | instid1(VALU_DEP_2)
	v_lshl_or_b32 v7, v6, 12, v2
	v_cmp_gt_i32_e32 vcc_lo, 1, v6
	v_cndmask_b32_e32 v3, v7, v3, vcc_lo
	s_delay_alu instid0(VALU_DEP_1) | instskip(NEXT) | instid1(VALU_DEP_1)
	v_dual_lshrrev_b32 v3, 2, v3 :: v_dual_bitop2_b32 v7, 7, v3 bitop3:0x40
	v_cmp_lt_i32_e32 vcc_lo, 5, v7
	v_cndmask_b32_e64 v8, 0, 1, vcc_lo
	v_cmp_eq_u32_e32 vcc_lo, 3, v7
	v_cndmask_b32_e64 v7, 0, 1, vcc_lo
	v_cmp_ne_u32_e32 vcc_lo, 0, v2
	s_delay_alu instid0(VALU_DEP_2) | instskip(NEXT) | instid1(VALU_DEP_1)
	v_or_b32_e32 v7, v7, v8
	v_dual_mov_b32 v8, 0x7e00 :: v_dual_add_nc_u32 v3, v3, v7
	s_delay_alu instid0(VALU_DEP_1) | instskip(SKIP_1) | instid1(VALU_DEP_3)
	v_cndmask_b32_e32 v2, 0x7c00, v8, vcc_lo
	v_cmp_gt_i32_e32 vcc_lo, 31, v6
	v_cndmask_b32_e32 v3, 0x7c00, v3, vcc_lo
	v_cmp_eq_u32_e32 vcc_lo, 0x40f, v6
	s_delay_alu instid0(VALU_DEP_2) | instskip(NEXT) | instid1(VALU_DEP_1)
	v_dual_cndmask_b32 v2, v3, v2 :: v_dual_lshrrev_b32 v3, 16, v1
	v_and_or_b32 v2, 0x8000, v3, v2
	global_store_b16 v[4:5], v2, off
.LBB8_777:
	s_mov_b32 s21, 0
.LBB8_778:
	s_delay_alu instid0(SALU_CYCLE_1)
	s_and_not1_b32 vcc_lo, exec_lo, s21
	s_cbranch_vccnz .LBB8_794
; %bb.779:
	s_cmp_lt_i32 s20, 2
	s_mov_b32 s21, -1
	s_cbranch_scc1 .LBB8_789
; %bb.780:
	s_cmp_lt_i32 s20, 3
	s_cbranch_scc1 .LBB8_786
; %bb.781:
	s_cmp_gt_i32 s20, 3
	s_cbranch_scc0 .LBB8_783
; %bb.782:
	s_wait_xcnt 0x0
	s_delay_alu instid0(VALU_DEP_4) | instskip(SKIP_1) | instid1(VALU_DEP_1)
	v_trunc_f64_e32 v[2:3], v[0:1]
	s_mov_b32 s21, 0
	v_ldexp_f64 v[6:7], v[2:3], 0xffffffe0
	s_delay_alu instid0(VALU_DEP_1) | instskip(NEXT) | instid1(VALU_DEP_1)
	v_floor_f64_e32 v[6:7], v[6:7]
	v_fmamk_f64 v[2:3], v[6:7], 0xc1f00000, v[2:3]
	v_cvt_i32_f64_e32 v7, v[6:7]
	s_delay_alu instid0(VALU_DEP_2)
	v_cvt_u32_f64_e32 v6, v[2:3]
	global_store_b64 v[4:5], v[6:7], off
.LBB8_783:
	s_and_not1_b32 vcc_lo, exec_lo, s21
	s_cbranch_vccnz .LBB8_785
; %bb.784:
	s_wait_xcnt 0x0
	v_cvt_i32_f64_e32 v2, v[0:1]
	global_store_b32 v[4:5], v2, off
.LBB8_785:
	s_mov_b32 s21, 0
.LBB8_786:
	s_delay_alu instid0(SALU_CYCLE_1)
	s_and_not1_b32 vcc_lo, exec_lo, s21
	s_cbranch_vccnz .LBB8_788
; %bb.787:
	s_wait_xcnt 0x0
	s_delay_alu instid0(VALU_DEP_4)
	v_cvt_i32_f64_e32 v2, v[0:1]
	global_store_b16 v[4:5], v2, off
.LBB8_788:
	s_mov_b32 s21, 0
.LBB8_789:
	s_delay_alu instid0(SALU_CYCLE_1)
	s_and_not1_b32 vcc_lo, exec_lo, s21
	s_cbranch_vccnz .LBB8_794
; %bb.790:
	s_cmp_gt_i32 s20, 0
	s_mov_b32 s20, -1
	s_cbranch_scc0 .LBB8_792
; %bb.791:
	s_wait_xcnt 0x0
	s_delay_alu instid0(VALU_DEP_4)
	v_cvt_i32_f64_e32 v2, v[0:1]
	s_mov_b32 s20, 0
	global_store_b8 v[4:5], v2, off
.LBB8_792:
	s_and_not1_b32 vcc_lo, exec_lo, s20
	s_cbranch_vccnz .LBB8_794
; %bb.793:
	s_wait_xcnt 0x0
	v_trunc_f64_e32 v[0:1], v[0:1]
	s_delay_alu instid0(VALU_DEP_1) | instskip(NEXT) | instid1(VALU_DEP_1)
	v_ldexp_f64 v[2:3], v[0:1], 0xffffffe0
	v_floor_f64_e32 v[2:3], v[2:3]
	s_delay_alu instid0(VALU_DEP_1) | instskip(NEXT) | instid1(VALU_DEP_1)
	v_fmamk_f64 v[0:1], v[2:3], 0xc1f00000, v[0:1]
	v_cvt_u32_f64_e32 v0, v[0:1]
	global_store_b8 v[4:5], v0, off
.LBB8_794:
	s_mov_b32 s22, -1
.LBB8_795:
	s_delay_alu instid0(SALU_CYCLE_1)
	s_and_not1_b32 vcc_lo, exec_lo, s22
	s_cbranch_vccnz .LBB8_797
; %bb.796:
	v_add_nc_u32_e32 v10, 0x80, v10
	s_mov_b32 s20, -1
	s_branch .LBB8_799
.LBB8_797:
	s_mov_b32 s20, 0
.LBB8_798:
                                        ; implicit-def: $vgpr10
.LBB8_799:
	s_and_not1_b32 s21, s16, exec_lo
	s_and_b32 s0, s0, exec_lo
	s_and_not1_b32 s22, s15, exec_lo
	s_and_b32 s23, s19, exec_lo
	s_or_b32 s19, s21, s0
	s_or_b32 s0, s22, s23
	s_or_not1_b32 s20, s20, exec_lo
.LBB8_800:
	s_wait_xcnt 0x0
	s_or_b32 exec_lo, exec_lo, s18
	s_mov_b32 s21, 0
	s_mov_b32 s22, 0
	;; [unrolled: 1-line block ×3, first 2 shown]
                                        ; implicit-def: $vgpr0_vgpr1
                                        ; implicit-def: $vgpr2_vgpr3
	s_and_saveexec_b32 s18, s20
	s_cbranch_execz .LBB8_885
; %bb.801:
	v_cmp_gt_i32_e32 vcc_lo, s12, v10
	s_mov_b32 s20, 0
	s_mov_b32 s21, s0
	;; [unrolled: 1-line block ×3, first 2 shown]
                                        ; implicit-def: $vgpr0_vgpr1
                                        ; implicit-def: $vgpr2_vgpr3
	s_and_saveexec_b32 s12, vcc_lo
	s_cbranch_execz .LBB8_884
; %bb.802:
	v_mul_lo_u32 v0, v10, s3
	s_and_b32 s20, 0xffff, s9
	s_delay_alu instid0(SALU_CYCLE_1) | instskip(NEXT) | instid1(VALU_DEP_1)
	s_cmp_lt_i32 s20, 11
	v_ashrrev_i32_e32 v1, 31, v0
	s_delay_alu instid0(VALU_DEP_1)
	v_add_nc_u64_e32 v[0:1], s[6:7], v[0:1]
	s_cbranch_scc1 .LBB8_809
; %bb.803:
	s_cmp_gt_i32 s20, 25
	s_cbranch_scc0 .LBB8_810
; %bb.804:
	s_cmp_gt_i32 s20, 28
	s_cbranch_scc0 .LBB8_811
	;; [unrolled: 3-line block ×4, first 2 shown]
; %bb.807:
	s_cmp_eq_u32 s20, 46
	s_cbranch_scc0 .LBB8_818
; %bb.808:
	s_wait_loadcnt 0x0
	global_load_b32 v2, v[0:1], off
	s_mov_b32 s21, 0
	s_mov_b32 s23, -1
	s_wait_loadcnt 0x0
	v_lshlrev_b32_e32 v2, 16, v2
	s_delay_alu instid0(VALU_DEP_1)
	v_cvt_f64_f32_e32 v[2:3], v2
	s_branch .LBB8_820
.LBB8_809:
	s_mov_b32 s20, -1
	s_mov_b32 s21, s0
                                        ; implicit-def: $vgpr2_vgpr3
	s_branch .LBB8_883
.LBB8_810:
	s_mov_b32 s24, -1
	s_mov_b32 s21, s0
                                        ; implicit-def: $vgpr2_vgpr3
	s_branch .LBB8_849
.LBB8_811:
	s_mov_b32 s24, -1
	s_mov_b32 s21, s0
                                        ; implicit-def: $vgpr2_vgpr3
	s_branch .LBB8_830
.LBB8_812:
	s_mov_b32 s24, -1
	s_mov_b32 s21, s0
                                        ; implicit-def: $vgpr2_vgpr3
	s_branch .LBB8_825
.LBB8_813:
	s_and_not1_saveexec_b32 s24, s24
	s_cbranch_execz .LBB8_708
.LBB8_814:
	v_add_f32_e64 v3, 0x46000000, |v2|
	s_and_not1_b32 s23, s23, exec_lo
	s_delay_alu instid0(VALU_DEP_1) | instskip(NEXT) | instid1(VALU_DEP_1)
	v_and_b32_e32 v3, 0xff, v3
	v_cmp_ne_u32_e32 vcc_lo, 0, v3
	s_and_b32 s25, vcc_lo, exec_lo
	s_delay_alu instid0(SALU_CYCLE_1)
	s_or_b32 s23, s23, s25
	s_or_b32 exec_lo, exec_lo, s24
	v_mov_b32_e32 v6, 0
	s_and_saveexec_b32 s24, s23
	s_cbranch_execnz .LBB8_709
	s_branch .LBB8_710
.LBB8_815:
	s_mov_b32 s24, -1
	s_mov_b32 s21, s0
	s_branch .LBB8_819
.LBB8_816:
	s_and_not1_saveexec_b32 s24, s24
	s_cbranch_execz .LBB8_721
.LBB8_817:
	v_add_f32_e64 v3, 0x42800000, |v2|
	s_and_not1_b32 s23, s23, exec_lo
	s_delay_alu instid0(VALU_DEP_1) | instskip(NEXT) | instid1(VALU_DEP_1)
	v_and_b32_e32 v3, 0xff, v3
	v_cmp_ne_u32_e32 vcc_lo, 0, v3
	s_and_b32 s25, vcc_lo, exec_lo
	s_delay_alu instid0(SALU_CYCLE_1)
	s_or_b32 s23, s23, s25
	s_or_b32 exec_lo, exec_lo, s24
	v_mov_b32_e32 v6, 0
	s_and_saveexec_b32 s24, s23
	s_cbranch_execnz .LBB8_722
	s_branch .LBB8_723
.LBB8_818:
	s_mov_b32 s21, -1
.LBB8_819:
                                        ; implicit-def: $vgpr2_vgpr3
.LBB8_820:
	s_and_b32 vcc_lo, exec_lo, s24
	s_cbranch_vccz .LBB8_824
; %bb.821:
	s_cmp_eq_u32 s20, 44
	s_cbranch_scc0 .LBB8_823
; %bb.822:
	global_load_u8 v4, v[0:1], off
	s_mov_b32 s21, 0
	s_mov_b32 s23, -1
	s_wait_loadcnt 0x0
	v_cmp_ne_u32_e32 vcc_lo, 0xff, v4
	v_lshlrev_b32_e32 v2, 23, v4
	s_delay_alu instid0(VALU_DEP_1) | instskip(NEXT) | instid1(VALU_DEP_1)
	v_cvt_f64_f32_e32 v[2:3], v2
	v_cndmask_b32_e32 v2, 0x20000000, v2, vcc_lo
	s_delay_alu instid0(VALU_DEP_2) | instskip(SKIP_1) | instid1(VALU_DEP_2)
	v_cndmask_b32_e32 v3, 0x7ff80000, v3, vcc_lo
	v_cmp_ne_u32_e32 vcc_lo, 0, v4
	v_cndmask_b32_e32 v3, 0x38000000, v3, vcc_lo
	s_delay_alu instid0(VALU_DEP_4)
	v_cndmask_b32_e32 v2, 0, v2, vcc_lo
	s_branch .LBB8_824
.LBB8_823:
	s_mov_b32 s21, -1
                                        ; implicit-def: $vgpr2_vgpr3
.LBB8_824:
	s_mov_b32 s24, 0
.LBB8_825:
	s_delay_alu instid0(SALU_CYCLE_1)
	s_and_b32 vcc_lo, exec_lo, s24
	s_cbranch_vccz .LBB8_829
; %bb.826:
	s_cmp_eq_u32 s20, 29
	s_cbranch_scc0 .LBB8_828
; %bb.827:
	s_wait_loadcnt 0x0
	global_load_b64 v[2:3], v[0:1], off
	s_mov_b32 s21, 0
	s_mov_b32 s23, -1
	s_mov_b32 s24, 0
	s_wait_loadcnt 0x0
	v_cvt_f64_u32_e32 v[4:5], v3
	v_cvt_f64_u32_e32 v[2:3], v2
	s_delay_alu instid0(VALU_DEP_2) | instskip(NEXT) | instid1(VALU_DEP_1)
	v_ldexp_f64 v[4:5], v[4:5], 32
	v_add_f64_e32 v[2:3], v[4:5], v[2:3]
	s_branch .LBB8_830
.LBB8_828:
	s_mov_b32 s21, -1
                                        ; implicit-def: $vgpr2_vgpr3
.LBB8_829:
	s_mov_b32 s24, 0
.LBB8_830:
	s_delay_alu instid0(SALU_CYCLE_1)
	s_and_b32 vcc_lo, exec_lo, s24
	s_cbranch_vccz .LBB8_848
; %bb.831:
	s_cmp_lt_i32 s20, 27
	s_cbranch_scc1 .LBB8_834
; %bb.832:
	s_cmp_gt_i32 s20, 27
	s_cbranch_scc0 .LBB8_835
; %bb.833:
	s_wait_loadcnt 0x0
	global_load_b32 v2, v[0:1], off
	s_mov_b32 s23, 0
	s_wait_loadcnt 0x0
	v_cvt_f64_u32_e32 v[2:3], v2
	s_branch .LBB8_836
.LBB8_834:
	s_mov_b32 s23, -1
                                        ; implicit-def: $vgpr2_vgpr3
	s_branch .LBB8_839
.LBB8_835:
	s_mov_b32 s23, -1
                                        ; implicit-def: $vgpr2_vgpr3
.LBB8_836:
	s_delay_alu instid0(SALU_CYCLE_1)
	s_and_not1_b32 vcc_lo, exec_lo, s23
	s_cbranch_vccnz .LBB8_838
; %bb.837:
	s_wait_loadcnt 0x0
	global_load_u16 v2, v[0:1], off
	s_wait_loadcnt 0x0
	v_cvt_f64_u32_e32 v[2:3], v2
.LBB8_838:
	s_mov_b32 s23, 0
.LBB8_839:
	s_delay_alu instid0(SALU_CYCLE_1)
	s_and_not1_b32 vcc_lo, exec_lo, s23
	s_cbranch_vccnz .LBB8_847
; %bb.840:
	global_load_u8 v4, v[0:1], off
	s_mov_b32 s23, 0
	s_mov_b32 s24, exec_lo
	s_wait_loadcnt 0x0
	v_cmpx_lt_i16_e32 0x7f, v4
	s_xor_b32 s24, exec_lo, s24
	s_cbranch_execz .LBB8_861
; %bb.841:
	s_mov_b32 s23, -1
	s_mov_b32 s25, exec_lo
	v_cmpx_eq_u16_e32 0x80, v4
; %bb.842:
	s_xor_b32 s23, exec_lo, -1
; %bb.843:
	s_or_b32 exec_lo, exec_lo, s25
	s_delay_alu instid0(SALU_CYCLE_1)
	s_and_b32 s23, s23, exec_lo
	s_or_saveexec_b32 s24, s24
	v_mov_b64_e32 v[2:3], 0x7ff8000020000000
	s_xor_b32 exec_lo, exec_lo, s24
	s_cbranch_execnz .LBB8_862
.LBB8_844:
	s_or_b32 exec_lo, exec_lo, s24
	s_and_saveexec_b32 s24, s23
	s_cbranch_execz .LBB8_846
.LBB8_845:
	v_and_b32_e32 v2, 0xffff, v4
	s_delay_alu instid0(VALU_DEP_1) | instskip(SKIP_1) | instid1(VALU_DEP_2)
	v_and_b32_e32 v3, 7, v2
	v_bfe_u32 v7, v2, 3, 4
	v_clz_i32_u32_e32 v5, v3
	s_delay_alu instid0(VALU_DEP_2) | instskip(NEXT) | instid1(VALU_DEP_2)
	v_cmp_eq_u32_e32 vcc_lo, 0, v7
	v_min_u32_e32 v5, 32, v5
	s_delay_alu instid0(VALU_DEP_1) | instskip(NEXT) | instid1(VALU_DEP_1)
	v_subrev_nc_u32_e32 v6, 28, v5
	v_dual_lshlrev_b32 v2, v6, v2 :: v_dual_sub_nc_u32 v5, 29, v5
	s_delay_alu instid0(VALU_DEP_1) | instskip(NEXT) | instid1(VALU_DEP_2)
	v_dual_lshlrev_b32 v4, 24, v4 :: v_dual_bitop2_b32 v2, 7, v2 bitop3:0x40
	v_cndmask_b32_e32 v5, v7, v5, vcc_lo
	s_delay_alu instid0(VALU_DEP_2) | instskip(NEXT) | instid1(VALU_DEP_3)
	v_cndmask_b32_e32 v2, v3, v2, vcc_lo
	v_and_b32_e32 v3, 0x80000000, v4
	s_delay_alu instid0(VALU_DEP_3) | instskip(NEXT) | instid1(VALU_DEP_3)
	v_lshl_add_u32 v4, v5, 23, 0x3b800000
	v_lshlrev_b32_e32 v2, 20, v2
	s_delay_alu instid0(VALU_DEP_1) | instskip(NEXT) | instid1(VALU_DEP_1)
	v_or3_b32 v2, v3, v4, v2
	v_cvt_f64_f32_e32 v[2:3], v2
.LBB8_846:
	s_or_b32 exec_lo, exec_lo, s24
.LBB8_847:
	s_mov_b32 s23, -1
.LBB8_848:
	s_mov_b32 s24, 0
.LBB8_849:
	s_delay_alu instid0(SALU_CYCLE_1)
	s_and_b32 vcc_lo, exec_lo, s24
	s_cbranch_vccz .LBB8_882
; %bb.850:
	s_cmp_gt_i32 s20, 22
	s_cbranch_scc0 .LBB8_860
; %bb.851:
	s_cmp_lt_i32 s20, 24
	s_cbranch_scc1 .LBB8_863
; %bb.852:
	s_cmp_gt_i32 s20, 24
	s_cbranch_scc0 .LBB8_864
; %bb.853:
	global_load_u8 v4, v[0:1], off
	s_mov_b32 s23, exec_lo
	s_wait_loadcnt 0x0
	v_cmpx_lt_i16_e32 0x7f, v4
	s_xor_b32 s23, exec_lo, s23
	s_cbranch_execz .LBB8_876
; %bb.854:
	s_mov_b32 s22, -1
	s_mov_b32 s24, exec_lo
	v_cmpx_eq_u16_e32 0x80, v4
; %bb.855:
	s_xor_b32 s22, exec_lo, -1
; %bb.856:
	s_or_b32 exec_lo, exec_lo, s24
	s_delay_alu instid0(SALU_CYCLE_1)
	s_and_b32 s22, s22, exec_lo
	s_or_saveexec_b32 s23, s23
	v_mov_b64_e32 v[2:3], 0x7ff8000020000000
	s_xor_b32 exec_lo, exec_lo, s23
	s_cbranch_execnz .LBB8_877
.LBB8_857:
	s_or_b32 exec_lo, exec_lo, s23
	s_and_saveexec_b32 s23, s22
	s_cbranch_execz .LBB8_859
.LBB8_858:
	v_and_b32_e32 v2, 0xffff, v4
	s_delay_alu instid0(VALU_DEP_1) | instskip(SKIP_1) | instid1(VALU_DEP_2)
	v_and_b32_e32 v3, 3, v2
	v_bfe_u32 v7, v2, 2, 5
	v_clz_i32_u32_e32 v5, v3
	s_delay_alu instid0(VALU_DEP_2) | instskip(NEXT) | instid1(VALU_DEP_2)
	v_cmp_eq_u32_e32 vcc_lo, 0, v7
	v_min_u32_e32 v5, 32, v5
	s_delay_alu instid0(VALU_DEP_1) | instskip(NEXT) | instid1(VALU_DEP_1)
	v_subrev_nc_u32_e32 v6, 29, v5
	v_dual_lshlrev_b32 v2, v6, v2 :: v_dual_sub_nc_u32 v5, 30, v5
	s_delay_alu instid0(VALU_DEP_1) | instskip(NEXT) | instid1(VALU_DEP_2)
	v_dual_lshlrev_b32 v4, 24, v4 :: v_dual_bitop2_b32 v2, 3, v2 bitop3:0x40
	v_cndmask_b32_e32 v5, v7, v5, vcc_lo
	s_delay_alu instid0(VALU_DEP_2) | instskip(NEXT) | instid1(VALU_DEP_3)
	v_cndmask_b32_e32 v2, v3, v2, vcc_lo
	v_and_b32_e32 v3, 0x80000000, v4
	s_delay_alu instid0(VALU_DEP_3) | instskip(NEXT) | instid1(VALU_DEP_3)
	v_lshl_add_u32 v4, v5, 23, 0x37800000
	v_lshlrev_b32_e32 v2, 21, v2
	s_delay_alu instid0(VALU_DEP_1) | instskip(NEXT) | instid1(VALU_DEP_1)
	v_or3_b32 v2, v3, v4, v2
	v_cvt_f64_f32_e32 v[2:3], v2
.LBB8_859:
	s_or_b32 exec_lo, exec_lo, s23
	s_mov_b32 s22, 0
	s_branch .LBB8_865
.LBB8_860:
	s_mov_b32 s22, -1
                                        ; implicit-def: $vgpr2_vgpr3
	s_branch .LBB8_871
.LBB8_861:
	s_or_saveexec_b32 s24, s24
	v_mov_b64_e32 v[2:3], 0x7ff8000020000000
	s_xor_b32 exec_lo, exec_lo, s24
	s_cbranch_execz .LBB8_844
.LBB8_862:
	v_cmp_ne_u16_e32 vcc_lo, 0, v4
	v_mov_b64_e32 v[2:3], 0
	s_and_not1_b32 s23, s23, exec_lo
	s_and_b32 s25, vcc_lo, exec_lo
	s_delay_alu instid0(SALU_CYCLE_1)
	s_or_b32 s23, s23, s25
	s_or_b32 exec_lo, exec_lo, s24
	s_and_saveexec_b32 s24, s23
	s_cbranch_execnz .LBB8_845
	s_branch .LBB8_846
.LBB8_863:
	s_mov_b32 s22, -1
                                        ; implicit-def: $vgpr2_vgpr3
	s_branch .LBB8_868
.LBB8_864:
	s_mov_b32 s22, -1
                                        ; implicit-def: $vgpr2_vgpr3
.LBB8_865:
	s_delay_alu instid0(SALU_CYCLE_1)
	s_and_b32 vcc_lo, exec_lo, s22
	s_cbranch_vccz .LBB8_867
; %bb.866:
	s_wait_loadcnt 0x0
	global_load_u8 v2, v[0:1], off
	s_wait_loadcnt 0x0
	v_lshlrev_b32_e32 v2, 24, v2
	s_delay_alu instid0(VALU_DEP_1) | instskip(NEXT) | instid1(VALU_DEP_1)
	v_and_b32_e32 v3, 0x7f000000, v2
	v_clz_i32_u32_e32 v4, v3
	v_cmp_ne_u32_e32 vcc_lo, 0, v3
	v_add_nc_u32_e32 v6, 0x1000000, v3
	s_delay_alu instid0(VALU_DEP_3) | instskip(NEXT) | instid1(VALU_DEP_1)
	v_min_u32_e32 v4, 32, v4
	v_sub_nc_u32_e64 v4, v4, 4 clamp
	s_delay_alu instid0(VALU_DEP_1) | instskip(NEXT) | instid1(VALU_DEP_1)
	v_dual_lshlrev_b32 v5, v4, v3 :: v_dual_lshlrev_b32 v4, 23, v4
	v_lshrrev_b32_e32 v5, 4, v5
	s_delay_alu instid0(VALU_DEP_1) | instskip(NEXT) | instid1(VALU_DEP_1)
	v_dual_sub_nc_u32 v4, v5, v4 :: v_dual_ashrrev_i32 v5, 8, v6
	v_add_nc_u32_e32 v4, 0x3c000000, v4
	s_delay_alu instid0(VALU_DEP_1) | instskip(NEXT) | instid1(VALU_DEP_1)
	v_and_or_b32 v4, 0x7f800000, v5, v4
	v_cndmask_b32_e32 v3, 0, v4, vcc_lo
	s_delay_alu instid0(VALU_DEP_1) | instskip(NEXT) | instid1(VALU_DEP_1)
	v_and_or_b32 v2, 0x80000000, v2, v3
	v_cvt_f64_f32_e32 v[2:3], v2
.LBB8_867:
	s_mov_b32 s22, 0
.LBB8_868:
	s_delay_alu instid0(SALU_CYCLE_1)
	s_and_not1_b32 vcc_lo, exec_lo, s22
	s_cbranch_vccnz .LBB8_870
; %bb.869:
	s_wait_loadcnt 0x0
	global_load_u8 v2, v[0:1], off
	s_wait_loadcnt 0x0
	v_lshlrev_b32_e32 v3, 25, v2
	v_lshlrev_b16 v2, 8, v2
	s_delay_alu instid0(VALU_DEP_1) | instskip(SKIP_1) | instid1(VALU_DEP_2)
	v_and_or_b32 v5, 0x7f00, v2, 0.5
	v_bfe_i32 v2, v2, 0, 16
	v_dual_add_f32 v5, -0.5, v5 :: v_dual_lshrrev_b32 v4, 4, v3
	v_cmp_gt_u32_e32 vcc_lo, 0x8000000, v3
	s_delay_alu instid0(VALU_DEP_2) | instskip(NEXT) | instid1(VALU_DEP_1)
	v_or_b32_e32 v4, 0x70000000, v4
	v_mul_f32_e32 v4, 0x7800000, v4
	s_delay_alu instid0(VALU_DEP_1) | instskip(NEXT) | instid1(VALU_DEP_1)
	v_cndmask_b32_e32 v3, v4, v5, vcc_lo
	v_and_or_b32 v2, 0x80000000, v2, v3
	s_delay_alu instid0(VALU_DEP_1)
	v_cvt_f64_f32_e32 v[2:3], v2
.LBB8_870:
	s_mov_b32 s22, 0
	s_mov_b32 s23, -1
.LBB8_871:
	s_and_not1_b32 vcc_lo, exec_lo, s22
	s_mov_b32 s22, 0
	s_cbranch_vccnz .LBB8_882
; %bb.872:
	s_cmp_gt_i32 s20, 14
	s_cbranch_scc0 .LBB8_875
; %bb.873:
	s_cmp_eq_u32 s20, 15
	s_cbranch_scc0 .LBB8_878
; %bb.874:
	s_wait_loadcnt 0x0
	global_load_u16 v2, v[0:1], off
	s_mov_b32 s21, 0
	s_mov_b32 s23, -1
	s_wait_loadcnt 0x0
	v_lshlrev_b32_e32 v2, 16, v2
	s_delay_alu instid0(VALU_DEP_1)
	v_cvt_f64_f32_e32 v[2:3], v2
	s_branch .LBB8_880
.LBB8_875:
	s_mov_b32 s22, -1
	s_branch .LBB8_879
.LBB8_876:
	s_or_saveexec_b32 s23, s23
	v_mov_b64_e32 v[2:3], 0x7ff8000020000000
	s_xor_b32 exec_lo, exec_lo, s23
	s_cbranch_execz .LBB8_857
.LBB8_877:
	v_cmp_ne_u16_e32 vcc_lo, 0, v4
	v_mov_b64_e32 v[2:3], 0
	s_and_not1_b32 s22, s22, exec_lo
	s_and_b32 s24, vcc_lo, exec_lo
	s_delay_alu instid0(SALU_CYCLE_1)
	s_or_b32 s22, s22, s24
	s_or_b32 exec_lo, exec_lo, s23
	s_and_saveexec_b32 s23, s22
	s_cbranch_execnz .LBB8_858
	s_branch .LBB8_859
.LBB8_878:
	s_mov_b32 s21, -1
.LBB8_879:
                                        ; implicit-def: $vgpr2_vgpr3
.LBB8_880:
	s_and_b32 vcc_lo, exec_lo, s22
	s_mov_b32 s22, 0
	s_cbranch_vccz .LBB8_882
; %bb.881:
	s_cmp_lg_u32 s20, 11
	s_mov_b32 s22, -1
	s_cselect_b32 s20, -1, 0
	s_and_not1_b32 s21, s21, exec_lo
	s_and_b32 s20, s20, exec_lo
	s_delay_alu instid0(SALU_CYCLE_1)
	s_or_b32 s21, s21, s20
.LBB8_882:
	s_mov_b32 s20, 0
.LBB8_883:
	s_and_not1_b32 s25, s0, exec_lo
	s_and_b32 s21, s21, exec_lo
	s_and_b32 s23, s23, exec_lo
	;; [unrolled: 1-line block ×4, first 2 shown]
	s_or_b32 s21, s25, s21
.LBB8_884:
	s_wait_xcnt 0x0
	s_or_b32 exec_lo, exec_lo, s12
	s_delay_alu instid0(SALU_CYCLE_1)
	s_and_not1_b32 s0, s0, exec_lo
	s_and_b32 s12, s21, exec_lo
	s_and_b32 s23, s23, exec_lo
	;; [unrolled: 1-line block ×4, first 2 shown]
	s_or_b32 s0, s0, s12
.LBB8_885:
	s_or_b32 exec_lo, exec_lo, s18
	s_delay_alu instid0(SALU_CYCLE_1)
	s_and_not1_b32 s12, s16, exec_lo
	s_and_b32 s16, s19, exec_lo
	s_and_b32 s0, s0, exec_lo
	s_or_b32 s16, s12, s16
	s_and_not1_b32 s12, s15, exec_lo
	s_and_b32 s20, s23, exec_lo
	s_and_b32 s19, s22, exec_lo
	;; [unrolled: 1-line block ×3, first 2 shown]
	s_or_b32 s15, s12, s0
.LBB8_886:
	s_or_b32 exec_lo, exec_lo, s17
	s_delay_alu instid0(SALU_CYCLE_1)
	s_and_not1_b32 s0, s11, exec_lo
	s_and_b32 s11, s16, exec_lo
	s_and_not1_b32 s12, s13, exec_lo
	s_and_b32 s13, s15, exec_lo
	s_or_b32 s11, s0, s11
	s_and_b32 s0, s20, exec_lo
	s_and_b32 s16, s19, exec_lo
	;; [unrolled: 1-line block ×3, first 2 shown]
	s_or_b32 s13, s12, s13
	s_or_b32 exec_lo, exec_lo, s14
	s_mov_b32 s12, 0
	s_and_saveexec_b32 s14, s13
	s_cbranch_execz .LBB8_270
.LBB8_887:
	s_mov_b32 s12, exec_lo
	s_and_not1_b32 s15, s15, exec_lo
	s_trap 2
	s_or_b32 exec_lo, exec_lo, s14
	s_and_saveexec_b32 s13, s15
	s_delay_alu instid0(SALU_CYCLE_1)
	s_xor_b32 s13, exec_lo, s13
	s_cbranch_execnz .LBB8_271
.LBB8_888:
	s_or_b32 exec_lo, exec_lo, s13
	s_and_saveexec_b32 s13, s16
	s_cbranch_execz .LBB8_934
.LBB8_889:
	s_sext_i32_i16 s14, s9
	s_delay_alu instid0(SALU_CYCLE_1)
	s_cmp_lt_i32 s14, 5
	s_cbranch_scc1 .LBB8_894
; %bb.890:
	s_cmp_lt_i32 s14, 8
	s_cbranch_scc1 .LBB8_895
; %bb.891:
	;; [unrolled: 3-line block ×3, first 2 shown]
	s_cmp_gt_i32 s14, 9
	s_cbranch_scc0 .LBB8_897
; %bb.893:
	s_wait_loadcnt 0x0
	global_load_b64 v[2:3], v[0:1], off
	s_mov_b32 s14, 0
	s_branch .LBB8_898
.LBB8_894:
                                        ; implicit-def: $vgpr2_vgpr3
	s_branch .LBB8_915
.LBB8_895:
                                        ; implicit-def: $vgpr2_vgpr3
	s_branch .LBB8_904
.LBB8_896:
	s_mov_b32 s14, -1
                                        ; implicit-def: $vgpr2_vgpr3
	s_branch .LBB8_901
.LBB8_897:
	s_mov_b32 s14, -1
                                        ; implicit-def: $vgpr2_vgpr3
.LBB8_898:
	s_delay_alu instid0(SALU_CYCLE_1)
	s_and_not1_b32 vcc_lo, exec_lo, s14
	s_cbranch_vccnz .LBB8_900
; %bb.899:
	s_wait_loadcnt 0x0
	global_load_b32 v2, v[0:1], off
	s_wait_loadcnt 0x0
	v_cvt_f64_f32_e32 v[2:3], v2
.LBB8_900:
	s_mov_b32 s14, 0
.LBB8_901:
	s_delay_alu instid0(SALU_CYCLE_1)
	s_and_not1_b32 vcc_lo, exec_lo, s14
	s_cbranch_vccnz .LBB8_903
; %bb.902:
	s_wait_loadcnt 0x0
	global_load_b32 v2, v[0:1], off
	s_wait_loadcnt 0x0
	v_cvt_f32_f16_e32 v2, v2
	s_delay_alu instid0(VALU_DEP_1)
	v_cvt_f64_f32_e32 v[2:3], v2
.LBB8_903:
	s_cbranch_execnz .LBB8_914
.LBB8_904:
	s_sext_i32_i16 s14, s9
	s_delay_alu instid0(SALU_CYCLE_1)
	s_cmp_lt_i32 s14, 6
	s_cbranch_scc1 .LBB8_907
; %bb.905:
	s_cmp_gt_i32 s14, 6
	s_cbranch_scc0 .LBB8_908
; %bb.906:
	s_wait_loadcnt 0x0
	global_load_b64 v[2:3], v[0:1], off
	s_mov_b32 s14, 0
	s_branch .LBB8_909
.LBB8_907:
	s_mov_b32 s14, -1
                                        ; implicit-def: $vgpr2_vgpr3
	s_branch .LBB8_912
.LBB8_908:
	s_mov_b32 s14, -1
                                        ; implicit-def: $vgpr2_vgpr3
.LBB8_909:
	s_delay_alu instid0(SALU_CYCLE_1)
	s_and_not1_b32 vcc_lo, exec_lo, s14
	s_cbranch_vccnz .LBB8_911
; %bb.910:
	s_wait_loadcnt 0x0
	global_load_b32 v2, v[0:1], off
	s_wait_loadcnt 0x0
	v_cvt_f64_f32_e32 v[2:3], v2
.LBB8_911:
	s_mov_b32 s14, 0
.LBB8_912:
	s_delay_alu instid0(SALU_CYCLE_1)
	s_and_not1_b32 vcc_lo, exec_lo, s14
	s_cbranch_vccnz .LBB8_914
; %bb.913:
	s_wait_loadcnt 0x0
	global_load_u16 v2, v[0:1], off
	s_wait_loadcnt 0x0
	v_cvt_f32_f16_e32 v2, v2
	s_delay_alu instid0(VALU_DEP_1)
	v_cvt_f64_f32_e32 v[2:3], v2
.LBB8_914:
	s_cbranch_execnz .LBB8_933
.LBB8_915:
	s_sext_i32_i16 s14, s9
	s_delay_alu instid0(SALU_CYCLE_1)
	s_cmp_lt_i32 s14, 2
	s_cbranch_scc1 .LBB8_919
; %bb.916:
	s_cmp_lt_i32 s14, 3
	s_cbranch_scc1 .LBB8_920
; %bb.917:
	s_cmp_gt_i32 s14, 3
	s_cbranch_scc0 .LBB8_921
; %bb.918:
	s_wait_loadcnt 0x0
	global_load_b64 v[2:3], v[0:1], off
	s_mov_b32 s14, 0
	s_wait_loadcnt 0x0
	v_cvt_f64_i32_e32 v[4:5], v3
	v_cvt_f64_u32_e32 v[2:3], v2
	s_delay_alu instid0(VALU_DEP_2) | instskip(NEXT) | instid1(VALU_DEP_1)
	v_ldexp_f64 v[4:5], v[4:5], 32
	v_add_f64_e32 v[2:3], v[4:5], v[2:3]
	s_branch .LBB8_922
.LBB8_919:
                                        ; implicit-def: $vgpr2_vgpr3
	s_branch .LBB8_928
.LBB8_920:
	s_mov_b32 s14, -1
                                        ; implicit-def: $vgpr2_vgpr3
	s_branch .LBB8_925
.LBB8_921:
	s_mov_b32 s14, -1
                                        ; implicit-def: $vgpr2_vgpr3
.LBB8_922:
	s_delay_alu instid0(SALU_CYCLE_1)
	s_and_not1_b32 vcc_lo, exec_lo, s14
	s_cbranch_vccnz .LBB8_924
; %bb.923:
	s_wait_loadcnt 0x0
	global_load_b32 v2, v[0:1], off
	s_wait_loadcnt 0x0
	v_cvt_f64_i32_e32 v[2:3], v2
.LBB8_924:
	s_mov_b32 s14, 0
.LBB8_925:
	s_delay_alu instid0(SALU_CYCLE_1)
	s_and_not1_b32 vcc_lo, exec_lo, s14
	s_cbranch_vccnz .LBB8_927
; %bb.926:
	s_wait_loadcnt 0x0
	global_load_i16 v2, v[0:1], off
	s_wait_loadcnt 0x0
	v_cvt_f64_i32_e32 v[2:3], v2
.LBB8_927:
	s_cbranch_execnz .LBB8_933
.LBB8_928:
	s_sext_i32_i16 s14, s9
	s_delay_alu instid0(SALU_CYCLE_1)
	s_cmp_gt_i32 s14, 0
	s_mov_b32 s14, 0
	s_cbranch_scc0 .LBB8_930
; %bb.929:
	s_wait_loadcnt 0x0
	global_load_i8 v2, v[0:1], off
	s_wait_loadcnt 0x0
	v_cvt_f64_i32_e32 v[2:3], v2
	s_branch .LBB8_931
.LBB8_930:
	s_mov_b32 s14, -1
                                        ; implicit-def: $vgpr2_vgpr3
.LBB8_931:
	s_delay_alu instid0(SALU_CYCLE_1)
	s_and_not1_b32 vcc_lo, exec_lo, s14
	s_cbranch_vccnz .LBB8_933
; %bb.932:
	global_load_u8 v0, v[0:1], off
	s_wait_loadcnt 0x0
	v_cvt_f64_u32_e32 v[2:3], v0
.LBB8_933:
	s_or_b32 s0, s0, exec_lo
.LBB8_934:
	s_wait_xcnt 0x0
	s_or_b32 exec_lo, exec_lo, s13
	s_mov_b32 s16, 0
	s_mov_b32 s15, 0
                                        ; implicit-def: $sgpr14
                                        ; implicit-def: $vgpr4_vgpr5
                                        ; implicit-def: $vgpr0_vgpr1
	s_and_saveexec_b32 s13, s0
	s_cbranch_execz .LBB8_950
; %bb.935:
	v_mov_b64_e32 v[0:1], 0x7ff0000000000000
	s_mov_b32 s14, exec_lo
	s_wait_loadcnt 0x0
	s_delay_alu instid0(VALU_DEP_2)
	v_cmpx_neq_f64_e32 0, v[2:3]
	s_cbranch_execz .LBB8_943
; %bb.936:
	v_mov_b64_e32 v[0:1], 0x7ff8000000000000
	s_mov_b32 s15, exec_lo
	v_cmpx_ngt_f64_e32 0, v[2:3]
	s_cbranch_execz .LBB8_942
; %bb.937:
                                        ; implicit-def: $vgpr0_vgpr1
	s_mov_b32 s0, exec_lo
	v_cmpx_ge_f64_e32 2.0, v[2:3]
	s_xor_b32 s16, exec_lo, s0
	s_cbranch_execz .LBB8_939
; %bb.938:
	v_fma_f64 v[0:1], v[2:3], 0.5, -2.0
	s_mov_b64 s[18:19], 0xbc545cb72134d0ef
	v_mul_f64_e32 v[8:9], 0.5, v[2:3]
	s_delay_alu instid0(VALU_DEP_2) | instskip(SKIP_1) | instid1(VALU_DEP_2)
	v_fmaak_f64 v[4:5], s[18:19], v[0:1], 0x3c833362977da589
	s_mov_b64 s[18:19], 0x3fe5555555555555
	v_frexp_mant_f64_e32 v[12:13], v[8:9]
	v_cmp_neq_f64_e64 s0, 0, v[8:9]
	s_delay_alu instid0(VALU_DEP_3) | instskip(NEXT) | instid1(VALU_DEP_1)
	v_fmaak_f64 v[6:7], v[0:1], v[4:5], 0x3c545cb72134d0ef
	v_add_f64_e32 v[6:7], 0xbcb184eb721ebbb4, v[6:7]
	s_delay_alu instid0(VALU_DEP_4) | instskip(SKIP_1) | instid1(VALU_DEP_2)
	v_cmp_gt_f64_e32 vcc_lo, s[18:19], v[12:13]
	s_mov_b64 s[18:19], 0x3fc3ab76bf559e2b
	v_fma_f64 v[4:5], v[0:1], v[6:7], -v[4:5]
	v_cndmask_b32_e64 v11, 0, 1, vcc_lo
	s_delay_alu instid0(VALU_DEP_1) | instskip(SKIP_1) | instid1(VALU_DEP_4)
	v_ldexp_f64 v[12:13], v[12:13], v11
	v_frexp_exp_i32_f64_e32 v11, v[8:9]
	v_add_f64_e32 v[4:5], 0x3cdee6d893f65eba, v[4:5]
	s_delay_alu instid0(VALU_DEP_3) | instskip(SKIP_1) | instid1(VALU_DEP_4)
	v_add_f64_e32 v[14:15], 1.0, v[12:13]
	v_add_f64_e32 v[20:21], -1.0, v[12:13]
	v_subrev_co_ci_u32_e64 v11, null, 0, v11, vcc_lo
	v_cmp_neq_f64_e32 vcc_lo, 0x7ff00000, v[8:9]
	v_fma_f64 v[6:7], v[0:1], v[4:5], -v[6:7]
	v_rcp_f64_e32 v[16:17], v[14:15]
	v_add_f64_e32 v[22:23], -1.0, v[14:15]
	s_delay_alu instid0(VALU_DEP_2) | instskip(NEXT) | instid1(VALU_DEP_2)
	v_add_f64_e32 v[6:7], 0xbd0a5022c297fbeb, v[6:7]
	v_add_f64_e64 v[12:13], v[12:13], -v[22:23]
	s_delay_alu instid0(TRANS32_DEP_1) | instskip(NEXT) | instid1(VALU_DEP_3)
	v_fma_f64 v[18:19], -v[14:15], v[16:17], 1.0
	v_fma_f64 v[4:5], v[0:1], v[6:7], -v[4:5]
	s_delay_alu instid0(VALU_DEP_2) | instskip(NEXT) | instid1(VALU_DEP_2)
	v_fmac_f64_e32 v[16:17], v[18:19], v[16:17]
	v_add_f64_e32 v[4:5], 0x3d359b464b262627, v[4:5]
	s_delay_alu instid0(VALU_DEP_2) | instskip(NEXT) | instid1(VALU_DEP_2)
	v_fma_f64 v[18:19], -v[14:15], v[16:17], 1.0
	v_fma_f64 v[6:7], v[0:1], v[4:5], -v[6:7]
	s_delay_alu instid0(VALU_DEP_2) | instskip(NEXT) | instid1(VALU_DEP_2)
	v_fmac_f64_e32 v[16:17], v[18:19], v[16:17]
	v_add_f64_e32 v[6:7], 0xbd61164c62ee1af0, v[6:7]
	s_delay_alu instid0(VALU_DEP_2) | instskip(NEXT) | instid1(VALU_DEP_2)
	v_mul_f64_e32 v[18:19], v[20:21], v[16:17]
	v_fma_f64 v[4:5], v[0:1], v[6:7], -v[4:5]
	s_delay_alu instid0(VALU_DEP_2) | instskip(NEXT) | instid1(VALU_DEP_2)
	v_mul_f64_e32 v[24:25], v[14:15], v[18:19]
	v_add_f64_e32 v[4:5], 0x3d89fe2fe19bd324, v[4:5]
	s_delay_alu instid0(VALU_DEP_2) | instskip(NEXT) | instid1(VALU_DEP_2)
	v_fma_f64 v[14:15], v[18:19], v[14:15], -v[24:25]
	v_fma_f64 v[6:7], v[0:1], v[4:5], -v[6:7]
	s_delay_alu instid0(VALU_DEP_2) | instskip(NEXT) | instid1(VALU_DEP_2)
	v_fmac_f64_e32 v[14:15], v[18:19], v[12:13]
	v_add_f64_e32 v[6:7], 0xbdb2fc957a946abc, v[6:7]
	s_delay_alu instid0(VALU_DEP_2) | instskip(NEXT) | instid1(VALU_DEP_2)
	v_add_f64_e32 v[12:13], v[24:25], v[14:15]
	v_fma_f64 v[4:5], v[0:1], v[6:7], -v[4:5]
	s_delay_alu instid0(VALU_DEP_2) | instskip(NEXT) | instid1(VALU_DEP_2)
	v_add_f64_e64 v[22:23], v[20:21], -v[12:13]
	v_add_f64_e32 v[4:5], 0x3dda98becc743c10, v[4:5]
	v_add_f64_e64 v[24:25], v[12:13], -v[24:25]
	s_delay_alu instid0(VALU_DEP_3) | instskip(NEXT) | instid1(VALU_DEP_3)
	v_add_f64_e64 v[20:21], v[20:21], -v[22:23]
	v_fma_f64 v[6:7], v[0:1], v[4:5], -v[6:7]
	s_delay_alu instid0(VALU_DEP_3) | instskip(SKIP_1) | instid1(VALU_DEP_4)
	v_add_f64_e64 v[14:15], v[24:25], -v[14:15]
	v_cvt_f64_i32_e32 v[24:25], v11
	v_add_f64_e64 v[12:13], v[20:21], -v[12:13]
	s_delay_alu instid0(VALU_DEP_4) | instskip(NEXT) | instid1(VALU_DEP_3)
	v_add_f64_e32 v[6:7], 0xbe01d4fe13ae9556, v[6:7]
	v_mul_f64_e32 v[26:27], 0x3fe62e42fefa39ef, v[24:25]
	s_delay_alu instid0(VALU_DEP_3) | instskip(NEXT) | instid1(VALU_DEP_3)
	v_add_f64_e32 v[12:13], v[14:15], v[12:13]
	v_fma_f64 v[4:5], v[0:1], v[6:7], -v[4:5]
	s_delay_alu instid0(VALU_DEP_2) | instskip(NEXT) | instid1(VALU_DEP_2)
	v_add_f64_e32 v[12:13], v[22:23], v[12:13]
	v_add_f64_e32 v[4:5], 0x3e26d903a454cb34, v[4:5]
	s_delay_alu instid0(VALU_DEP_2) | instskip(NEXT) | instid1(VALU_DEP_2)
	v_mul_f64_e32 v[12:13], v[16:17], v[12:13]
	v_fma_f64 v[6:7], v[0:1], v[4:5], -v[6:7]
	s_delay_alu instid0(VALU_DEP_2) | instskip(NEXT) | instid1(VALU_DEP_2)
	v_add_f64_e32 v[14:15], v[18:19], v[12:13]
	v_add_f64_e32 v[6:7], 0xbe4beaf68c0b30ab, v[6:7]
	s_delay_alu instid0(VALU_DEP_2) | instskip(NEXT) | instid1(VALU_DEP_2)
	v_mul_f64_e32 v[16:17], v[14:15], v[14:15]
	v_fma_f64 v[4:5], v[0:1], v[6:7], -v[4:5]
	s_delay_alu instid0(VALU_DEP_2) | instskip(NEXT) | instid1(VALU_DEP_2)
	v_fmaak_f64 v[20:21], s[18:19], v[16:17], 0x3fc385386b47b09a
	v_add_f64_e32 v[4:5], 0x3e703b769d4d6435, v[4:5]
	v_mul_f64_e32 v[22:23], v[14:15], v[16:17]
	s_mov_b64 s[18:19], 0x3ca3cee1e6a7fd77
	s_delay_alu instid0(VALU_DEP_3) | instskip(NEXT) | instid1(VALU_DEP_1)
	v_fmaak_f64 v[20:21], v[16:17], v[20:21], 0x3fc7474dd7f4df2e
	v_fmaak_f64 v[20:21], v[16:17], v[20:21], 0x3fcc71c016291751
	s_delay_alu instid0(VALU_DEP_1) | instskip(NEXT) | instid1(VALU_DEP_1)
	v_fmaak_f64 v[20:21], v[16:17], v[20:21], 0x3fd249249b27acf1
	v_fmaak_f64 v[20:21], v[16:17], v[20:21], 0x3fd99999998ef7b6
	v_fma_f64 v[6:7], v[0:1], v[4:5], -v[6:7]
	s_delay_alu instid0(VALU_DEP_2) | instskip(SKIP_2) | instid1(VALU_DEP_3)
	v_fmaak_f64 v[16:17], v[16:17], v[20:21], 0x3fe5555555555780
	v_ldexp_f64 v[20:21], v[14:15], 1
	v_add_f64_e64 v[14:15], v[14:15], -v[18:19]
	v_mul_f64_e32 v[16:17], v[22:23], v[16:17]
	v_fma_f64 v[22:23], v[2:3], v[2:3], -2.0
	v_add_f64_e32 v[6:7], 0xbe91ec638f227f8d, v[6:7]
	s_delay_alu instid0(VALU_DEP_4) | instskip(NEXT) | instid1(VALU_DEP_4)
	v_add_f64_e64 v[12:13], v[12:13], -v[14:15]
	v_add_f64_e32 v[18:19], v[20:21], v[16:17]
	s_delay_alu instid0(VALU_DEP_3) | instskip(NEXT) | instid1(VALU_DEP_3)
	v_fma_f64 v[4:5], v[0:1], v[6:7], -v[4:5]
	v_ldexp_f64 v[12:13], v[12:13], 1
	s_delay_alu instid0(VALU_DEP_3) | instskip(SKIP_2) | instid1(VALU_DEP_1)
	v_add_f64_e64 v[14:15], v[18:19], -v[20:21]
	v_fmaak_f64 v[20:21], s[18:19], v[22:23], 0x3d27fb0ac384c2aa
	s_mov_b64 s[18:19], 0x3fe62e42fefa39ef
	v_fmaak_f64 v[28:29], v[22:23], v[20:21], 0xbca3cee1e6a7fd77
	v_add_f64_e32 v[4:5], 0x3eb2bf24978cf4ac, v[4:5]
	s_delay_alu instid0(VALU_DEP_4) | instskip(NEXT) | instid1(VALU_DEP_3)
	v_add_f64_e64 v[14:15], v[16:17], -v[14:15]
	v_add_f64_e32 v[16:17], 0x3da6c25c47512144, v[28:29]
	v_fma_f64 v[28:29], v[24:25], s[18:19], -v[26:27]
	s_mov_b64 s[18:19], 0x3e5ade156a5dcb37
	s_delay_alu instid0(VALU_DEP_4) | instskip(NEXT) | instid1(VALU_DEP_4)
	v_fma_f64 v[6:7], v[0:1], v[4:5], -v[6:7]
	v_add_f64_e32 v[12:13], v[12:13], v[14:15]
	s_delay_alu instid0(VALU_DEP_4) | instskip(NEXT) | instid1(VALU_DEP_4)
	v_fma_f64 v[14:15], v[22:23], v[16:17], -v[20:21]
	v_fmamk_f64 v[20:21], v[24:25], 0x3c7abc9e3b39803f, v[28:29]
	s_delay_alu instid0(VALU_DEP_1) | instskip(SKIP_3) | instid1(VALU_DEP_4)
	v_add_f64_e32 v[28:29], v[26:27], v[20:21]
	v_add_f64_e32 v[6:7], 0xbed2866fcba56427, v[6:7]
	;; [unrolled: 1-line block ×4, first 2 shown]
	v_add_f64_e64 v[26:27], v[28:29], -v[26:27]
	s_delay_alu instid0(VALU_DEP_4) | instskip(NEXT) | instid1(VALU_DEP_4)
	v_fma_f64 v[4:5], v[0:1], v[6:7], -v[4:5]
	v_add_f64_e32 v[30:31], v[28:29], v[24:25]
	s_delay_alu instid0(VALU_DEP_4) | instskip(SKIP_1) | instid1(VALU_DEP_4)
	v_fma_f64 v[16:17], v[22:23], v[14:15], -v[16:17]
	v_add_f64_e64 v[18:19], v[24:25], -v[18:19]
	v_add_f64_e32 v[4:5], 0x3ef13f58be9a2859, v[4:5]
	s_delay_alu instid0(VALU_DEP_4) | instskip(NEXT) | instid1(VALU_DEP_4)
	v_add_f64_e64 v[32:33], v[30:31], -v[28:29]
	v_add_f64_e32 v[16:17], 0x3e9102bce7f95efc, v[16:17]
	s_delay_alu instid0(VALU_DEP_4)
	v_add_f64_e64 v[12:13], v[12:13], -v[18:19]
	v_add_f64_e64 v[18:19], v[20:21], -v[26:27]
	v_mul_f64_e32 v[26:27], 0x3ff71547652b82fe, v[2:3]
	v_fma_f64 v[6:7], v[0:1], v[4:5], -v[6:7]
	v_add_f64_e64 v[34:35], v[30:31], -v[32:33]
	v_fma_f64 v[14:15], v[22:23], v[16:17], -v[14:15]
	v_add_f64_e64 v[24:25], v[24:25], -v[32:33]
	s_delay_alu instid0(VALU_DEP_4) | instskip(NEXT) | instid1(VALU_DEP_4)
	v_add_f64_e32 v[6:7], 0xbf0e2b2659c41d5a, v[6:7]
	v_add_f64_e64 v[20:21], v[28:29], -v[34:35]
	s_delay_alu instid0(VALU_DEP_4) | instskip(SKIP_1) | instid1(VALU_DEP_4)
	v_add_f64_e32 v[14:15], 0x3ef7f900fe8cfca0, v[14:15]
	v_add_f64_e32 v[28:29], v[18:19], v[12:13]
	v_fma_f64 v[4:5], v[0:1], v[6:7], -v[4:5]
	s_delay_alu instid0(VALU_DEP_4) | instskip(NEXT) | instid1(VALU_DEP_4)
	v_add_f64_e32 v[20:21], v[24:25], v[20:21]
	v_fma_f64 v[16:17], v[22:23], v[14:15], -v[16:17]
	v_rndne_f64_e32 v[24:25], v[26:27]
	v_add_f64_e64 v[26:27], v[28:29], -v[18:19]
	v_add_f64_e32 v[4:5], 0x3f28b51b74107cab, v[4:5]
	v_add_f64_e32 v[20:21], v[28:29], v[20:21]
	;; [unrolled: 1-line block ×3, first 2 shown]
	v_fmamk_f64 v[2:3], v[24:25], 0xbfe62e42fefa39ef, v[2:3]
	v_add_f64_e64 v[28:29], v[28:29], -v[26:27]
	v_add_f64_e64 v[12:13], v[12:13], -v[26:27]
	v_cvt_i32_f64_e32 v11, v[24:25]
	s_delay_alu instid0(VALU_DEP_4) | instskip(NEXT) | instid1(VALU_DEP_1)
	v_fmamk_f64 v[2:3], v[24:25], 0xbc7abc9e3b39803f, v[2:3]
	v_fmaak_f64 v[34:35], s[18:19], v[2:3], 0x3e928af3fca7ab0c
	s_delay_alu instid0(VALU_DEP_1) | instskip(SKIP_1) | instid1(VALU_DEP_2)
	v_fmaak_f64 v[34:35], v[2:3], v[34:35], 0x3ec71dee623fde64
	v_fma_f64 v[6:7], v[0:1], v[4:5], -v[6:7]
	v_fmaak_f64 v[34:35], v[2:3], v[34:35], 0x3efa01997c89e6b0
	v_add_f64_e32 v[32:33], v[30:31], v[20:21]
	v_fma_f64 v[14:15], v[22:23], v[16:17], -v[14:15]
	v_add_f64_e64 v[18:19], v[18:19], -v[28:29]
	s_delay_alu instid0(VALU_DEP_4) | instskip(NEXT) | instid1(VALU_DEP_1)
	v_fmaak_f64 v[34:35], v[2:3], v[34:35], 0x3f2a01a014761f6e
	v_fmaak_f64 v[28:29], v[2:3], v[34:35], 0x3f56c16c1852b7b0
	v_add_f64_e32 v[6:7], 0xbf42e2fd1f15eb52, v[6:7]
	v_add_f64_e64 v[26:27], v[32:33], -v[30:31]
	v_add_f64_e32 v[14:15], 0x3fa26bf6554a9085, v[14:15]
	v_add_f64_e32 v[12:13], v[12:13], v[18:19]
	s_delay_alu instid0(VALU_DEP_4) | instskip(NEXT) | instid1(VALU_DEP_4)
	v_fma_f64 v[4:5], v[0:1], v[6:7], -v[4:5]
	v_add_f64_e64 v[18:19], v[20:21], -v[26:27]
	s_delay_alu instid0(VALU_DEP_4) | instskip(NEXT) | instid1(VALU_DEP_3)
	v_fma_f64 v[16:17], v[22:23], v[14:15], -v[16:17]
	v_add_f64_e32 v[4:5], 0x3f5adc758a12100e, v[4:5]
	s_delay_alu instid0(VALU_DEP_3) | instskip(NEXT) | instid1(VALU_DEP_3)
	v_add_f64_e32 v[12:13], v[12:13], v[18:19]
	v_add_f64_e32 v[16:17], 0x3fd608d881213db9, v[16:17]
	s_delay_alu instid0(VALU_DEP_3) | instskip(NEXT) | instid1(VALU_DEP_1)
	v_fma_f64 v[6:7], v[0:1], v[4:5], -v[6:7]
	v_add_f64_e32 v[6:7], 0xbf71b65e201aa849, v[6:7]
	s_delay_alu instid0(VALU_DEP_1) | instskip(NEXT) | instid1(VALU_DEP_1)
	v_fma_f64 v[4:5], v[0:1], v[6:7], -v[4:5]
	v_add_f64_e32 v[4:5], 0x3f859961f3dde3dd, v[4:5]
	s_delay_alu instid0(VALU_DEP_1) | instskip(NEXT) | instid1(VALU_DEP_1)
	;; [unrolled: 3-line block ×6, first 2 shown]
	v_fma_f64 v[6:7], v[0:1], v[4:5], -v[6:7]
	v_add_f64_e32 v[6:7], 0xbfd37febc057cd8d, v[6:7]
	s_delay_alu instid0(VALU_DEP_1) | instskip(SKIP_1) | instid1(VALU_DEP_1)
	v_fma_f64 v[0:1], v[0:1], v[6:7], -v[4:5]
	v_fmaak_f64 v[6:7], v[2:3], v[28:29], 0x3f81111111122322
	v_fmaak_f64 v[6:7], v[2:3], v[6:7], 0x3fa55555555502a1
	s_delay_alu instid0(VALU_DEP_1) | instskip(NEXT) | instid1(VALU_DEP_1)
	v_fmaak_f64 v[6:7], v[2:3], v[6:7], 0x3fc5555555555511
	v_fmaak_f64 v[6:7], v[2:3], v[6:7], 0x3fe000000000000b
	s_delay_alu instid0(VALU_DEP_1) | instskip(SKIP_1) | instid1(VALU_DEP_2)
	v_fma_f64 v[6:7], v[2:3], v[6:7], 1.0
	v_add_f64_e32 v[0:1], 0x3fe5a84e9035a22a, v[0:1]
	v_fma_f64 v[2:3], v[2:3], v[6:7], 1.0
	v_fma_f64 v[6:7], v[22:23], v[16:17], -v[14:15]
	s_delay_alu instid0(VALU_DEP_3) | instskip(SKIP_1) | instid1(VALU_DEP_4)
	v_add_f64_e64 v[0:1], v[0:1], -v[4:5]
	v_add_f64_e32 v[4:5], v[32:33], v[12:13]
	v_ldexp_f64 v[2:3], v[2:3], v11
	s_delay_alu instid0(VALU_DEP_4) | instskip(NEXT) | instid1(VALU_DEP_4)
	v_add_f64_e32 v[6:7], 0xbfe12166e9d2f61f, v[6:7]
	v_mul_f64_e32 v[0:1], 0.5, v[0:1]
	s_delay_alu instid0(VALU_DEP_4) | instskip(SKIP_2) | instid1(VALU_DEP_2)
	v_cndmask_b32_e32 v5, 0x7ff00000, v5, vcc_lo
	s_and_b32 vcc_lo, s0, vcc_lo
	v_cndmask_b32_e32 v4, 0, v4, vcc_lo
	v_cndmask_b32_e64 v5, 0xfff00000, v5, s0
	v_add_f64_e64 v[6:7], v[6:7], -v[14:15]
	v_mul_f64_e32 v[0:1], v[2:3], v[0:1]
	s_delay_alu instid0(VALU_DEP_1) | instskip(NEXT) | instid1(VALU_DEP_1)
	v_mul_f64_e32 v[0:1], v[4:5], v[0:1]
	v_fma_f64 v[0:1], v[6:7], 0.5, -v[0:1]
	s_delay_alu instid0(VALU_DEP_1)
	v_mul_f64_e32 v[0:1], v[2:3], v[0:1]
                                        ; implicit-def: $vgpr2_vgpr3
.LBB8_939:
	s_and_not1_saveexec_b32 s0, s16
	s_cbranch_execz .LBB8_941
; %bb.940:
	v_div_scale_f64 v[0:1], null, v[2:3], v[2:3], 0x40200000
	v_div_scale_f64 v[8:9], vcc_lo, 0x40200000, v[2:3], 0x40200000
	s_mov_b64 s[16:17], 0x3c5871a5cf8c9ee1
	v_rcp_f64_e32 v[4:5], v[0:1]
	v_nop
	s_delay_alu instid0(TRANS32_DEP_1) | instskip(NEXT) | instid1(VALU_DEP_1)
	v_fma_f64 v[6:7], -v[0:1], v[4:5], 1.0
	v_fmac_f64_e32 v[4:5], v[4:5], v[6:7]
	s_delay_alu instid0(VALU_DEP_1) | instskip(NEXT) | instid1(VALU_DEP_1)
	v_fma_f64 v[6:7], -v[0:1], v[4:5], 1.0
	v_fmac_f64_e32 v[4:5], v[4:5], v[6:7]
	s_delay_alu instid0(VALU_DEP_1) | instskip(NEXT) | instid1(VALU_DEP_1)
	v_mul_f64_e32 v[6:7], v[8:9], v[4:5]
	v_fma_f64 v[0:1], -v[0:1], v[6:7], v[8:9]
	s_delay_alu instid0(VALU_DEP_1) | instskip(SKIP_1) | instid1(VALU_DEP_2)
	v_div_fmas_f64 v[0:1], v[0:1], v[4:5], v[6:7]
	v_cmp_gt_f64_e32 vcc_lo, 0x10000000, v[2:3]
	v_div_fixup_f64 v[0:1], v[0:1], v[2:3], 0x40200000
	v_cndmask_b32_e64 v8, 0, 0x100, vcc_lo
	s_delay_alu instid0(VALU_DEP_1) | instskip(NEXT) | instid1(VALU_DEP_3)
	v_ldexp_f64 v[2:3], v[2:3], v8
	v_add_f64_e32 v[0:1], -2.0, v[0:1]
	s_delay_alu instid0(VALU_DEP_2) | instskip(NEXT) | instid1(VALU_DEP_1)
	v_rsq_f64_e32 v[8:9], v[2:3]
	v_fmaak_f64 v[4:5], s[16:17], v[0:1], 0xbc72fecc93812603
	s_delay_alu instid0(VALU_DEP_1) | instskip(NEXT) | instid1(TRANS32_DEP_1)
	v_fmaak_f64 v[6:7], v[0:1], v[4:5], 0xbc5871a5cf8c9ee1
	v_mul_f64_e32 v[12:13], v[2:3], v[8:9]
	v_mul_f64_e32 v[8:9], 0.5, v[8:9]
	s_delay_alu instid0(VALU_DEP_3) | instskip(NEXT) | instid1(VALU_DEP_2)
	v_add_f64_e32 v[6:7], 0x3c8e092e41a8cdf4, v[6:7]
	v_fma_f64 v[14:15], -v[8:9], v[12:13], 0.5
	s_delay_alu instid0(VALU_DEP_2) | instskip(NEXT) | instid1(VALU_DEP_2)
	v_fma_f64 v[4:5], v[0:1], v[6:7], -v[4:5]
	v_fmac_f64_e32 v[12:13], v[12:13], v[14:15]
	s_delay_alu instid0(VALU_DEP_2) | instskip(SKIP_1) | instid1(VALU_DEP_3)
	v_add_f64_e32 v[4:5], 0xbca82f9474d77641, v[4:5]
	v_fmac_f64_e32 v[8:9], v[8:9], v[14:15]
	v_fma_f64 v[14:15], -v[12:13], v[12:13], v[2:3]
	s_delay_alu instid0(VALU_DEP_3) | instskip(NEXT) | instid1(VALU_DEP_2)
	v_fma_f64 v[6:7], v[0:1], v[4:5], -v[6:7]
	v_fmac_f64_e32 v[12:13], v[14:15], v[8:9]
	s_delay_alu instid0(VALU_DEP_2) | instskip(NEXT) | instid1(VALU_DEP_1)
	v_add_f64_e32 v[6:7], 0x3cc3dbf96b94785b, v[6:7]
	v_fma_f64 v[4:5], v[0:1], v[6:7], -v[4:5]
	s_delay_alu instid0(VALU_DEP_1) | instskip(NEXT) | instid1(VALU_DEP_1)
	v_add_f64_e32 v[4:5], 0xbce0a690ecfadd36, v[4:5]
	v_fma_f64 v[6:7], v[0:1], v[4:5], -v[6:7]
	s_delay_alu instid0(VALU_DEP_1) | instskip(NEXT) | instid1(VALU_DEP_1)
	;; [unrolled: 3-line block ×19, first 2 shown]
	v_add_f64_e32 v[4:5], 0xbfa019f72d4ff71e, v[4:5]
	v_fma_f64 v[0:1], v[0:1], v[4:5], -v[6:7]
	v_fma_f64 v[4:5], -v[12:13], v[12:13], v[2:3]
	s_delay_alu instid0(VALU_DEP_2) | instskip(NEXT) | instid1(VALU_DEP_2)
	v_add_f64_e32 v[0:1], 0x400385bd9f4e6907, v[0:1]
	v_fmac_f64_e32 v[12:13], v[4:5], v[8:9]
	v_cndmask_b32_e64 v4, 0, 0xffffff80, vcc_lo
	v_cmp_class_f64_e64 vcc_lo, v[2:3], 0x260
	s_delay_alu instid0(VALU_DEP_4) | instskip(NEXT) | instid1(VALU_DEP_3)
	v_add_f64_e64 v[0:1], v[0:1], -v[6:7]
	v_ldexp_f64 v[4:5], v[12:13], v4
	s_delay_alu instid0(VALU_DEP_1) | instskip(NEXT) | instid1(VALU_DEP_2)
	v_dual_mul_f64 v[0:1], 0.5, v[0:1] :: v_dual_cndmask_b32 v3, v5, v3, vcc_lo
	v_cndmask_b32_e32 v2, v4, v2, vcc_lo
	s_delay_alu instid0(VALU_DEP_1) | instskip(NEXT) | instid1(VALU_DEP_1)
	v_div_scale_f64 v[4:5], null, v[2:3], v[2:3], v[0:1]
	v_rcp_f64_e32 v[6:7], v[4:5]
	v_nop
	s_delay_alu instid0(TRANS32_DEP_1) | instskip(NEXT) | instid1(VALU_DEP_1)
	v_fma_f64 v[8:9], -v[4:5], v[6:7], 1.0
	v_fmac_f64_e32 v[6:7], v[6:7], v[8:9]
	s_delay_alu instid0(VALU_DEP_1) | instskip(NEXT) | instid1(VALU_DEP_1)
	v_fma_f64 v[8:9], -v[4:5], v[6:7], 1.0
	v_fmac_f64_e32 v[6:7], v[6:7], v[8:9]
	v_div_scale_f64 v[8:9], vcc_lo, v[0:1], v[2:3], v[0:1]
	s_delay_alu instid0(VALU_DEP_1) | instskip(NEXT) | instid1(VALU_DEP_1)
	v_mul_f64_e32 v[12:13], v[8:9], v[6:7]
	v_fma_f64 v[4:5], -v[4:5], v[12:13], v[8:9]
	s_delay_alu instid0(VALU_DEP_1) | instskip(NEXT) | instid1(VALU_DEP_1)
	v_div_fmas_f64 v[4:5], v[4:5], v[6:7], v[12:13]
	v_div_fixup_f64 v[0:1], v[4:5], v[2:3], v[0:1]
.LBB8_941:
	s_or_b32 exec_lo, exec_lo, s0
.LBB8_942:
	s_delay_alu instid0(SALU_CYCLE_1)
	s_or_b32 exec_lo, exec_lo, s15
.LBB8_943:
	s_delay_alu instid0(SALU_CYCLE_1) | instskip(SKIP_2) | instid1(SALU_CYCLE_1)
	s_or_b32 exec_lo, exec_lo, s14
	v_mul_lo_u32 v2, v10, s2
	s_and_b32 s14, s8, 0xff
	s_cmp_lt_i32 s14, 11
	s_delay_alu instid0(VALU_DEP_1) | instskip(NEXT) | instid1(VALU_DEP_1)
	v_ashrrev_i32_e32 v3, 31, v2
	v_add_nc_u64_e32 v[4:5], s[4:5], v[2:3]
	s_cbranch_scc1 .LBB8_953
; %bb.944:
	s_and_b32 s15, 0xffff, s14
	s_mov_b32 s16, -1
	s_cmp_gt_i32 s15, 25
	s_mov_b32 s0, s11
	s_cbranch_scc0 .LBB8_981
; %bb.945:
	s_cmp_gt_i32 s15, 28
	s_mov_b32 s0, s11
	s_cbranch_scc0 .LBB8_965
; %bb.946:
	;; [unrolled: 4-line block ×4, first 2 shown]
	s_cmp_eq_u32 s15, 46
	s_mov_b32 s0, -1
	s_cbranch_scc0 .LBB8_954
; %bb.949:
	s_delay_alu instid0(VALU_DEP_4) | instskip(SKIP_2) | instid1(VALU_DEP_1)
	v_cvt_f32_f64_e32 v2, v[0:1]
	s_mov_b32 s0, 0
	s_mov_b32 s16, 0
	v_bfe_u32 v3, v2, 16, 1
	v_cmp_o_f32_e32 vcc_lo, v2, v2
	s_delay_alu instid0(VALU_DEP_2) | instskip(NEXT) | instid1(VALU_DEP_1)
	v_add3_u32 v3, v2, v3, 0x7fff
	v_lshrrev_b32_e32 v3, 16, v3
	s_delay_alu instid0(VALU_DEP_1)
	v_cndmask_b32_e32 v2, 0x7fc0, v3, vcc_lo
	global_store_b32 v[4:5], v2, off
	s_branch .LBB8_955
.LBB8_950:
	s_or_b32 exec_lo, exec_lo, s13
	s_and_saveexec_b32 s0, s11
	s_cbranch_execnz .LBB8_1023
.LBB8_951:
	s_or_b32 exec_lo, exec_lo, s0
	s_and_saveexec_b32 s0, s16
	s_delay_alu instid0(SALU_CYCLE_1)
	s_xor_b32 s0, exec_lo, s0
	s_cbranch_execz .LBB8_1024
.LBB8_952:
	s_delay_alu instid0(VALU_DEP_4)
	v_cmp_neq_f64_e32 vcc_lo, 0, v[0:1]
	s_wait_loadcnt 0x0
	v_cndmask_b32_e64 v2, 0, 1, vcc_lo
	global_store_b8 v[4:5], v2, off
	s_wait_xcnt 0x0
	s_or_b32 exec_lo, exec_lo, s0
	s_and_saveexec_b32 s0, s15
	s_delay_alu instid0(SALU_CYCLE_1)
	s_xor_b32 s0, exec_lo, s0
	s_cbranch_execz .LBB8_1062
	s_branch .LBB8_1025
.LBB8_953:
	s_mov_b32 s17, 0
	s_mov_b32 s16, -1
	s_mov_b32 s0, s11
	s_branch .LBB8_1022
.LBB8_954:
	s_mov_b32 s16, 0
.LBB8_955:
	s_delay_alu instid0(SALU_CYCLE_1)
	s_and_b32 vcc_lo, exec_lo, s16
	s_cbranch_vccz .LBB8_960
; %bb.956:
	s_cmp_eq_u32 s15, 44
	s_mov_b32 s0, -1
	s_cbranch_scc0 .LBB8_960
; %bb.957:
	s_wait_xcnt 0x0
	s_delay_alu instid0(VALU_DEP_4) | instskip(SKIP_2) | instid1(VALU_DEP_2)
	v_cvt_f32_f64_e32 v2, v[0:1]
	v_mov_b32_e32 v3, 0xff
	s_mov_b32 s16, exec_lo
	v_bfe_u32 v6, v2, 23, 8
	s_delay_alu instid0(VALU_DEP_1)
	v_cmpx_ne_u32_e32 0xff, v6
	s_cbranch_execz .LBB8_959
; %bb.958:
	v_and_b32_e32 v3, 0x400000, v2
	v_and_or_b32 v6, 0x3fffff, v2, v6
	v_lshrrev_b32_e32 v2, 23, v2
	s_delay_alu instid0(VALU_DEP_3) | instskip(NEXT) | instid1(VALU_DEP_3)
	v_cmp_ne_u32_e32 vcc_lo, 0, v3
	v_cmp_ne_u32_e64 s0, 0, v6
	s_and_b32 s0, vcc_lo, s0
	s_delay_alu instid0(SALU_CYCLE_1) | instskip(NEXT) | instid1(VALU_DEP_1)
	v_cndmask_b32_e64 v3, 0, 1, s0
	v_add_nc_u32_e32 v3, v2, v3
.LBB8_959:
	s_or_b32 exec_lo, exec_lo, s16
	s_mov_b32 s0, 0
	global_store_b8 v[4:5], v3, off
.LBB8_960:
	s_mov_b32 s16, 0
.LBB8_961:
	s_delay_alu instid0(SALU_CYCLE_1)
	s_and_b32 vcc_lo, exec_lo, s16
	s_cbranch_vccz .LBB8_964
; %bb.962:
	s_cmp_eq_u32 s15, 29
	s_mov_b32 s0, -1
	s_cbranch_scc0 .LBB8_964
; %bb.963:
	s_wait_xcnt 0x0
	s_delay_alu instid0(VALU_DEP_4) | instskip(SKIP_2) | instid1(VALU_DEP_1)
	v_trunc_f64_e32 v[2:3], v[0:1]
	s_mov_b32 s0, 0
	s_mov_b32 s16, 0
	v_ldexp_f64 v[6:7], v[2:3], 0xffffffe0
	s_delay_alu instid0(VALU_DEP_1) | instskip(NEXT) | instid1(VALU_DEP_1)
	v_floor_f64_e32 v[6:7], v[6:7]
	v_fmamk_f64 v[2:3], v[6:7], 0xc1f00000, v[2:3]
	v_cvt_u32_f64_e32 v7, v[6:7]
	s_delay_alu instid0(VALU_DEP_2)
	v_cvt_u32_f64_e32 v6, v[2:3]
	global_store_b64 v[4:5], v[6:7], off
	s_branch .LBB8_965
.LBB8_964:
	s_mov_b32 s16, 0
.LBB8_965:
	s_delay_alu instid0(SALU_CYCLE_1)
	s_and_b32 vcc_lo, exec_lo, s16
	s_cbranch_vccz .LBB8_980
; %bb.966:
	s_cmp_lt_i32 s15, 27
	s_mov_b32 s16, -1
	s_cbranch_scc1 .LBB8_972
; %bb.967:
	s_wait_xcnt 0x0
	s_delay_alu instid0(VALU_DEP_4)
	v_cvt_u32_f64_e32 v2, v[0:1]
	s_cmp_gt_i32 s15, 27
	s_cbranch_scc0 .LBB8_969
; %bb.968:
	s_mov_b32 s16, 0
	global_store_b32 v[4:5], v2, off
.LBB8_969:
	s_and_not1_b32 vcc_lo, exec_lo, s16
	s_cbranch_vccnz .LBB8_971
; %bb.970:
	global_store_b16 v[4:5], v2, off
.LBB8_971:
	s_mov_b32 s16, 0
.LBB8_972:
	s_delay_alu instid0(SALU_CYCLE_1)
	s_and_not1_b32 vcc_lo, exec_lo, s16
	s_cbranch_vccnz .LBB8_980
; %bb.973:
	s_wait_xcnt 0x0
	s_delay_alu instid0(VALU_DEP_4) | instskip(SKIP_2) | instid1(VALU_DEP_2)
	v_cvt_f32_f64_e32 v2, v[0:1]
	v_mov_b32_e32 v6, 0x80
	s_mov_b32 s16, exec_lo
	v_and_b32_e32 v3, 0x7fffffff, v2
	s_delay_alu instid0(VALU_DEP_1)
	v_cmpx_gt_u32_e32 0x43800000, v3
	s_cbranch_execz .LBB8_979
; %bb.974:
	v_cmp_lt_u32_e32 vcc_lo, 0x3bffffff, v3
	s_mov_b32 s17, 0
                                        ; implicit-def: $vgpr3
	s_and_saveexec_b32 s18, vcc_lo
	s_delay_alu instid0(SALU_CYCLE_1)
	s_xor_b32 s18, exec_lo, s18
	s_cbranch_execz .LBB8_1077
; %bb.975:
	v_bfe_u32 v3, v2, 20, 1
	s_mov_b32 s17, exec_lo
	s_delay_alu instid0(VALU_DEP_1) | instskip(NEXT) | instid1(VALU_DEP_1)
	v_add3_u32 v3, v2, v3, 0x487ffff
	v_lshrrev_b32_e32 v3, 20, v3
	s_and_not1_saveexec_b32 s18, s18
	s_cbranch_execnz .LBB8_1078
.LBB8_976:
	s_or_b32 exec_lo, exec_lo, s18
	v_mov_b32_e32 v6, 0
	s_and_saveexec_b32 s18, s17
.LBB8_977:
	v_lshrrev_b32_e32 v2, 24, v2
	s_delay_alu instid0(VALU_DEP_1)
	v_and_or_b32 v6, 0x80, v2, v3
.LBB8_978:
	s_or_b32 exec_lo, exec_lo, s18
.LBB8_979:
	s_delay_alu instid0(SALU_CYCLE_1)
	s_or_b32 exec_lo, exec_lo, s16
	global_store_b8 v[4:5], v6, off
.LBB8_980:
	s_mov_b32 s16, 0
.LBB8_981:
	s_delay_alu instid0(SALU_CYCLE_1)
	s_and_b32 vcc_lo, exec_lo, s16
	s_mov_b32 s16, 0
	s_cbranch_vccz .LBB8_1021
; %bb.982:
	s_cmp_gt_i32 s15, 22
	s_mov_b32 s17, -1
	s_cbranch_scc0 .LBB8_1014
; %bb.983:
	s_cmp_lt_i32 s15, 24
	s_cbranch_scc1 .LBB8_1003
; %bb.984:
	s_cmp_gt_i32 s15, 24
	s_cbranch_scc0 .LBB8_992
; %bb.985:
	s_wait_xcnt 0x0
	s_delay_alu instid0(VALU_DEP_4) | instskip(SKIP_2) | instid1(VALU_DEP_2)
	v_cvt_f32_f64_e32 v2, v[0:1]
	v_mov_b32_e32 v6, 0x80
	s_mov_b32 s17, exec_lo
	v_and_b32_e32 v3, 0x7fffffff, v2
	s_delay_alu instid0(VALU_DEP_1)
	v_cmpx_gt_u32_e32 0x47800000, v3
	s_cbranch_execz .LBB8_991
; %bb.986:
	v_cmp_lt_u32_e32 vcc_lo, 0x37ffffff, v3
	s_mov_b32 s18, 0
                                        ; implicit-def: $vgpr3
	s_and_saveexec_b32 s19, vcc_lo
	s_delay_alu instid0(SALU_CYCLE_1)
	s_xor_b32 s19, exec_lo, s19
	s_cbranch_execz .LBB8_1211
; %bb.987:
	v_bfe_u32 v3, v2, 21, 1
	s_mov_b32 s18, exec_lo
	s_delay_alu instid0(VALU_DEP_1) | instskip(NEXT) | instid1(VALU_DEP_1)
	v_add3_u32 v3, v2, v3, 0x88fffff
	v_lshrrev_b32_e32 v3, 21, v3
	s_and_not1_saveexec_b32 s19, s19
	s_cbranch_execnz .LBB8_1212
.LBB8_988:
	s_or_b32 exec_lo, exec_lo, s19
	v_mov_b32_e32 v6, 0
	s_and_saveexec_b32 s19, s18
.LBB8_989:
	v_lshrrev_b32_e32 v2, 24, v2
	s_delay_alu instid0(VALU_DEP_1)
	v_and_or_b32 v6, 0x80, v2, v3
.LBB8_990:
	s_or_b32 exec_lo, exec_lo, s19
.LBB8_991:
	s_delay_alu instid0(SALU_CYCLE_1)
	s_or_b32 exec_lo, exec_lo, s17
	s_mov_b32 s17, 0
	global_store_b8 v[4:5], v6, off
.LBB8_992:
	s_and_b32 vcc_lo, exec_lo, s17
	s_cbranch_vccz .LBB8_1002
; %bb.993:
	s_wait_xcnt 0x0
	s_delay_alu instid0(VALU_DEP_4) | instskip(SKIP_1) | instid1(VALU_DEP_1)
	v_cvt_f32_f64_e32 v2, v[0:1]
	s_mov_b32 s17, exec_lo
                                        ; implicit-def: $vgpr3
	v_and_b32_e32 v6, 0x7fffffff, v2
	s_delay_alu instid0(VALU_DEP_1)
	v_cmpx_gt_u32_e32 0x43f00000, v6
	s_xor_b32 s17, exec_lo, s17
	s_cbranch_execz .LBB8_999
; %bb.994:
	s_mov_b32 s18, exec_lo
                                        ; implicit-def: $vgpr3
	v_cmpx_lt_u32_e32 0x3c7fffff, v6
	s_xor_b32 s18, exec_lo, s18
; %bb.995:
	v_bfe_u32 v3, v2, 20, 1
	s_delay_alu instid0(VALU_DEP_1) | instskip(NEXT) | instid1(VALU_DEP_1)
	v_add3_u32 v3, v2, v3, 0x407ffff
	v_and_b32_e32 v6, 0xff00000, v3
	v_lshrrev_b32_e32 v3, 20, v3
	s_delay_alu instid0(VALU_DEP_2) | instskip(NEXT) | instid1(VALU_DEP_2)
	v_cmp_ne_u32_e32 vcc_lo, 0x7f00000, v6
	v_cndmask_b32_e32 v3, 0x7e, v3, vcc_lo
; %bb.996:
	s_and_not1_saveexec_b32 s18, s18
; %bb.997:
	v_add_f32_e64 v3, 0x46800000, |v2|
; %bb.998:
	s_or_b32 exec_lo, exec_lo, s18
                                        ; implicit-def: $vgpr6
.LBB8_999:
	s_and_not1_saveexec_b32 s17, s17
; %bb.1000:
	v_mov_b32_e32 v3, 0x7f
	v_cmp_lt_u32_e32 vcc_lo, 0x7f800000, v6
	s_delay_alu instid0(VALU_DEP_2)
	v_cndmask_b32_e32 v3, 0x7e, v3, vcc_lo
; %bb.1001:
	s_or_b32 exec_lo, exec_lo, s17
	v_lshrrev_b32_e32 v2, 24, v2
	s_delay_alu instid0(VALU_DEP_1)
	v_and_or_b32 v2, 0x80, v2, v3
	global_store_b8 v[4:5], v2, off
.LBB8_1002:
	s_mov_b32 s17, 0
.LBB8_1003:
	s_delay_alu instid0(SALU_CYCLE_1)
	s_and_not1_b32 vcc_lo, exec_lo, s17
	s_cbranch_vccnz .LBB8_1013
; %bb.1004:
	s_wait_xcnt 0x0
	s_delay_alu instid0(VALU_DEP_4) | instskip(SKIP_1) | instid1(VALU_DEP_1)
	v_cvt_f32_f64_e32 v2, v[0:1]
	s_mov_b32 s17, exec_lo
                                        ; implicit-def: $vgpr3
	v_and_b32_e32 v6, 0x7fffffff, v2
	s_delay_alu instid0(VALU_DEP_1)
	v_cmpx_gt_u32_e32 0x47800000, v6
	s_xor_b32 s17, exec_lo, s17
	s_cbranch_execz .LBB8_1010
; %bb.1005:
	s_mov_b32 s18, exec_lo
                                        ; implicit-def: $vgpr3
	v_cmpx_lt_u32_e32 0x387fffff, v6
	s_xor_b32 s18, exec_lo, s18
; %bb.1006:
	v_bfe_u32 v3, v2, 21, 1
	s_delay_alu instid0(VALU_DEP_1) | instskip(NEXT) | instid1(VALU_DEP_1)
	v_add3_u32 v3, v2, v3, 0x80fffff
	v_lshrrev_b32_e32 v3, 21, v3
; %bb.1007:
	s_and_not1_saveexec_b32 s18, s18
; %bb.1008:
	v_add_f32_e64 v3, 0x43000000, |v2|
; %bb.1009:
	s_or_b32 exec_lo, exec_lo, s18
                                        ; implicit-def: $vgpr6
.LBB8_1010:
	s_and_not1_saveexec_b32 s17, s17
; %bb.1011:
	v_mov_b32_e32 v3, 0x7f
	v_cmp_lt_u32_e32 vcc_lo, 0x7f800000, v6
	s_delay_alu instid0(VALU_DEP_2)
	v_cndmask_b32_e32 v3, 0x7c, v3, vcc_lo
; %bb.1012:
	s_or_b32 exec_lo, exec_lo, s17
	v_lshrrev_b32_e32 v2, 24, v2
	s_delay_alu instid0(VALU_DEP_1)
	v_and_or_b32 v2, 0x80, v2, v3
	global_store_b8 v[4:5], v2, off
.LBB8_1013:
	s_mov_b32 s17, 0
.LBB8_1014:
	s_delay_alu instid0(SALU_CYCLE_1)
	s_and_not1_b32 vcc_lo, exec_lo, s17
	s_mov_b32 s17, 0
	s_cbranch_vccnz .LBB8_1022
; %bb.1015:
	s_cmp_gt_i32 s15, 14
	s_mov_b32 s17, -1
	s_cbranch_scc0 .LBB8_1019
; %bb.1016:
	s_cmp_eq_u32 s15, 15
	s_mov_b32 s0, -1
	s_cbranch_scc0 .LBB8_1018
; %bb.1017:
	s_wait_xcnt 0x0
	s_delay_alu instid0(VALU_DEP_4) | instskip(SKIP_1) | instid1(VALU_DEP_1)
	v_cvt_f32_f64_e32 v2, v[0:1]
	s_mov_b32 s0, 0
	v_bfe_u32 v3, v2, 16, 1
	v_cmp_o_f32_e32 vcc_lo, v2, v2
	s_delay_alu instid0(VALU_DEP_2) | instskip(NEXT) | instid1(VALU_DEP_1)
	v_add3_u32 v3, v2, v3, 0x7fff
	v_lshrrev_b32_e32 v3, 16, v3
	s_delay_alu instid0(VALU_DEP_1)
	v_cndmask_b32_e32 v2, 0x7fc0, v3, vcc_lo
	global_store_b16 v[4:5], v2, off
.LBB8_1018:
	s_mov_b32 s17, 0
.LBB8_1019:
	s_delay_alu instid0(SALU_CYCLE_1)
	s_and_b32 vcc_lo, exec_lo, s17
	s_mov_b32 s17, 0
	s_cbranch_vccz .LBB8_1022
; %bb.1020:
	s_cmp_lg_u32 s15, 11
	s_mov_b32 s17, -1
	s_cselect_b32 s15, -1, 0
	s_and_not1_b32 s0, s0, exec_lo
	s_and_b32 s15, s15, exec_lo
	s_delay_alu instid0(SALU_CYCLE_1)
	s_or_b32 s0, s0, s15
	s_branch .LBB8_1022
.LBB8_1021:
	s_mov_b32 s17, 0
.LBB8_1022:
	s_and_not1_b32 s11, s11, exec_lo
	s_and_b32 s0, s0, exec_lo
	s_and_b32 s15, s16, exec_lo
	s_and_b32 s16, s17, exec_lo
	s_or_b32 s11, s11, s0
	s_wait_xcnt 0x0
	s_or_b32 exec_lo, exec_lo, s13
	s_and_saveexec_b32 s0, s11
	s_cbranch_execz .LBB8_951
.LBB8_1023:
	s_or_b32 s12, s12, exec_lo
	s_and_not1_b32 s16, s16, exec_lo
	s_trap 2
	s_or_b32 exec_lo, exec_lo, s0
	s_and_saveexec_b32 s0, s16
	s_delay_alu instid0(SALU_CYCLE_1)
	s_xor_b32 s0, exec_lo, s0
	s_cbranch_execnz .LBB8_952
.LBB8_1024:
	s_or_b32 exec_lo, exec_lo, s0
	s_and_saveexec_b32 s0, s15
	s_delay_alu instid0(SALU_CYCLE_1)
	s_xor_b32 s0, exec_lo, s0
	s_cbranch_execz .LBB8_1062
.LBB8_1025:
	s_sext_i32_i16 s13, s14
	s_mov_b32 s11, -1
	s_cmp_lt_i32 s13, 5
	s_cbranch_scc1 .LBB8_1046
; %bb.1026:
	s_cmp_lt_i32 s13, 8
	s_cbranch_scc1 .LBB8_1036
; %bb.1027:
	;; [unrolled: 3-line block ×3, first 2 shown]
	s_cmp_gt_i32 s13, 9
	s_cbranch_scc0 .LBB8_1030
; %bb.1029:
	s_wait_loadcnt 0x0
	v_mov_b32_e32 v2, 0
	s_mov_b32 s11, 0
	s_delay_alu instid0(VALU_DEP_1)
	v_mov_b32_e32 v3, v2
	global_store_b128 v[4:5], v[0:3], off
.LBB8_1030:
	s_and_not1_b32 vcc_lo, exec_lo, s11
	s_cbranch_vccnz .LBB8_1032
; %bb.1031:
	s_wait_loadcnt 0x0
	v_cvt_f32_f64_e32 v2, v[0:1]
	v_mov_b32_e32 v3, 0
	global_store_b64 v[4:5], v[2:3], off
.LBB8_1032:
	s_mov_b32 s11, 0
.LBB8_1033:
	s_delay_alu instid0(SALU_CYCLE_1)
	s_and_not1_b32 vcc_lo, exec_lo, s11
	s_cbranch_vccnz .LBB8_1035
; %bb.1034:
	s_wait_loadcnt 0x0
	v_and_or_b32 v2, 0x1ff, v1, v0
	v_lshrrev_b32_e32 v3, 8, v1
	v_bfe_u32 v6, v1, 20, 11
	s_delay_alu instid0(VALU_DEP_3) | instskip(NEXT) | instid1(VALU_DEP_2)
	v_cmp_ne_u32_e32 vcc_lo, 0, v2
	v_sub_nc_u32_e32 v7, 0x3f1, v6
	v_cndmask_b32_e64 v2, 0, 1, vcc_lo
	s_delay_alu instid0(VALU_DEP_1) | instskip(NEXT) | instid1(VALU_DEP_3)
	v_and_or_b32 v2, 0xffe, v3, v2
	v_med3_i32 v3, v7, 0, 13
	s_delay_alu instid0(VALU_DEP_2) | instskip(NEXT) | instid1(VALU_DEP_1)
	v_or_b32_e32 v7, 0x1000, v2
	v_lshrrev_b32_e32 v8, v3, v7
	s_delay_alu instid0(VALU_DEP_1) | instskip(NEXT) | instid1(VALU_DEP_1)
	v_lshlrev_b32_e32 v3, v3, v8
	v_cmp_ne_u32_e32 vcc_lo, v3, v7
	v_cndmask_b32_e64 v3, 0, 1, vcc_lo
	s_delay_alu instid0(VALU_DEP_1) | instskip(SKIP_1) | instid1(VALU_DEP_1)
	v_or_b32_e32 v3, v8, v3
	v_add_nc_u32_e32 v6, 0xfffffc10, v6
	v_lshl_or_b32 v7, v6, 12, v2
	v_cmp_gt_i32_e32 vcc_lo, 1, v6
	s_delay_alu instid0(VALU_DEP_2) | instskip(NEXT) | instid1(VALU_DEP_1)
	v_cndmask_b32_e32 v3, v7, v3, vcc_lo
	v_dual_lshrrev_b32 v3, 2, v3 :: v_dual_bitop2_b32 v7, 7, v3 bitop3:0x40
	s_delay_alu instid0(VALU_DEP_1) | instskip(SKIP_4) | instid1(VALU_DEP_2)
	v_cmp_lt_i32_e32 vcc_lo, 5, v7
	v_cndmask_b32_e64 v8, 0, 1, vcc_lo
	v_cmp_eq_u32_e32 vcc_lo, 3, v7
	v_cndmask_b32_e64 v7, 0, 1, vcc_lo
	v_cmp_ne_u32_e32 vcc_lo, 0, v2
	v_or_b32_e32 v7, v7, v8
	s_delay_alu instid0(VALU_DEP_1) | instskip(NEXT) | instid1(VALU_DEP_1)
	v_dual_mov_b32 v8, 0x7e00 :: v_dual_add_nc_u32 v3, v3, v7
	v_cndmask_b32_e32 v2, 0x7c00, v8, vcc_lo
	v_cmp_gt_i32_e32 vcc_lo, 31, v6
	v_lshrrev_b32_e32 v7, 16, v1
	s_delay_alu instid0(VALU_DEP_4) | instskip(SKIP_1) | instid1(VALU_DEP_2)
	v_cndmask_b32_e32 v3, 0x7c00, v3, vcc_lo
	v_cmp_eq_u32_e32 vcc_lo, 0x40f, v6
	v_cndmask_b32_e32 v2, v3, v2, vcc_lo
	s_delay_alu instid0(VALU_DEP_4) | instskip(NEXT) | instid1(VALU_DEP_1)
	v_and_b32_e32 v3, 0x8000, v7
	v_bitop3_b32 v2, v3, 0xffff, v2 bitop3:0xc8
	global_store_b32 v[4:5], v2, off
.LBB8_1035:
	s_mov_b32 s11, 0
.LBB8_1036:
	s_delay_alu instid0(SALU_CYCLE_1)
	s_and_not1_b32 vcc_lo, exec_lo, s11
	s_cbranch_vccnz .LBB8_1045
; %bb.1037:
	s_sext_i32_i16 s13, s14
	s_mov_b32 s11, -1
	s_cmp_lt_i32 s13, 6
	s_cbranch_scc1 .LBB8_1043
; %bb.1038:
	s_cmp_gt_i32 s13, 6
	s_cbranch_scc0 .LBB8_1040
; %bb.1039:
	s_mov_b32 s11, 0
	global_store_b64 v[4:5], v[0:1], off
.LBB8_1040:
	s_and_not1_b32 vcc_lo, exec_lo, s11
	s_cbranch_vccnz .LBB8_1042
; %bb.1041:
	s_wait_loadcnt 0x0
	v_cvt_f32_f64_e32 v2, v[0:1]
	global_store_b32 v[4:5], v2, off
.LBB8_1042:
	s_mov_b32 s11, 0
.LBB8_1043:
	s_delay_alu instid0(SALU_CYCLE_1)
	s_and_not1_b32 vcc_lo, exec_lo, s11
	s_cbranch_vccnz .LBB8_1045
; %bb.1044:
	s_wait_loadcnt 0x0
	v_and_or_b32 v2, 0x1ff, v1, v0
	v_lshrrev_b32_e32 v3, 8, v1
	v_bfe_u32 v6, v1, 20, 11
	s_delay_alu instid0(VALU_DEP_3) | instskip(NEXT) | instid1(VALU_DEP_2)
	v_cmp_ne_u32_e32 vcc_lo, 0, v2
	v_sub_nc_u32_e32 v7, 0x3f1, v6
	v_cndmask_b32_e64 v2, 0, 1, vcc_lo
	s_delay_alu instid0(VALU_DEP_1) | instskip(NEXT) | instid1(VALU_DEP_3)
	v_and_or_b32 v2, 0xffe, v3, v2
	v_med3_i32 v3, v7, 0, 13
	s_delay_alu instid0(VALU_DEP_2) | instskip(NEXT) | instid1(VALU_DEP_1)
	v_or_b32_e32 v7, 0x1000, v2
	v_lshrrev_b32_e32 v8, v3, v7
	s_delay_alu instid0(VALU_DEP_1) | instskip(NEXT) | instid1(VALU_DEP_1)
	v_lshlrev_b32_e32 v3, v3, v8
	v_cmp_ne_u32_e32 vcc_lo, v3, v7
	v_cndmask_b32_e64 v3, 0, 1, vcc_lo
	s_delay_alu instid0(VALU_DEP_1) | instskip(SKIP_1) | instid1(VALU_DEP_1)
	v_or_b32_e32 v3, v8, v3
	v_add_nc_u32_e32 v6, 0xfffffc10, v6
	v_lshl_or_b32 v7, v6, 12, v2
	v_cmp_gt_i32_e32 vcc_lo, 1, v6
	s_delay_alu instid0(VALU_DEP_2) | instskip(NEXT) | instid1(VALU_DEP_1)
	v_cndmask_b32_e32 v3, v7, v3, vcc_lo
	v_dual_lshrrev_b32 v3, 2, v3 :: v_dual_bitop2_b32 v7, 7, v3 bitop3:0x40
	s_delay_alu instid0(VALU_DEP_1) | instskip(SKIP_4) | instid1(VALU_DEP_2)
	v_cmp_lt_i32_e32 vcc_lo, 5, v7
	v_cndmask_b32_e64 v8, 0, 1, vcc_lo
	v_cmp_eq_u32_e32 vcc_lo, 3, v7
	v_cndmask_b32_e64 v7, 0, 1, vcc_lo
	v_cmp_ne_u32_e32 vcc_lo, 0, v2
	v_or_b32_e32 v7, v7, v8
	s_delay_alu instid0(VALU_DEP_1) | instskip(NEXT) | instid1(VALU_DEP_1)
	v_dual_mov_b32 v8, 0x7e00 :: v_dual_add_nc_u32 v3, v3, v7
	v_cndmask_b32_e32 v2, 0x7c00, v8, vcc_lo
	v_cmp_gt_i32_e32 vcc_lo, 31, v6
	s_delay_alu instid0(VALU_DEP_3) | instskip(SKIP_1) | instid1(VALU_DEP_2)
	v_cndmask_b32_e32 v3, 0x7c00, v3, vcc_lo
	v_cmp_eq_u32_e32 vcc_lo, 0x40f, v6
	v_dual_cndmask_b32 v2, v3, v2 :: v_dual_lshrrev_b32 v3, 16, v1
	s_delay_alu instid0(VALU_DEP_1)
	v_and_or_b32 v2, 0x8000, v3, v2
	global_store_b16 v[4:5], v2, off
.LBB8_1045:
	s_mov_b32 s11, 0
.LBB8_1046:
	s_delay_alu instid0(SALU_CYCLE_1)
	s_and_not1_b32 vcc_lo, exec_lo, s11
	s_cbranch_vccnz .LBB8_1062
; %bb.1047:
	s_sext_i32_i16 s13, s14
	s_mov_b32 s11, -1
	s_cmp_lt_i32 s13, 2
	s_cbranch_scc1 .LBB8_1057
; %bb.1048:
	s_cmp_lt_i32 s13, 3
	s_cbranch_scc1 .LBB8_1054
; %bb.1049:
	s_cmp_gt_i32 s13, 3
	s_cbranch_scc0 .LBB8_1051
; %bb.1050:
	s_wait_loadcnt 0x0
	v_trunc_f64_e32 v[2:3], v[0:1]
	s_mov_b32 s11, 0
	s_delay_alu instid0(VALU_DEP_1) | instskip(NEXT) | instid1(VALU_DEP_1)
	v_ldexp_f64 v[6:7], v[2:3], 0xffffffe0
	v_floor_f64_e32 v[6:7], v[6:7]
	s_delay_alu instid0(VALU_DEP_1) | instskip(SKIP_1) | instid1(VALU_DEP_2)
	v_fmamk_f64 v[2:3], v[6:7], 0xc1f00000, v[2:3]
	v_cvt_i32_f64_e32 v7, v[6:7]
	v_cvt_u32_f64_e32 v6, v[2:3]
	global_store_b64 v[4:5], v[6:7], off
.LBB8_1051:
	s_and_not1_b32 vcc_lo, exec_lo, s11
	s_cbranch_vccnz .LBB8_1053
; %bb.1052:
	s_wait_loadcnt 0x0
	v_cvt_i32_f64_e32 v2, v[0:1]
	global_store_b32 v[4:5], v2, off
.LBB8_1053:
	s_mov_b32 s11, 0
.LBB8_1054:
	s_delay_alu instid0(SALU_CYCLE_1)
	s_and_not1_b32 vcc_lo, exec_lo, s11
	s_cbranch_vccnz .LBB8_1056
; %bb.1055:
	s_wait_loadcnt 0x0
	v_cvt_i32_f64_e32 v2, v[0:1]
	global_store_b16 v[4:5], v2, off
.LBB8_1056:
	s_mov_b32 s11, 0
.LBB8_1057:
	s_delay_alu instid0(SALU_CYCLE_1)
	s_and_not1_b32 vcc_lo, exec_lo, s11
	s_cbranch_vccnz .LBB8_1062
; %bb.1058:
	s_sext_i32_i16 s11, s14
	s_delay_alu instid0(SALU_CYCLE_1)
	s_cmp_gt_i32 s11, 0
	s_mov_b32 s11, -1
	s_cbranch_scc0 .LBB8_1060
; %bb.1059:
	s_wait_loadcnt 0x0
	v_cvt_i32_f64_e32 v2, v[0:1]
	s_mov_b32 s11, 0
	global_store_b8 v[4:5], v2, off
.LBB8_1060:
	s_and_not1_b32 vcc_lo, exec_lo, s11
	s_cbranch_vccnz .LBB8_1062
; %bb.1061:
	s_wait_xcnt 0x0
	v_trunc_f64_e32 v[0:1], v[0:1]
	s_wait_loadcnt 0x0
	s_delay_alu instid0(VALU_DEP_1) | instskip(NEXT) | instid1(VALU_DEP_1)
	v_ldexp_f64 v[2:3], v[0:1], 0xffffffe0
	v_floor_f64_e32 v[2:3], v[2:3]
	s_delay_alu instid0(VALU_DEP_1) | instskip(NEXT) | instid1(VALU_DEP_1)
	v_fmamk_f64 v[0:1], v[2:3], 0xc1f00000, v[0:1]
	v_cvt_u32_f64_e32 v0, v[0:1]
	global_store_b8 v[4:5], v0, off
.LBB8_1062:
	s_wait_xcnt 0x0
	s_or_b32 exec_lo, exec_lo, s0
	s_delay_alu instid0(SALU_CYCLE_1)
	s_and_b32 s11, s12, exec_lo
                                        ; implicit-def: $vgpr10
.LBB8_1063:
	s_or_saveexec_b32 s10, s10
	s_mov_b32 s0, 0
                                        ; implicit-def: $sgpr12
                                        ; implicit-def: $vgpr0_vgpr1
                                        ; implicit-def: $vgpr12_vgpr13
	s_xor_b32 exec_lo, exec_lo, s10
	s_cbranch_execz .LBB8_1692
; %bb.1064:
	s_wait_loadcnt 0x0
	v_mul_lo_u32 v2, s3, v10
	s_and_b32 s9, 0xffff, s9
	s_delay_alu instid0(SALU_CYCLE_1) | instskip(NEXT) | instid1(VALU_DEP_1)
	s_cmp_lt_i32 s9, 11
	v_ashrrev_i32_e32 v3, 31, v2
	s_delay_alu instid0(VALU_DEP_1)
	v_add_nc_u64_e32 v[0:1], s[6:7], v[2:3]
	s_cbranch_scc1 .LBB8_1071
; %bb.1065:
	s_cmp_gt_i32 s9, 25
	s_mov_b32 s12, 0
	s_cbranch_scc0 .LBB8_1073
; %bb.1066:
	s_cmp_gt_i32 s9, 28
	s_cbranch_scc0 .LBB8_1074
; %bb.1067:
	s_cmp_gt_i32 s9, 43
	s_cbranch_scc0 .LBB8_1075
; %bb.1068:
	s_cmp_gt_i32 s9, 45
	s_cbranch_scc0 .LBB8_1076
; %bb.1069:
	s_cmp_eq_u32 s9, 46
	s_cbranch_scc0 .LBB8_1079
; %bb.1070:
	global_load_b32 v3, v[0:1], off
	s_mov_b32 s13, -1
	s_wait_loadcnt 0x0
	v_lshlrev_b32_e32 v3, 16, v3
	s_delay_alu instid0(VALU_DEP_1)
	v_cvt_f64_f32_e32 v[4:5], v3
	s_branch .LBB8_1081
.LBB8_1071:
	s_mov_b32 s13, 0
	s_mov_b32 s1, s11
                                        ; implicit-def: $vgpr4_vgpr5
	s_cbranch_execnz .LBB8_1144
.LBB8_1072:
	s_and_not1_b32 vcc_lo, exec_lo, s13
                                        ; implicit-def: $vgpr14_vgpr15
	s_cbranch_vccz .LBB8_1189
	s_branch .LBB8_1690
.LBB8_1073:
	s_mov_b32 s13, 0
                                        ; implicit-def: $vgpr4_vgpr5
	s_cbranch_execnz .LBB8_1109
	s_branch .LBB8_1140
.LBB8_1074:
	s_mov_b32 s1, -1
	s_mov_b32 s13, 0
                                        ; implicit-def: $vgpr4_vgpr5
	s_branch .LBB8_1090
.LBB8_1075:
	s_mov_b32 s13, 0
                                        ; implicit-def: $vgpr4_vgpr5
	s_cbranch_execnz .LBB8_1086
	s_branch .LBB8_1089
.LBB8_1076:
	s_mov_b32 s1, -1
	s_branch .LBB8_1080
.LBB8_1077:
	s_and_not1_saveexec_b32 s18, s18
	s_cbranch_execz .LBB8_976
.LBB8_1078:
	v_add_f32_e64 v3, 0x46000000, |v2|
	s_and_not1_b32 s17, s17, exec_lo
	s_delay_alu instid0(VALU_DEP_1) | instskip(NEXT) | instid1(VALU_DEP_1)
	v_and_b32_e32 v3, 0xff, v3
	v_cmp_ne_u32_e32 vcc_lo, 0, v3
	s_and_b32 s19, vcc_lo, exec_lo
	s_delay_alu instid0(SALU_CYCLE_1)
	s_or_b32 s17, s17, s19
	s_or_b32 exec_lo, exec_lo, s18
	v_mov_b32_e32 v6, 0
	s_and_saveexec_b32 s18, s17
	s_cbranch_execnz .LBB8_977
	s_branch .LBB8_978
.LBB8_1079:
	s_mov_b32 s0, -1
.LBB8_1080:
	s_mov_b32 s13, 0
                                        ; implicit-def: $vgpr4_vgpr5
.LBB8_1081:
	s_and_b32 vcc_lo, exec_lo, s1
	s_cbranch_vccz .LBB8_1084
; %bb.1082:
	s_cmp_eq_u32 s9, 44
	s_cbranch_scc0 .LBB8_1085
; %bb.1083:
	global_load_u8 v3, v[0:1], off
	s_mov_b32 s0, 0
	s_mov_b32 s13, -1
	s_wait_loadcnt 0x0
	v_cmp_ne_u32_e32 vcc_lo, 0xff, v3
	v_lshlrev_b32_e32 v4, 23, v3
	s_delay_alu instid0(VALU_DEP_1) | instskip(NEXT) | instid1(VALU_DEP_1)
	v_cvt_f64_f32_e32 v[4:5], v4
	v_cndmask_b32_e32 v4, 0x20000000, v4, vcc_lo
	s_delay_alu instid0(VALU_DEP_2) | instskip(SKIP_1) | instid1(VALU_DEP_2)
	v_cndmask_b32_e32 v5, 0x7ff80000, v5, vcc_lo
	v_cmp_ne_u32_e32 vcc_lo, 0, v3
	v_cndmask_b32_e32 v5, 0x38000000, v5, vcc_lo
	s_delay_alu instid0(VALU_DEP_4)
	v_cndmask_b32_e32 v4, 0, v4, vcc_lo
.LBB8_1084:
	s_branch .LBB8_1089
.LBB8_1085:
	s_mov_b32 s0, -1
                                        ; implicit-def: $vgpr4_vgpr5
	s_branch .LBB8_1089
.LBB8_1086:
	s_cmp_eq_u32 s9, 29
	s_cbranch_scc0 .LBB8_1088
; %bb.1087:
	global_load_b64 v[4:5], v[0:1], off
	s_mov_b32 s0, 0
	s_mov_b32 s13, -1
	s_mov_b32 s1, 0
	s_wait_loadcnt 0x0
	v_cvt_f64_u32_e32 v[6:7], v5
	v_cvt_f64_u32_e32 v[4:5], v4
	s_delay_alu instid0(VALU_DEP_2) | instskip(NEXT) | instid1(VALU_DEP_1)
	v_ldexp_f64 v[6:7], v[6:7], 32
	v_add_f64_e32 v[4:5], v[6:7], v[4:5]
	s_branch .LBB8_1090
.LBB8_1088:
	s_mov_b32 s0, -1
                                        ; implicit-def: $vgpr4_vgpr5
.LBB8_1089:
	s_mov_b32 s1, 0
.LBB8_1090:
	s_delay_alu instid0(SALU_CYCLE_1)
	s_and_b32 vcc_lo, exec_lo, s1
	s_cbranch_vccz .LBB8_1108
; %bb.1091:
	s_cmp_lt_i32 s9, 27
	s_cbranch_scc1 .LBB8_1094
; %bb.1092:
	s_cmp_gt_i32 s9, 27
	s_cbranch_scc0 .LBB8_1095
; %bb.1093:
	global_load_b32 v3, v[0:1], off
	s_mov_b32 s1, 0
	s_wait_loadcnt 0x0
	v_cvt_f64_u32_e32 v[4:5], v3
	s_branch .LBB8_1096
.LBB8_1094:
	s_mov_b32 s1, -1
                                        ; implicit-def: $vgpr4_vgpr5
	s_branch .LBB8_1099
.LBB8_1095:
	s_mov_b32 s1, -1
                                        ; implicit-def: $vgpr4_vgpr5
.LBB8_1096:
	s_delay_alu instid0(SALU_CYCLE_1)
	s_and_not1_b32 vcc_lo, exec_lo, s1
	s_cbranch_vccnz .LBB8_1098
; %bb.1097:
	global_load_u16 v3, v[0:1], off
	s_wait_loadcnt 0x0
	v_cvt_f64_u32_e32 v[4:5], v3
.LBB8_1098:
	s_mov_b32 s1, 0
.LBB8_1099:
	s_delay_alu instid0(SALU_CYCLE_1)
	s_and_not1_b32 vcc_lo, exec_lo, s1
	s_cbranch_vccnz .LBB8_1107
; %bb.1100:
	global_load_u8 v3, v[0:1], off
	s_mov_b32 s1, 0
	s_mov_b32 s13, exec_lo
	s_wait_loadcnt 0x0
	v_cmpx_lt_i16_e32 0x7f, v3
	s_xor_b32 s13, exec_lo, s13
	s_cbranch_execz .LBB8_1120
; %bb.1101:
	s_mov_b32 s1, -1
	s_mov_b32 s14, exec_lo
	v_cmpx_eq_u16_e32 0x80, v3
; %bb.1102:
	s_xor_b32 s1, exec_lo, -1
; %bb.1103:
	s_or_b32 exec_lo, exec_lo, s14
	s_delay_alu instid0(SALU_CYCLE_1)
	s_and_b32 s1, s1, exec_lo
	s_or_saveexec_b32 s13, s13
	v_mov_b64_e32 v[4:5], 0x7ff8000020000000
	s_xor_b32 exec_lo, exec_lo, s13
	s_cbranch_execnz .LBB8_1121
.LBB8_1104:
	s_or_b32 exec_lo, exec_lo, s13
	s_and_saveexec_b32 s13, s1
	s_cbranch_execz .LBB8_1106
.LBB8_1105:
	v_and_b32_e32 v4, 0xffff, v3
	s_delay_alu instid0(VALU_DEP_1) | instskip(SKIP_1) | instid1(VALU_DEP_2)
	v_and_b32_e32 v5, 7, v4
	v_bfe_u32 v8, v4, 3, 4
	v_clz_i32_u32_e32 v6, v5
	s_delay_alu instid0(VALU_DEP_2) | instskip(NEXT) | instid1(VALU_DEP_2)
	v_cmp_eq_u32_e32 vcc_lo, 0, v8
	v_min_u32_e32 v6, 32, v6
	s_delay_alu instid0(VALU_DEP_1) | instskip(NEXT) | instid1(VALU_DEP_1)
	v_subrev_nc_u32_e32 v7, 28, v6
	v_dual_lshlrev_b32 v4, v7, v4 :: v_dual_sub_nc_u32 v6, 29, v6
	s_delay_alu instid0(VALU_DEP_1) | instskip(NEXT) | instid1(VALU_DEP_1)
	v_dual_lshlrev_b32 v3, 24, v3 :: v_dual_bitop2_b32 v4, 7, v4 bitop3:0x40
	v_dual_cndmask_b32 v6, v8, v6, vcc_lo :: v_dual_cndmask_b32 v4, v5, v4, vcc_lo
	s_delay_alu instid0(VALU_DEP_2) | instskip(NEXT) | instid1(VALU_DEP_2)
	v_and_b32_e32 v3, 0x80000000, v3
	v_lshl_add_u32 v5, v6, 23, 0x3b800000
	s_delay_alu instid0(VALU_DEP_3) | instskip(NEXT) | instid1(VALU_DEP_1)
	v_lshlrev_b32_e32 v4, 20, v4
	v_or3_b32 v3, v3, v5, v4
	s_delay_alu instid0(VALU_DEP_1)
	v_cvt_f64_f32_e32 v[4:5], v3
.LBB8_1106:
	s_or_b32 exec_lo, exec_lo, s13
.LBB8_1107:
	s_mov_b32 s13, -1
.LBB8_1108:
	s_branch .LBB8_1140
.LBB8_1109:
	s_cmp_gt_i32 s9, 22
	s_cbranch_scc0 .LBB8_1119
; %bb.1110:
	s_cmp_lt_i32 s9, 24
	s_cbranch_scc1 .LBB8_1122
; %bb.1111:
	s_cmp_gt_i32 s9, 24
	s_cbranch_scc0 .LBB8_1123
; %bb.1112:
	global_load_u8 v3, v[0:1], off
	s_mov_b32 s1, 0
	s_mov_b32 s12, exec_lo
	s_wait_loadcnt 0x0
	v_cmpx_lt_i16_e32 0x7f, v3
	s_xor_b32 s12, exec_lo, s12
	s_cbranch_execz .LBB8_1134
; %bb.1113:
	s_mov_b32 s1, -1
	s_mov_b32 s13, exec_lo
	v_cmpx_eq_u16_e32 0x80, v3
; %bb.1114:
	s_xor_b32 s1, exec_lo, -1
; %bb.1115:
	s_or_b32 exec_lo, exec_lo, s13
	s_delay_alu instid0(SALU_CYCLE_1)
	s_and_b32 s1, s1, exec_lo
	s_or_saveexec_b32 s12, s12
	v_mov_b64_e32 v[4:5], 0x7ff8000020000000
	s_xor_b32 exec_lo, exec_lo, s12
	s_cbranch_execnz .LBB8_1135
.LBB8_1116:
	s_or_b32 exec_lo, exec_lo, s12
	s_and_saveexec_b32 s12, s1
	s_cbranch_execz .LBB8_1118
.LBB8_1117:
	v_and_b32_e32 v4, 0xffff, v3
	s_delay_alu instid0(VALU_DEP_1) | instskip(SKIP_1) | instid1(VALU_DEP_2)
	v_and_b32_e32 v5, 3, v4
	v_bfe_u32 v8, v4, 2, 5
	v_clz_i32_u32_e32 v6, v5
	s_delay_alu instid0(VALU_DEP_2) | instskip(NEXT) | instid1(VALU_DEP_2)
	v_cmp_eq_u32_e32 vcc_lo, 0, v8
	v_min_u32_e32 v6, 32, v6
	s_delay_alu instid0(VALU_DEP_1) | instskip(NEXT) | instid1(VALU_DEP_1)
	v_subrev_nc_u32_e32 v7, 29, v6
	v_dual_lshlrev_b32 v4, v7, v4 :: v_dual_sub_nc_u32 v6, 30, v6
	s_delay_alu instid0(VALU_DEP_1) | instskip(NEXT) | instid1(VALU_DEP_1)
	v_dual_lshlrev_b32 v3, 24, v3 :: v_dual_bitop2_b32 v4, 3, v4 bitop3:0x40
	v_dual_cndmask_b32 v6, v8, v6, vcc_lo :: v_dual_cndmask_b32 v4, v5, v4, vcc_lo
	s_delay_alu instid0(VALU_DEP_2) | instskip(NEXT) | instid1(VALU_DEP_2)
	v_and_b32_e32 v3, 0x80000000, v3
	v_lshl_add_u32 v5, v6, 23, 0x37800000
	s_delay_alu instid0(VALU_DEP_3) | instskip(NEXT) | instid1(VALU_DEP_1)
	v_lshlrev_b32_e32 v4, 21, v4
	v_or3_b32 v3, v3, v5, v4
	s_delay_alu instid0(VALU_DEP_1)
	v_cvt_f64_f32_e32 v[4:5], v3
.LBB8_1118:
	s_or_b32 exec_lo, exec_lo, s12
	s_mov_b32 s1, 0
	s_branch .LBB8_1124
.LBB8_1119:
                                        ; implicit-def: $vgpr4_vgpr5
	s_mov_b32 s12, 0
	s_branch .LBB8_1130
.LBB8_1120:
	s_or_saveexec_b32 s13, s13
	v_mov_b64_e32 v[4:5], 0x7ff8000020000000
	s_xor_b32 exec_lo, exec_lo, s13
	s_cbranch_execz .LBB8_1104
.LBB8_1121:
	v_cmp_ne_u16_e32 vcc_lo, 0, v3
	v_mov_b64_e32 v[4:5], 0
	s_and_not1_b32 s1, s1, exec_lo
	s_and_b32 s14, vcc_lo, exec_lo
	s_delay_alu instid0(SALU_CYCLE_1)
	s_or_b32 s1, s1, s14
	s_or_b32 exec_lo, exec_lo, s13
	s_and_saveexec_b32 s13, s1
	s_cbranch_execnz .LBB8_1105
	s_branch .LBB8_1106
.LBB8_1122:
	s_mov_b32 s1, -1
                                        ; implicit-def: $vgpr4_vgpr5
	s_branch .LBB8_1127
.LBB8_1123:
	s_mov_b32 s1, -1
                                        ; implicit-def: $vgpr4_vgpr5
.LBB8_1124:
	s_delay_alu instid0(SALU_CYCLE_1)
	s_and_b32 vcc_lo, exec_lo, s1
	s_cbranch_vccz .LBB8_1126
; %bb.1125:
	global_load_u8 v3, v[0:1], off
	s_wait_loadcnt 0x0
	v_lshlrev_b32_e32 v3, 24, v3
	s_delay_alu instid0(VALU_DEP_1) | instskip(NEXT) | instid1(VALU_DEP_1)
	v_and_b32_e32 v4, 0x7f000000, v3
	v_clz_i32_u32_e32 v5, v4
	v_cmp_ne_u32_e32 vcc_lo, 0, v4
	v_add_nc_u32_e32 v7, 0x1000000, v4
	s_delay_alu instid0(VALU_DEP_3) | instskip(NEXT) | instid1(VALU_DEP_1)
	v_min_u32_e32 v5, 32, v5
	v_sub_nc_u32_e64 v5, v5, 4 clamp
	s_delay_alu instid0(VALU_DEP_1) | instskip(NEXT) | instid1(VALU_DEP_1)
	v_dual_lshlrev_b32 v6, v5, v4 :: v_dual_lshlrev_b32 v5, 23, v5
	v_lshrrev_b32_e32 v6, 4, v6
	s_delay_alu instid0(VALU_DEP_1) | instskip(NEXT) | instid1(VALU_DEP_1)
	v_dual_sub_nc_u32 v5, v6, v5 :: v_dual_ashrrev_i32 v6, 8, v7
	v_add_nc_u32_e32 v5, 0x3c000000, v5
	s_delay_alu instid0(VALU_DEP_1) | instskip(NEXT) | instid1(VALU_DEP_1)
	v_and_or_b32 v5, 0x7f800000, v6, v5
	v_cndmask_b32_e32 v4, 0, v5, vcc_lo
	s_delay_alu instid0(VALU_DEP_1) | instskip(NEXT) | instid1(VALU_DEP_1)
	v_and_or_b32 v3, 0x80000000, v3, v4
	v_cvt_f64_f32_e32 v[4:5], v3
.LBB8_1126:
	s_mov_b32 s1, 0
.LBB8_1127:
	s_delay_alu instid0(SALU_CYCLE_1)
	s_and_not1_b32 vcc_lo, exec_lo, s1
	s_cbranch_vccnz .LBB8_1129
; %bb.1128:
	global_load_u8 v3, v[0:1], off
	s_wait_loadcnt 0x0
	v_lshlrev_b32_e32 v4, 25, v3
	v_lshlrev_b16 v3, 8, v3
	s_delay_alu instid0(VALU_DEP_1) | instskip(SKIP_1) | instid1(VALU_DEP_2)
	v_and_or_b32 v6, 0x7f00, v3, 0.5
	v_bfe_i32 v3, v3, 0, 16
	v_dual_add_f32 v6, -0.5, v6 :: v_dual_lshrrev_b32 v5, 4, v4
	v_cmp_gt_u32_e32 vcc_lo, 0x8000000, v4
	s_delay_alu instid0(VALU_DEP_2) | instskip(NEXT) | instid1(VALU_DEP_1)
	v_or_b32_e32 v5, 0x70000000, v5
	v_mul_f32_e32 v5, 0x7800000, v5
	s_delay_alu instid0(VALU_DEP_1) | instskip(NEXT) | instid1(VALU_DEP_1)
	v_cndmask_b32_e32 v4, v5, v6, vcc_lo
	v_and_or_b32 v3, 0x80000000, v3, v4
	s_delay_alu instid0(VALU_DEP_1)
	v_cvt_f64_f32_e32 v[4:5], v3
.LBB8_1129:
	s_mov_b32 s13, -1
	s_mov_b32 s12, 0
	s_cbranch_execnz .LBB8_1140
.LBB8_1130:
	s_cmp_gt_i32 s9, 14
	s_cbranch_scc0 .LBB8_1133
; %bb.1131:
	s_cmp_eq_u32 s9, 15
	s_cbranch_scc0 .LBB8_1136
; %bb.1132:
	global_load_u16 v3, v[0:1], off
	s_mov_b32 s0, 0
	s_mov_b32 s13, -1
	s_wait_loadcnt 0x0
	v_lshlrev_b32_e32 v3, 16, v3
	s_delay_alu instid0(VALU_DEP_1)
	v_cvt_f64_f32_e32 v[4:5], v3
	s_branch .LBB8_1137
.LBB8_1133:
	s_mov_b32 s1, -1
                                        ; implicit-def: $vgpr4_vgpr5
	s_branch .LBB8_1138
.LBB8_1134:
	s_or_saveexec_b32 s12, s12
	v_mov_b64_e32 v[4:5], 0x7ff8000020000000
	s_xor_b32 exec_lo, exec_lo, s12
	s_cbranch_execz .LBB8_1116
.LBB8_1135:
	v_cmp_ne_u16_e32 vcc_lo, 0, v3
	v_mov_b64_e32 v[4:5], 0
	s_and_not1_b32 s1, s1, exec_lo
	s_and_b32 s13, vcc_lo, exec_lo
	s_delay_alu instid0(SALU_CYCLE_1)
	s_or_b32 s1, s1, s13
	s_or_b32 exec_lo, exec_lo, s12
	s_and_saveexec_b32 s12, s1
	s_cbranch_execnz .LBB8_1117
	s_branch .LBB8_1118
.LBB8_1136:
	s_mov_b32 s0, -1
                                        ; implicit-def: $vgpr4_vgpr5
.LBB8_1137:
	s_mov_b32 s1, 0
.LBB8_1138:
	s_delay_alu instid0(SALU_CYCLE_1)
	s_and_b32 vcc_lo, exec_lo, s1
	s_cbranch_vccz .LBB8_1140
; %bb.1139:
	s_cmp_lg_u32 s9, 11
	s_mov_b32 s12, -1
	s_cselect_b32 s0, -1, 0
.LBB8_1140:
	s_delay_alu instid0(SALU_CYCLE_1)
	s_and_b32 vcc_lo, exec_lo, s0
	s_mov_b32 s1, s11
	s_cbranch_vccnz .LBB8_1209
; %bb.1141:
	s_and_not1_b32 vcc_lo, exec_lo, s12
	s_cbranch_vccnz .LBB8_1143
.LBB8_1142:
	global_load_u8 v3, v[0:1], off
	v_mov_b32_e32 v4, 0
	s_mov_b32 s13, -1
	s_wait_loadcnt 0x0
	v_cmp_ne_u16_e32 vcc_lo, 0, v3
	v_cndmask_b32_e64 v5, 0, 0x3ff00000, vcc_lo
.LBB8_1143:
	s_branch .LBB8_1072
.LBB8_1144:
	s_cmp_lt_i32 s9, 5
	s_cbranch_scc1 .LBB8_1149
; %bb.1145:
	s_cmp_lt_i32 s9, 8
	s_cbranch_scc1 .LBB8_1150
; %bb.1146:
	;; [unrolled: 3-line block ×3, first 2 shown]
	s_cmp_gt_i32 s9, 9
	s_cbranch_scc0 .LBB8_1152
; %bb.1148:
	global_load_b64 v[4:5], v[0:1], off
	s_mov_b32 s0, 0
	s_branch .LBB8_1153
.LBB8_1149:
                                        ; implicit-def: $vgpr4_vgpr5
	s_branch .LBB8_1170
.LBB8_1150:
                                        ; implicit-def: $vgpr4_vgpr5
	s_branch .LBB8_1159
.LBB8_1151:
	s_mov_b32 s0, -1
                                        ; implicit-def: $vgpr4_vgpr5
	s_branch .LBB8_1156
.LBB8_1152:
	s_mov_b32 s0, -1
                                        ; implicit-def: $vgpr4_vgpr5
.LBB8_1153:
	s_delay_alu instid0(SALU_CYCLE_1)
	s_and_not1_b32 vcc_lo, exec_lo, s0
	s_cbranch_vccnz .LBB8_1155
; %bb.1154:
	global_load_b32 v3, v[0:1], off
	s_wait_loadcnt 0x0
	v_cvt_f64_f32_e32 v[4:5], v3
.LBB8_1155:
	s_mov_b32 s0, 0
.LBB8_1156:
	s_delay_alu instid0(SALU_CYCLE_1)
	s_and_not1_b32 vcc_lo, exec_lo, s0
	s_cbranch_vccnz .LBB8_1158
; %bb.1157:
	global_load_b32 v3, v[0:1], off
	s_wait_loadcnt 0x0
	v_cvt_f32_f16_e32 v3, v3
	s_delay_alu instid0(VALU_DEP_1)
	v_cvt_f64_f32_e32 v[4:5], v3
.LBB8_1158:
	s_cbranch_execnz .LBB8_1169
.LBB8_1159:
	s_cmp_lt_i32 s9, 6
	s_cbranch_scc1 .LBB8_1162
; %bb.1160:
	s_cmp_gt_i32 s9, 6
	s_cbranch_scc0 .LBB8_1163
; %bb.1161:
	s_wait_loadcnt 0x0
	global_load_b64 v[4:5], v[0:1], off
	s_mov_b32 s0, 0
	s_branch .LBB8_1164
.LBB8_1162:
	s_mov_b32 s0, -1
                                        ; implicit-def: $vgpr4_vgpr5
	s_branch .LBB8_1167
.LBB8_1163:
	s_mov_b32 s0, -1
                                        ; implicit-def: $vgpr4_vgpr5
.LBB8_1164:
	s_delay_alu instid0(SALU_CYCLE_1)
	s_and_not1_b32 vcc_lo, exec_lo, s0
	s_cbranch_vccnz .LBB8_1166
; %bb.1165:
	global_load_b32 v3, v[0:1], off
	s_wait_loadcnt 0x0
	v_cvt_f64_f32_e32 v[4:5], v3
.LBB8_1166:
	s_mov_b32 s0, 0
.LBB8_1167:
	s_delay_alu instid0(SALU_CYCLE_1)
	s_and_not1_b32 vcc_lo, exec_lo, s0
	s_cbranch_vccnz .LBB8_1169
; %bb.1168:
	global_load_u16 v3, v[0:1], off
	s_wait_loadcnt 0x0
	v_cvt_f32_f16_e32 v3, v3
	s_delay_alu instid0(VALU_DEP_1)
	v_cvt_f64_f32_e32 v[4:5], v3
.LBB8_1169:
	s_cbranch_execnz .LBB8_1188
.LBB8_1170:
	s_cmp_lt_i32 s9, 2
	s_cbranch_scc1 .LBB8_1174
; %bb.1171:
	s_cmp_lt_i32 s9, 3
	s_cbranch_scc1 .LBB8_1175
; %bb.1172:
	s_cmp_gt_i32 s9, 3
	s_cbranch_scc0 .LBB8_1176
; %bb.1173:
	s_wait_loadcnt 0x0
	global_load_b64 v[4:5], v[0:1], off
	s_mov_b32 s0, 0
	s_wait_loadcnt 0x0
	v_cvt_f64_i32_e32 v[6:7], v5
	v_cvt_f64_u32_e32 v[4:5], v4
	s_delay_alu instid0(VALU_DEP_2) | instskip(NEXT) | instid1(VALU_DEP_1)
	v_ldexp_f64 v[6:7], v[6:7], 32
	v_add_f64_e32 v[4:5], v[6:7], v[4:5]
	s_branch .LBB8_1177
.LBB8_1174:
                                        ; implicit-def: $vgpr4_vgpr5
	s_branch .LBB8_1183
.LBB8_1175:
	s_mov_b32 s0, -1
                                        ; implicit-def: $vgpr4_vgpr5
	s_branch .LBB8_1180
.LBB8_1176:
	s_mov_b32 s0, -1
                                        ; implicit-def: $vgpr4_vgpr5
.LBB8_1177:
	s_delay_alu instid0(SALU_CYCLE_1)
	s_and_not1_b32 vcc_lo, exec_lo, s0
	s_cbranch_vccnz .LBB8_1179
; %bb.1178:
	global_load_b32 v3, v[0:1], off
	s_wait_loadcnt 0x0
	v_cvt_f64_i32_e32 v[4:5], v3
.LBB8_1179:
	s_mov_b32 s0, 0
.LBB8_1180:
	s_delay_alu instid0(SALU_CYCLE_1)
	s_and_not1_b32 vcc_lo, exec_lo, s0
	s_cbranch_vccnz .LBB8_1182
; %bb.1181:
	global_load_i16 v3, v[0:1], off
	s_wait_loadcnt 0x0
	v_cvt_f64_i32_e32 v[4:5], v3
.LBB8_1182:
	s_cbranch_execnz .LBB8_1188
.LBB8_1183:
	s_cmp_gt_i32 s9, 0
	s_mov_b32 s0, 0
	s_cbranch_scc0 .LBB8_1185
; %bb.1184:
	global_load_i8 v3, v[0:1], off
	s_wait_loadcnt 0x0
	v_cvt_f64_i32_e32 v[4:5], v3
	s_branch .LBB8_1186
.LBB8_1185:
	s_mov_b32 s0, -1
                                        ; implicit-def: $vgpr4_vgpr5
.LBB8_1186:
	s_delay_alu instid0(SALU_CYCLE_1)
	s_and_not1_b32 vcc_lo, exec_lo, s0
	s_cbranch_vccnz .LBB8_1188
; %bb.1187:
	global_load_u8 v0, v[0:1], off
	s_wait_loadcnt 0x0
	v_cvt_f64_u32_e32 v[4:5], v0
.LBB8_1188:
                                        ; implicit-def: $vgpr14_vgpr15
.LBB8_1189:
	s_wait_xcnt 0x0
	v_mov_b64_e32 v[0:1], 0x7ff0000000000000
	s_mov_b32 s12, exec_lo
	s_wait_loadcnt 0x0
	s_delay_alu instid0(VALU_DEP_2)
	v_cmpx_neq_f64_e32 0, v[4:5]
	s_cbranch_execz .LBB8_1197
; %bb.1190:
	v_mov_b64_e32 v[0:1], 0x7ff8000000000000
	s_mov_b32 s13, exec_lo
	v_cmpx_ngt_f64_e32 0, v[4:5]
	s_cbranch_execz .LBB8_1196
; %bb.1191:
                                        ; implicit-def: $vgpr0_vgpr1
	s_mov_b32 s0, exec_lo
	v_cmpx_ge_f64_e32 2.0, v[4:5]
	s_xor_b32 s14, exec_lo, s0
	s_cbranch_execz .LBB8_1193
; %bb.1192:
	v_fma_f64 v[0:1], v[4:5], 0.5, -2.0
	s_mov_b64 s[16:17], 0xbc545cb72134d0ef
	v_mul_f64_e32 v[12:13], 0.5, v[4:5]
	s_delay_alu instid0(VALU_DEP_2) | instskip(SKIP_1) | instid1(VALU_DEP_2)
	v_fmaak_f64 v[6:7], s[16:17], v[0:1], 0x3c833362977da589
	s_mov_b64 s[16:17], 0x3fe5555555555555
	v_frexp_mant_f64_e32 v[14:15], v[12:13]
	v_cmp_neq_f64_e64 s0, 0, v[12:13]
	s_delay_alu instid0(VALU_DEP_3) | instskip(NEXT) | instid1(VALU_DEP_1)
	v_fmaak_f64 v[8:9], v[0:1], v[6:7], 0x3c545cb72134d0ef
	v_add_f64_e32 v[8:9], 0xbcb184eb721ebbb4, v[8:9]
	s_delay_alu instid0(VALU_DEP_4) | instskip(SKIP_1) | instid1(VALU_DEP_2)
	v_cmp_gt_f64_e32 vcc_lo, s[16:17], v[14:15]
	s_mov_b64 s[16:17], 0x3fc3ab76bf559e2b
	v_fma_f64 v[6:7], v[0:1], v[8:9], -v[6:7]
	v_cndmask_b32_e64 v3, 0, 1, vcc_lo
	s_delay_alu instid0(VALU_DEP_1) | instskip(SKIP_1) | instid1(VALU_DEP_4)
	v_ldexp_f64 v[14:15], v[14:15], v3
	v_frexp_exp_i32_f64_e32 v3, v[12:13]
	v_add_f64_e32 v[6:7], 0x3cdee6d893f65eba, v[6:7]
	s_delay_alu instid0(VALU_DEP_3) | instskip(SKIP_1) | instid1(VALU_DEP_4)
	v_add_f64_e32 v[16:17], 1.0, v[14:15]
	v_add_f64_e32 v[22:23], -1.0, v[14:15]
	v_subrev_co_ci_u32_e64 v3, null, 0, v3, vcc_lo
	v_cmp_neq_f64_e32 vcc_lo, 0x7ff00000, v[12:13]
	v_fma_f64 v[8:9], v[0:1], v[6:7], -v[8:9]
	v_rcp_f64_e32 v[18:19], v[16:17]
	v_add_f64_e32 v[24:25], -1.0, v[16:17]
	s_delay_alu instid0(VALU_DEP_2) | instskip(NEXT) | instid1(VALU_DEP_2)
	v_add_f64_e32 v[8:9], 0xbd0a5022c297fbeb, v[8:9]
	v_add_f64_e64 v[14:15], v[14:15], -v[24:25]
	s_delay_alu instid0(TRANS32_DEP_1) | instskip(NEXT) | instid1(VALU_DEP_3)
	v_fma_f64 v[20:21], -v[16:17], v[18:19], 1.0
	v_fma_f64 v[6:7], v[0:1], v[8:9], -v[6:7]
	s_delay_alu instid0(VALU_DEP_2) | instskip(NEXT) | instid1(VALU_DEP_2)
	v_fmac_f64_e32 v[18:19], v[20:21], v[18:19]
	v_add_f64_e32 v[6:7], 0x3d359b464b262627, v[6:7]
	s_delay_alu instid0(VALU_DEP_2) | instskip(NEXT) | instid1(VALU_DEP_2)
	v_fma_f64 v[20:21], -v[16:17], v[18:19], 1.0
	v_fma_f64 v[8:9], v[0:1], v[6:7], -v[8:9]
	s_delay_alu instid0(VALU_DEP_2) | instskip(NEXT) | instid1(VALU_DEP_2)
	v_fmac_f64_e32 v[18:19], v[20:21], v[18:19]
	v_add_f64_e32 v[8:9], 0xbd61164c62ee1af0, v[8:9]
	s_delay_alu instid0(VALU_DEP_2) | instskip(NEXT) | instid1(VALU_DEP_2)
	v_mul_f64_e32 v[20:21], v[22:23], v[18:19]
	v_fma_f64 v[6:7], v[0:1], v[8:9], -v[6:7]
	s_delay_alu instid0(VALU_DEP_2) | instskip(NEXT) | instid1(VALU_DEP_2)
	v_mul_f64_e32 v[26:27], v[16:17], v[20:21]
	v_add_f64_e32 v[6:7], 0x3d89fe2fe19bd324, v[6:7]
	s_delay_alu instid0(VALU_DEP_2) | instskip(NEXT) | instid1(VALU_DEP_2)
	v_fma_f64 v[16:17], v[20:21], v[16:17], -v[26:27]
	v_fma_f64 v[8:9], v[0:1], v[6:7], -v[8:9]
	s_delay_alu instid0(VALU_DEP_2) | instskip(NEXT) | instid1(VALU_DEP_2)
	v_fmac_f64_e32 v[16:17], v[20:21], v[14:15]
	v_add_f64_e32 v[8:9], 0xbdb2fc957a946abc, v[8:9]
	s_delay_alu instid0(VALU_DEP_2) | instskip(NEXT) | instid1(VALU_DEP_2)
	v_add_f64_e32 v[14:15], v[26:27], v[16:17]
	v_fma_f64 v[6:7], v[0:1], v[8:9], -v[6:7]
	s_delay_alu instid0(VALU_DEP_2) | instskip(NEXT) | instid1(VALU_DEP_2)
	v_add_f64_e64 v[24:25], v[22:23], -v[14:15]
	v_add_f64_e32 v[6:7], 0x3dda98becc743c10, v[6:7]
	v_add_f64_e64 v[26:27], v[14:15], -v[26:27]
	s_delay_alu instid0(VALU_DEP_3) | instskip(NEXT) | instid1(VALU_DEP_3)
	v_add_f64_e64 v[22:23], v[22:23], -v[24:25]
	v_fma_f64 v[8:9], v[0:1], v[6:7], -v[8:9]
	s_delay_alu instid0(VALU_DEP_3) | instskip(SKIP_1) | instid1(VALU_DEP_4)
	v_add_f64_e64 v[16:17], v[26:27], -v[16:17]
	v_cvt_f64_i32_e32 v[26:27], v3
	v_add_f64_e64 v[14:15], v[22:23], -v[14:15]
	s_delay_alu instid0(VALU_DEP_4) | instskip(NEXT) | instid1(VALU_DEP_3)
	v_add_f64_e32 v[8:9], 0xbe01d4fe13ae9556, v[8:9]
	v_mul_f64_e32 v[28:29], 0x3fe62e42fefa39ef, v[26:27]
	s_delay_alu instid0(VALU_DEP_3) | instskip(NEXT) | instid1(VALU_DEP_3)
	v_add_f64_e32 v[14:15], v[16:17], v[14:15]
	v_fma_f64 v[6:7], v[0:1], v[8:9], -v[6:7]
	s_delay_alu instid0(VALU_DEP_2) | instskip(NEXT) | instid1(VALU_DEP_2)
	v_add_f64_e32 v[14:15], v[24:25], v[14:15]
	v_add_f64_e32 v[6:7], 0x3e26d903a454cb34, v[6:7]
	s_delay_alu instid0(VALU_DEP_2) | instskip(NEXT) | instid1(VALU_DEP_2)
	v_mul_f64_e32 v[14:15], v[18:19], v[14:15]
	v_fma_f64 v[8:9], v[0:1], v[6:7], -v[8:9]
	s_delay_alu instid0(VALU_DEP_2) | instskip(NEXT) | instid1(VALU_DEP_2)
	v_add_f64_e32 v[16:17], v[20:21], v[14:15]
	v_add_f64_e32 v[8:9], 0xbe4beaf68c0b30ab, v[8:9]
	s_delay_alu instid0(VALU_DEP_2) | instskip(NEXT) | instid1(VALU_DEP_2)
	v_mul_f64_e32 v[18:19], v[16:17], v[16:17]
	v_fma_f64 v[6:7], v[0:1], v[8:9], -v[6:7]
	s_delay_alu instid0(VALU_DEP_2) | instskip(NEXT) | instid1(VALU_DEP_2)
	v_fmaak_f64 v[22:23], s[16:17], v[18:19], 0x3fc385386b47b09a
	v_add_f64_e32 v[6:7], 0x3e703b769d4d6435, v[6:7]
	v_mul_f64_e32 v[24:25], v[16:17], v[18:19]
	s_mov_b64 s[16:17], 0x3ca3cee1e6a7fd77
	s_delay_alu instid0(VALU_DEP_3) | instskip(NEXT) | instid1(VALU_DEP_1)
	v_fmaak_f64 v[22:23], v[18:19], v[22:23], 0x3fc7474dd7f4df2e
	v_fmaak_f64 v[22:23], v[18:19], v[22:23], 0x3fcc71c016291751
	s_delay_alu instid0(VALU_DEP_1) | instskip(NEXT) | instid1(VALU_DEP_1)
	v_fmaak_f64 v[22:23], v[18:19], v[22:23], 0x3fd249249b27acf1
	v_fmaak_f64 v[22:23], v[18:19], v[22:23], 0x3fd99999998ef7b6
	v_fma_f64 v[8:9], v[0:1], v[6:7], -v[8:9]
	s_delay_alu instid0(VALU_DEP_2) | instskip(SKIP_2) | instid1(VALU_DEP_3)
	v_fmaak_f64 v[18:19], v[18:19], v[22:23], 0x3fe5555555555780
	v_ldexp_f64 v[22:23], v[16:17], 1
	v_add_f64_e64 v[16:17], v[16:17], -v[20:21]
	v_mul_f64_e32 v[18:19], v[24:25], v[18:19]
	v_fma_f64 v[24:25], v[4:5], v[4:5], -2.0
	v_add_f64_e32 v[8:9], 0xbe91ec638f227f8d, v[8:9]
	s_delay_alu instid0(VALU_DEP_4) | instskip(NEXT) | instid1(VALU_DEP_4)
	v_add_f64_e64 v[14:15], v[14:15], -v[16:17]
	v_add_f64_e32 v[20:21], v[22:23], v[18:19]
	s_delay_alu instid0(VALU_DEP_3) | instskip(NEXT) | instid1(VALU_DEP_3)
	v_fma_f64 v[6:7], v[0:1], v[8:9], -v[6:7]
	v_ldexp_f64 v[14:15], v[14:15], 1
	s_delay_alu instid0(VALU_DEP_3) | instskip(SKIP_2) | instid1(VALU_DEP_1)
	v_add_f64_e64 v[16:17], v[20:21], -v[22:23]
	v_fmaak_f64 v[22:23], s[16:17], v[24:25], 0x3d27fb0ac384c2aa
	s_mov_b64 s[16:17], 0x3fe62e42fefa39ef
	v_fmaak_f64 v[30:31], v[24:25], v[22:23], 0xbca3cee1e6a7fd77
	v_add_f64_e32 v[6:7], 0x3eb2bf24978cf4ac, v[6:7]
	s_delay_alu instid0(VALU_DEP_4) | instskip(NEXT) | instid1(VALU_DEP_3)
	v_add_f64_e64 v[16:17], v[18:19], -v[16:17]
	v_add_f64_e32 v[18:19], 0x3da6c25c47512144, v[30:31]
	v_fma_f64 v[30:31], v[26:27], s[16:17], -v[28:29]
	s_mov_b64 s[16:17], 0x3e5ade156a5dcb37
	s_delay_alu instid0(VALU_DEP_4) | instskip(NEXT) | instid1(VALU_DEP_4)
	v_fma_f64 v[8:9], v[0:1], v[6:7], -v[8:9]
	v_add_f64_e32 v[14:15], v[14:15], v[16:17]
	s_delay_alu instid0(VALU_DEP_4) | instskip(NEXT) | instid1(VALU_DEP_4)
	v_fma_f64 v[16:17], v[24:25], v[18:19], -v[22:23]
	v_fmamk_f64 v[22:23], v[26:27], 0x3c7abc9e3b39803f, v[30:31]
	s_delay_alu instid0(VALU_DEP_1) | instskip(SKIP_3) | instid1(VALU_DEP_4)
	v_add_f64_e32 v[30:31], v[28:29], v[22:23]
	v_add_f64_e32 v[8:9], 0xbed2866fcba56427, v[8:9]
	;; [unrolled: 1-line block ×4, first 2 shown]
	v_add_f64_e64 v[28:29], v[30:31], -v[28:29]
	s_delay_alu instid0(VALU_DEP_4) | instskip(NEXT) | instid1(VALU_DEP_4)
	v_fma_f64 v[6:7], v[0:1], v[8:9], -v[6:7]
	v_add_f64_e32 v[32:33], v[30:31], v[26:27]
	s_delay_alu instid0(VALU_DEP_4) | instskip(SKIP_1) | instid1(VALU_DEP_4)
	v_fma_f64 v[18:19], v[24:25], v[16:17], -v[18:19]
	v_add_f64_e64 v[20:21], v[26:27], -v[20:21]
	v_add_f64_e32 v[6:7], 0x3ef13f58be9a2859, v[6:7]
	s_delay_alu instid0(VALU_DEP_4) | instskip(NEXT) | instid1(VALU_DEP_4)
	v_add_f64_e64 v[34:35], v[32:33], -v[30:31]
	v_add_f64_e32 v[18:19], 0x3e9102bce7f95efc, v[18:19]
	s_delay_alu instid0(VALU_DEP_4)
	v_add_f64_e64 v[14:15], v[14:15], -v[20:21]
	v_add_f64_e64 v[20:21], v[22:23], -v[28:29]
	v_mul_f64_e32 v[28:29], 0x3ff71547652b82fe, v[4:5]
	v_fma_f64 v[8:9], v[0:1], v[6:7], -v[8:9]
	v_add_f64_e64 v[36:37], v[32:33], -v[34:35]
	v_fma_f64 v[16:17], v[24:25], v[18:19], -v[16:17]
	v_add_f64_e64 v[26:27], v[26:27], -v[34:35]
	s_delay_alu instid0(VALU_DEP_4) | instskip(NEXT) | instid1(VALU_DEP_4)
	v_add_f64_e32 v[8:9], 0xbf0e2b2659c41d5a, v[8:9]
	v_add_f64_e64 v[22:23], v[30:31], -v[36:37]
	s_delay_alu instid0(VALU_DEP_4) | instskip(SKIP_1) | instid1(VALU_DEP_4)
	v_add_f64_e32 v[16:17], 0x3ef7f900fe8cfca0, v[16:17]
	v_add_f64_e32 v[30:31], v[20:21], v[14:15]
	v_fma_f64 v[6:7], v[0:1], v[8:9], -v[6:7]
	s_delay_alu instid0(VALU_DEP_4) | instskip(NEXT) | instid1(VALU_DEP_4)
	v_add_f64_e32 v[22:23], v[26:27], v[22:23]
	v_fma_f64 v[18:19], v[24:25], v[16:17], -v[18:19]
	v_rndne_f64_e32 v[26:27], v[28:29]
	v_add_f64_e64 v[28:29], v[30:31], -v[20:21]
	v_add_f64_e32 v[6:7], 0x3f28b51b74107cab, v[6:7]
	v_add_f64_e32 v[22:23], v[30:31], v[22:23]
	;; [unrolled: 1-line block ×3, first 2 shown]
	v_fmamk_f64 v[4:5], v[26:27], 0xbfe62e42fefa39ef, v[4:5]
	v_add_f64_e64 v[30:31], v[30:31], -v[28:29]
	v_add_f64_e64 v[14:15], v[14:15], -v[28:29]
	v_cvt_i32_f64_e32 v3, v[26:27]
	s_delay_alu instid0(VALU_DEP_4) | instskip(NEXT) | instid1(VALU_DEP_1)
	v_fmamk_f64 v[4:5], v[26:27], 0xbc7abc9e3b39803f, v[4:5]
	v_fmaak_f64 v[36:37], s[16:17], v[4:5], 0x3e928af3fca7ab0c
	s_delay_alu instid0(VALU_DEP_1) | instskip(SKIP_1) | instid1(VALU_DEP_2)
	v_fmaak_f64 v[36:37], v[4:5], v[36:37], 0x3ec71dee623fde64
	v_fma_f64 v[8:9], v[0:1], v[6:7], -v[8:9]
	v_fmaak_f64 v[36:37], v[4:5], v[36:37], 0x3efa01997c89e6b0
	v_add_f64_e32 v[34:35], v[32:33], v[22:23]
	v_fma_f64 v[16:17], v[24:25], v[18:19], -v[16:17]
	v_add_f64_e64 v[20:21], v[20:21], -v[30:31]
	s_delay_alu instid0(VALU_DEP_4) | instskip(NEXT) | instid1(VALU_DEP_1)
	v_fmaak_f64 v[36:37], v[4:5], v[36:37], 0x3f2a01a014761f6e
	v_fmaak_f64 v[30:31], v[4:5], v[36:37], 0x3f56c16c1852b7b0
	v_add_f64_e32 v[8:9], 0xbf42e2fd1f15eb52, v[8:9]
	v_add_f64_e64 v[28:29], v[34:35], -v[32:33]
	v_add_f64_e32 v[16:17], 0x3fa26bf6554a9085, v[16:17]
	v_add_f64_e32 v[14:15], v[14:15], v[20:21]
	s_delay_alu instid0(VALU_DEP_4) | instskip(NEXT) | instid1(VALU_DEP_4)
	v_fma_f64 v[6:7], v[0:1], v[8:9], -v[6:7]
	v_add_f64_e64 v[20:21], v[22:23], -v[28:29]
	s_delay_alu instid0(VALU_DEP_4) | instskip(NEXT) | instid1(VALU_DEP_3)
	v_fma_f64 v[18:19], v[24:25], v[16:17], -v[18:19]
	v_add_f64_e32 v[6:7], 0x3f5adc758a12100e, v[6:7]
	s_delay_alu instid0(VALU_DEP_3) | instskip(NEXT) | instid1(VALU_DEP_3)
	v_add_f64_e32 v[14:15], v[14:15], v[20:21]
	v_add_f64_e32 v[18:19], 0x3fd608d881213db9, v[18:19]
	s_delay_alu instid0(VALU_DEP_3) | instskip(NEXT) | instid1(VALU_DEP_1)
	v_fma_f64 v[8:9], v[0:1], v[6:7], -v[8:9]
	v_add_f64_e32 v[8:9], 0xbf71b65e201aa849, v[8:9]
	s_delay_alu instid0(VALU_DEP_1) | instskip(NEXT) | instid1(VALU_DEP_1)
	v_fma_f64 v[6:7], v[0:1], v[8:9], -v[6:7]
	v_add_f64_e32 v[6:7], 0x3f859961f3dde3dd, v[6:7]
	s_delay_alu instid0(VALU_DEP_1) | instskip(NEXT) | instid1(VALU_DEP_1)
	;; [unrolled: 3-line block ×6, first 2 shown]
	v_fma_f64 v[8:9], v[0:1], v[6:7], -v[8:9]
	v_add_f64_e32 v[8:9], 0xbfd37febc057cd8d, v[8:9]
	s_delay_alu instid0(VALU_DEP_1) | instskip(SKIP_1) | instid1(VALU_DEP_1)
	v_fma_f64 v[0:1], v[0:1], v[8:9], -v[6:7]
	v_fmaak_f64 v[8:9], v[4:5], v[30:31], 0x3f81111111122322
	v_fmaak_f64 v[8:9], v[4:5], v[8:9], 0x3fa55555555502a1
	s_delay_alu instid0(VALU_DEP_1) | instskip(NEXT) | instid1(VALU_DEP_1)
	v_fmaak_f64 v[8:9], v[4:5], v[8:9], 0x3fc5555555555511
	v_fmaak_f64 v[8:9], v[4:5], v[8:9], 0x3fe000000000000b
	s_delay_alu instid0(VALU_DEP_1) | instskip(SKIP_1) | instid1(VALU_DEP_2)
	v_fma_f64 v[8:9], v[4:5], v[8:9], 1.0
	v_add_f64_e32 v[0:1], 0x3fe5a84e9035a22a, v[0:1]
	v_fma_f64 v[4:5], v[4:5], v[8:9], 1.0
	v_fma_f64 v[8:9], v[24:25], v[18:19], -v[16:17]
	s_delay_alu instid0(VALU_DEP_3) | instskip(SKIP_1) | instid1(VALU_DEP_4)
	v_add_f64_e64 v[0:1], v[0:1], -v[6:7]
	v_add_f64_e32 v[6:7], v[34:35], v[14:15]
	v_ldexp_f64 v[4:5], v[4:5], v3
	s_delay_alu instid0(VALU_DEP_4) | instskip(NEXT) | instid1(VALU_DEP_4)
	v_add_f64_e32 v[8:9], 0xbfe12166e9d2f61f, v[8:9]
	v_mul_f64_e32 v[0:1], 0.5, v[0:1]
	s_delay_alu instid0(VALU_DEP_4) | instskip(SKIP_2) | instid1(VALU_DEP_2)
	v_cndmask_b32_e32 v3, 0x7ff00000, v7, vcc_lo
	s_and_b32 vcc_lo, s0, vcc_lo
	v_cndmask_b32_e32 v6, 0, v6, vcc_lo
	v_cndmask_b32_e64 v7, 0xfff00000, v3, s0
	v_add_f64_e64 v[8:9], v[8:9], -v[16:17]
	v_mul_f64_e32 v[0:1], v[4:5], v[0:1]
	s_delay_alu instid0(VALU_DEP_1) | instskip(NEXT) | instid1(VALU_DEP_1)
	v_mul_f64_e32 v[0:1], v[6:7], v[0:1]
	v_fma_f64 v[0:1], v[8:9], 0.5, -v[0:1]
	s_delay_alu instid0(VALU_DEP_1)
	v_mul_f64_e32 v[0:1], v[4:5], v[0:1]
                                        ; implicit-def: $vgpr4_vgpr5
.LBB8_1193:
	s_and_not1_saveexec_b32 s0, s14
	s_cbranch_execz .LBB8_1195
; %bb.1194:
	v_div_scale_f64 v[0:1], null, v[4:5], v[4:5], 0x40200000
	v_div_scale_f64 v[12:13], vcc_lo, 0x40200000, v[4:5], 0x40200000
	s_mov_b64 s[14:15], 0x3c5871a5cf8c9ee1
	v_rcp_f64_e32 v[6:7], v[0:1]
	v_nop
	s_delay_alu instid0(TRANS32_DEP_1) | instskip(NEXT) | instid1(VALU_DEP_1)
	v_fma_f64 v[8:9], -v[0:1], v[6:7], 1.0
	v_fmac_f64_e32 v[6:7], v[6:7], v[8:9]
	s_delay_alu instid0(VALU_DEP_1) | instskip(NEXT) | instid1(VALU_DEP_1)
	v_fma_f64 v[8:9], -v[0:1], v[6:7], 1.0
	v_fmac_f64_e32 v[6:7], v[6:7], v[8:9]
	s_delay_alu instid0(VALU_DEP_1) | instskip(NEXT) | instid1(VALU_DEP_1)
	v_mul_f64_e32 v[8:9], v[12:13], v[6:7]
	v_fma_f64 v[0:1], -v[0:1], v[8:9], v[12:13]
	s_delay_alu instid0(VALU_DEP_1) | instskip(SKIP_1) | instid1(VALU_DEP_2)
	v_div_fmas_f64 v[0:1], v[0:1], v[6:7], v[8:9]
	v_cmp_gt_f64_e32 vcc_lo, 0x10000000, v[4:5]
	v_div_fixup_f64 v[0:1], v[0:1], v[4:5], 0x40200000
	v_cndmask_b32_e64 v3, 0, 0x100, vcc_lo
	s_delay_alu instid0(VALU_DEP_1) | instskip(SKIP_1) | instid1(VALU_DEP_4)
	v_ldexp_f64 v[4:5], v[4:5], v3
	v_cndmask_b32_e64 v3, 0, 0xffffff80, vcc_lo
	v_add_f64_e32 v[0:1], -2.0, v[0:1]
	s_delay_alu instid0(VALU_DEP_3) | instskip(SKIP_1) | instid1(VALU_DEP_2)
	v_cmp_class_f64_e64 vcc_lo, v[4:5], 0x260
	v_rsq_f64_e32 v[12:13], v[4:5]
	v_fmaak_f64 v[6:7], s[14:15], v[0:1], 0xbc72fecc93812603
	s_delay_alu instid0(VALU_DEP_1) | instskip(NEXT) | instid1(TRANS32_DEP_1)
	v_fmaak_f64 v[8:9], v[0:1], v[6:7], 0xbc5871a5cf8c9ee1
	v_mul_f64_e32 v[14:15], v[4:5], v[12:13]
	s_delay_alu instid0(VALU_DEP_2) | instskip(SKIP_1) | instid1(VALU_DEP_2)
	v_add_f64_e32 v[8:9], 0x3c8e092e41a8cdf4, v[8:9]
	v_mul_f64_e32 v[12:13], 0.5, v[12:13]
	v_fma_f64 v[6:7], v[0:1], v[8:9], -v[6:7]
	s_delay_alu instid0(VALU_DEP_2) | instskip(NEXT) | instid1(VALU_DEP_2)
	v_fma_f64 v[16:17], -v[12:13], v[14:15], 0.5
	v_add_f64_e32 v[6:7], 0xbca82f9474d77641, v[6:7]
	s_delay_alu instid0(VALU_DEP_2) | instskip(SKIP_1) | instid1(VALU_DEP_3)
	v_fmac_f64_e32 v[14:15], v[14:15], v[16:17]
	v_fmac_f64_e32 v[12:13], v[12:13], v[16:17]
	v_fma_f64 v[8:9], v[0:1], v[6:7], -v[8:9]
	s_delay_alu instid0(VALU_DEP_3) | instskip(NEXT) | instid1(VALU_DEP_2)
	v_fma_f64 v[16:17], -v[14:15], v[14:15], v[4:5]
	v_add_f64_e32 v[8:9], 0x3cc3dbf96b94785b, v[8:9]
	s_delay_alu instid0(VALU_DEP_2) | instskip(NEXT) | instid1(VALU_DEP_2)
	v_fmac_f64_e32 v[14:15], v[16:17], v[12:13]
	v_fma_f64 v[6:7], v[0:1], v[8:9], -v[6:7]
	s_delay_alu instid0(VALU_DEP_1) | instskip(NEXT) | instid1(VALU_DEP_1)
	v_add_f64_e32 v[6:7], 0xbce0a690ecfadd36, v[6:7]
	v_fma_f64 v[8:9], v[0:1], v[6:7], -v[8:9]
	s_delay_alu instid0(VALU_DEP_1) | instskip(NEXT) | instid1(VALU_DEP_1)
	v_add_f64_e32 v[8:9], 0x3cfc8d9c4a7ddc98, v[8:9]
	;; [unrolled: 3-line block ×19, first 2 shown]
	v_fma_f64 v[0:1], v[0:1], v[6:7], -v[8:9]
	v_fma_f64 v[6:7], -v[14:15], v[14:15], v[4:5]
	s_delay_alu instid0(VALU_DEP_2) | instskip(NEXT) | instid1(VALU_DEP_2)
	v_add_f64_e32 v[0:1], 0x400385bd9f4e6907, v[0:1]
	v_fmac_f64_e32 v[14:15], v[6:7], v[12:13]
	s_delay_alu instid0(VALU_DEP_2) | instskip(NEXT) | instid1(VALU_DEP_2)
	v_add_f64_e64 v[0:1], v[0:1], -v[8:9]
	v_ldexp_f64 v[6:7], v[14:15], v3
	s_delay_alu instid0(VALU_DEP_2) | instskip(NEXT) | instid1(VALU_DEP_2)
	v_mul_f64_e32 v[0:1], 0.5, v[0:1]
	v_dual_cndmask_b32 v5, v7, v5 :: v_dual_cndmask_b32 v4, v6, v4
	s_delay_alu instid0(VALU_DEP_1) | instskip(NEXT) | instid1(VALU_DEP_1)
	v_div_scale_f64 v[6:7], null, v[4:5], v[4:5], v[0:1]
	v_rcp_f64_e32 v[8:9], v[6:7]
	v_nop
	s_delay_alu instid0(TRANS32_DEP_1) | instskip(NEXT) | instid1(VALU_DEP_1)
	v_fma_f64 v[12:13], -v[6:7], v[8:9], 1.0
	v_fmac_f64_e32 v[8:9], v[8:9], v[12:13]
	s_delay_alu instid0(VALU_DEP_1) | instskip(NEXT) | instid1(VALU_DEP_1)
	v_fma_f64 v[12:13], -v[6:7], v[8:9], 1.0
	v_fmac_f64_e32 v[8:9], v[8:9], v[12:13]
	v_div_scale_f64 v[12:13], vcc_lo, v[0:1], v[4:5], v[0:1]
	s_delay_alu instid0(VALU_DEP_1) | instskip(NEXT) | instid1(VALU_DEP_1)
	v_mul_f64_e32 v[14:15], v[12:13], v[8:9]
	v_fma_f64 v[6:7], -v[6:7], v[14:15], v[12:13]
	s_delay_alu instid0(VALU_DEP_1) | instskip(NEXT) | instid1(VALU_DEP_1)
	v_div_fmas_f64 v[6:7], v[6:7], v[8:9], v[14:15]
	v_div_fixup_f64 v[0:1], v[6:7], v[4:5], v[0:1]
.LBB8_1195:
	s_or_b32 exec_lo, exec_lo, s0
.LBB8_1196:
	s_delay_alu instid0(SALU_CYCLE_1)
	s_or_b32 exec_lo, exec_lo, s13
.LBB8_1197:
	s_delay_alu instid0(SALU_CYCLE_1) | instskip(SKIP_3) | instid1(VALU_DEP_1)
	s_or_b32 exec_lo, exec_lo, s12
	s_lshl_b32 s3, s3, 7
	s_cmp_lt_i32 s9, 11
	v_add_nc_u32_e32 v2, s3, v2
	v_ashrrev_i32_e32 v3, 31, v2
	s_delay_alu instid0(VALU_DEP_1)
	v_add_nc_u64_e32 v[4:5], s[6:7], v[2:3]
	s_cbranch_scc1 .LBB8_1204
; %bb.1198:
	s_cmp_gt_i32 s9, 25
	s_mov_b32 s12, 0
	s_cbranch_scc0 .LBB8_1206
; %bb.1199:
	s_cmp_gt_i32 s9, 28
	s_cbranch_scc0 .LBB8_1207
; %bb.1200:
	s_cmp_gt_i32 s9, 43
	;; [unrolled: 3-line block ×3, first 2 shown]
	s_cbranch_scc0 .LBB8_1210
; %bb.1202:
	s_cmp_eq_u32 s9, 46
	s_mov_b32 s14, 0
	s_cbranch_scc0 .LBB8_1213
; %bb.1203:
	global_load_b32 v3, v[4:5], off
	s_mov_b32 s0, 0
	s_mov_b32 s13, -1
	s_wait_loadcnt 0x0
	v_lshlrev_b32_e32 v3, 16, v3
	s_delay_alu instid0(VALU_DEP_1)
	v_cvt_f64_f32_e32 v[6:7], v3
	s_branch .LBB8_1215
.LBB8_1204:
	s_mov_b32 s13, 0
                                        ; implicit-def: $vgpr6_vgpr7
	s_cbranch_execnz .LBB8_1280
.LBB8_1205:
	s_and_not1_b32 vcc_lo, exec_lo, s13
	s_cbranch_vccnz .LBB8_1690
	s_branch .LBB8_1327
.LBB8_1206:
	s_mov_b32 s13, 0
	s_mov_b32 s0, 0
                                        ; implicit-def: $vgpr6_vgpr7
	s_cbranch_execnz .LBB8_1244
	s_branch .LBB8_1276
.LBB8_1207:
	s_mov_b32 s14, -1
	s_mov_b32 s13, 0
	s_mov_b32 s0, 0
                                        ; implicit-def: $vgpr6_vgpr7
	s_branch .LBB8_1225
.LBB8_1208:
	s_mov_b32 s14, -1
	s_mov_b32 s13, 0
	s_mov_b32 s0, 0
                                        ; implicit-def: $vgpr6_vgpr7
	s_branch .LBB8_1220
.LBB8_1209:
	s_or_b32 s1, s11, exec_lo
	s_trap 2
	s_cbranch_execz .LBB8_1142
	s_branch .LBB8_1143
.LBB8_1210:
	s_mov_b32 s14, -1
	s_mov_b32 s13, 0
	s_mov_b32 s0, 0
	s_branch .LBB8_1214
.LBB8_1211:
	s_and_not1_saveexec_b32 s19, s19
	s_cbranch_execz .LBB8_988
.LBB8_1212:
	v_add_f32_e64 v3, 0x42800000, |v2|
	s_and_not1_b32 s18, s18, exec_lo
	s_delay_alu instid0(VALU_DEP_1) | instskip(NEXT) | instid1(VALU_DEP_1)
	v_and_b32_e32 v3, 0xff, v3
	v_cmp_ne_u32_e32 vcc_lo, 0, v3
	s_and_b32 s20, vcc_lo, exec_lo
	s_delay_alu instid0(SALU_CYCLE_1)
	s_or_b32 s18, s18, s20
	s_or_b32 exec_lo, exec_lo, s19
	v_mov_b32_e32 v6, 0
	s_and_saveexec_b32 s19, s18
	s_cbranch_execnz .LBB8_989
	s_branch .LBB8_990
.LBB8_1213:
	s_mov_b32 s0, -1
	s_mov_b32 s13, 0
.LBB8_1214:
                                        ; implicit-def: $vgpr6_vgpr7
.LBB8_1215:
	s_and_b32 vcc_lo, exec_lo, s14
	s_cbranch_vccz .LBB8_1219
; %bb.1216:
	s_cmp_eq_u32 s9, 44
	s_cbranch_scc0 .LBB8_1218
; %bb.1217:
	global_load_u8 v3, v[4:5], off
	s_mov_b32 s0, 0
	s_mov_b32 s13, -1
	s_wait_loadcnt 0x0
	v_lshlrev_b32_e32 v6, 23, v3
	v_cmp_ne_u32_e32 vcc_lo, 0xff, v3
	s_delay_alu instid0(VALU_DEP_2) | instskip(NEXT) | instid1(VALU_DEP_1)
	v_cvt_f64_f32_e32 v[6:7], v6
	v_cndmask_b32_e32 v6, 0x20000000, v6, vcc_lo
	s_delay_alu instid0(VALU_DEP_2) | instskip(SKIP_1) | instid1(VALU_DEP_2)
	v_cndmask_b32_e32 v7, 0x7ff80000, v7, vcc_lo
	v_cmp_ne_u32_e32 vcc_lo, 0, v3
	v_cndmask_b32_e32 v7, 0x38000000, v7, vcc_lo
	s_delay_alu instid0(VALU_DEP_4)
	v_cndmask_b32_e32 v6, 0, v6, vcc_lo
	s_branch .LBB8_1219
.LBB8_1218:
	s_mov_b32 s0, -1
                                        ; implicit-def: $vgpr6_vgpr7
.LBB8_1219:
	s_mov_b32 s14, 0
.LBB8_1220:
	s_delay_alu instid0(SALU_CYCLE_1)
	s_and_b32 vcc_lo, exec_lo, s14
	s_cbranch_vccz .LBB8_1224
; %bb.1221:
	s_cmp_eq_u32 s9, 29
	s_cbranch_scc0 .LBB8_1223
; %bb.1222:
	global_load_b64 v[6:7], v[4:5], off
	s_mov_b32 s0, 0
	s_mov_b32 s13, -1
	s_mov_b32 s14, 0
	s_wait_loadcnt 0x0
	v_cvt_f64_u32_e32 v[8:9], v7
	v_cvt_f64_u32_e32 v[6:7], v6
	s_delay_alu instid0(VALU_DEP_2) | instskip(NEXT) | instid1(VALU_DEP_1)
	v_ldexp_f64 v[8:9], v[8:9], 32
	v_add_f64_e32 v[6:7], v[8:9], v[6:7]
	s_branch .LBB8_1225
.LBB8_1223:
	s_mov_b32 s0, -1
                                        ; implicit-def: $vgpr6_vgpr7
.LBB8_1224:
	s_mov_b32 s14, 0
.LBB8_1225:
	s_delay_alu instid0(SALU_CYCLE_1)
	s_and_b32 vcc_lo, exec_lo, s14
	s_cbranch_vccz .LBB8_1243
; %bb.1226:
	s_cmp_lt_i32 s9, 27
	s_cbranch_scc1 .LBB8_1229
; %bb.1227:
	s_cmp_gt_i32 s9, 27
	s_cbranch_scc0 .LBB8_1230
; %bb.1228:
	global_load_b32 v3, v[4:5], off
	s_mov_b32 s13, 0
	s_wait_loadcnt 0x0
	v_cvt_f64_u32_e32 v[6:7], v3
	s_branch .LBB8_1231
.LBB8_1229:
	s_mov_b32 s13, -1
                                        ; implicit-def: $vgpr6_vgpr7
	s_branch .LBB8_1234
.LBB8_1230:
	s_mov_b32 s13, -1
                                        ; implicit-def: $vgpr6_vgpr7
.LBB8_1231:
	s_delay_alu instid0(SALU_CYCLE_1)
	s_and_not1_b32 vcc_lo, exec_lo, s13
	s_cbranch_vccnz .LBB8_1233
; %bb.1232:
	global_load_u16 v3, v[4:5], off
	s_wait_loadcnt 0x0
	v_cvt_f64_u32_e32 v[6:7], v3
.LBB8_1233:
	s_mov_b32 s13, 0
.LBB8_1234:
	s_delay_alu instid0(SALU_CYCLE_1)
	s_and_not1_b32 vcc_lo, exec_lo, s13
	s_cbranch_vccnz .LBB8_1242
; %bb.1235:
	global_load_u8 v3, v[4:5], off
	s_mov_b32 s13, 0
	s_mov_b32 s14, exec_lo
	s_wait_loadcnt 0x0
	v_cmpx_lt_i16_e32 0x7f, v3
	s_xor_b32 s14, exec_lo, s14
	s_cbranch_execz .LBB8_1255
; %bb.1236:
	s_mov_b32 s13, -1
	s_mov_b32 s15, exec_lo
	v_cmpx_eq_u16_e32 0x80, v3
; %bb.1237:
	s_xor_b32 s13, exec_lo, -1
; %bb.1238:
	s_or_b32 exec_lo, exec_lo, s15
	s_delay_alu instid0(SALU_CYCLE_1)
	s_and_b32 s13, s13, exec_lo
	s_or_saveexec_b32 s14, s14
	v_mov_b64_e32 v[6:7], 0x7ff8000020000000
	s_xor_b32 exec_lo, exec_lo, s14
	s_cbranch_execnz .LBB8_1256
.LBB8_1239:
	s_or_b32 exec_lo, exec_lo, s14
	s_and_saveexec_b32 s14, s13
	s_cbranch_execz .LBB8_1241
.LBB8_1240:
	v_and_b32_e32 v6, 0xffff, v3
	s_delay_alu instid0(VALU_DEP_1) | instskip(SKIP_1) | instid1(VALU_DEP_2)
	v_and_b32_e32 v7, 7, v6
	v_bfe_u32 v11, v6, 3, 4
	v_clz_i32_u32_e32 v8, v7
	s_delay_alu instid0(VALU_DEP_2) | instskip(NEXT) | instid1(VALU_DEP_2)
	v_cmp_eq_u32_e32 vcc_lo, 0, v11
	v_min_u32_e32 v8, 32, v8
	s_delay_alu instid0(VALU_DEP_1) | instskip(NEXT) | instid1(VALU_DEP_1)
	v_subrev_nc_u32_e32 v9, 28, v8
	v_dual_lshlrev_b32 v6, v9, v6 :: v_dual_sub_nc_u32 v8, 29, v8
	s_delay_alu instid0(VALU_DEP_1) | instskip(NEXT) | instid1(VALU_DEP_2)
	v_dual_lshlrev_b32 v3, 24, v3 :: v_dual_bitop2_b32 v6, 7, v6 bitop3:0x40
	v_cndmask_b32_e32 v8, v11, v8, vcc_lo
	s_delay_alu instid0(VALU_DEP_2) | instskip(NEXT) | instid1(VALU_DEP_3)
	v_cndmask_b32_e32 v6, v7, v6, vcc_lo
	v_and_b32_e32 v3, 0x80000000, v3
	s_delay_alu instid0(VALU_DEP_3) | instskip(NEXT) | instid1(VALU_DEP_3)
	v_lshl_add_u32 v7, v8, 23, 0x3b800000
	v_lshlrev_b32_e32 v6, 20, v6
	s_delay_alu instid0(VALU_DEP_1) | instskip(NEXT) | instid1(VALU_DEP_1)
	v_or3_b32 v3, v3, v7, v6
	v_cvt_f64_f32_e32 v[6:7], v3
.LBB8_1241:
	s_or_b32 exec_lo, exec_lo, s14
.LBB8_1242:
	s_mov_b32 s13, -1
.LBB8_1243:
	s_branch .LBB8_1276
.LBB8_1244:
	s_cmp_gt_i32 s9, 22
	s_cbranch_scc0 .LBB8_1254
; %bb.1245:
	s_cmp_lt_i32 s9, 24
	s_cbranch_scc1 .LBB8_1257
; %bb.1246:
	s_cmp_gt_i32 s9, 24
	s_cbranch_scc0 .LBB8_1258
; %bb.1247:
	global_load_u8 v3, v[4:5], off
	s_mov_b32 s13, exec_lo
	s_wait_loadcnt 0x0
	v_cmpx_lt_i16_e32 0x7f, v3
	s_xor_b32 s13, exec_lo, s13
	s_cbranch_execz .LBB8_1270
; %bb.1248:
	s_mov_b32 s12, -1
	s_mov_b32 s14, exec_lo
	v_cmpx_eq_u16_e32 0x80, v3
; %bb.1249:
	s_xor_b32 s12, exec_lo, -1
; %bb.1250:
	s_or_b32 exec_lo, exec_lo, s14
	s_delay_alu instid0(SALU_CYCLE_1)
	s_and_b32 s12, s12, exec_lo
	s_or_saveexec_b32 s13, s13
	v_mov_b64_e32 v[6:7], 0x7ff8000020000000
	s_xor_b32 exec_lo, exec_lo, s13
	s_cbranch_execnz .LBB8_1271
.LBB8_1251:
	s_or_b32 exec_lo, exec_lo, s13
	s_and_saveexec_b32 s13, s12
	s_cbranch_execz .LBB8_1253
.LBB8_1252:
	v_and_b32_e32 v6, 0xffff, v3
	s_delay_alu instid0(VALU_DEP_1) | instskip(SKIP_1) | instid1(VALU_DEP_2)
	v_and_b32_e32 v7, 3, v6
	v_bfe_u32 v11, v6, 2, 5
	v_clz_i32_u32_e32 v8, v7
	s_delay_alu instid0(VALU_DEP_2) | instskip(NEXT) | instid1(VALU_DEP_2)
	v_cmp_eq_u32_e32 vcc_lo, 0, v11
	v_min_u32_e32 v8, 32, v8
	s_delay_alu instid0(VALU_DEP_1) | instskip(NEXT) | instid1(VALU_DEP_1)
	v_subrev_nc_u32_e32 v9, 29, v8
	v_dual_lshlrev_b32 v6, v9, v6 :: v_dual_sub_nc_u32 v8, 30, v8
	s_delay_alu instid0(VALU_DEP_1) | instskip(NEXT) | instid1(VALU_DEP_2)
	v_dual_lshlrev_b32 v3, 24, v3 :: v_dual_bitop2_b32 v6, 3, v6 bitop3:0x40
	v_cndmask_b32_e32 v8, v11, v8, vcc_lo
	s_delay_alu instid0(VALU_DEP_2) | instskip(NEXT) | instid1(VALU_DEP_3)
	v_cndmask_b32_e32 v6, v7, v6, vcc_lo
	v_and_b32_e32 v3, 0x80000000, v3
	s_delay_alu instid0(VALU_DEP_3) | instskip(NEXT) | instid1(VALU_DEP_3)
	v_lshl_add_u32 v7, v8, 23, 0x37800000
	v_lshlrev_b32_e32 v6, 21, v6
	s_delay_alu instid0(VALU_DEP_1) | instskip(NEXT) | instid1(VALU_DEP_1)
	v_or3_b32 v3, v3, v7, v6
	v_cvt_f64_f32_e32 v[6:7], v3
.LBB8_1253:
	s_or_b32 exec_lo, exec_lo, s13
	s_mov_b32 s12, 0
	s_branch .LBB8_1259
.LBB8_1254:
	s_mov_b32 s12, -1
                                        ; implicit-def: $vgpr6_vgpr7
	s_branch .LBB8_1265
.LBB8_1255:
	s_or_saveexec_b32 s14, s14
	v_mov_b64_e32 v[6:7], 0x7ff8000020000000
	s_xor_b32 exec_lo, exec_lo, s14
	s_cbranch_execz .LBB8_1239
.LBB8_1256:
	v_cmp_ne_u16_e32 vcc_lo, 0, v3
	v_mov_b64_e32 v[6:7], 0
	s_and_not1_b32 s13, s13, exec_lo
	s_and_b32 s15, vcc_lo, exec_lo
	s_delay_alu instid0(SALU_CYCLE_1)
	s_or_b32 s13, s13, s15
	s_or_b32 exec_lo, exec_lo, s14
	s_and_saveexec_b32 s14, s13
	s_cbranch_execnz .LBB8_1240
	s_branch .LBB8_1241
.LBB8_1257:
	s_mov_b32 s12, -1
                                        ; implicit-def: $vgpr6_vgpr7
	s_branch .LBB8_1262
.LBB8_1258:
	s_mov_b32 s12, -1
                                        ; implicit-def: $vgpr6_vgpr7
.LBB8_1259:
	s_delay_alu instid0(SALU_CYCLE_1)
	s_and_b32 vcc_lo, exec_lo, s12
	s_cbranch_vccz .LBB8_1261
; %bb.1260:
	global_load_u8 v3, v[4:5], off
	s_wait_loadcnt 0x0
	v_lshlrev_b32_e32 v3, 24, v3
	s_delay_alu instid0(VALU_DEP_1) | instskip(NEXT) | instid1(VALU_DEP_1)
	v_and_b32_e32 v6, 0x7f000000, v3
	v_clz_i32_u32_e32 v7, v6
	v_cmp_ne_u32_e32 vcc_lo, 0, v6
	v_add_nc_u32_e32 v9, 0x1000000, v6
	s_delay_alu instid0(VALU_DEP_3) | instskip(NEXT) | instid1(VALU_DEP_1)
	v_min_u32_e32 v7, 32, v7
	v_sub_nc_u32_e64 v7, v7, 4 clamp
	s_delay_alu instid0(VALU_DEP_1) | instskip(NEXT) | instid1(VALU_DEP_1)
	v_dual_lshlrev_b32 v8, v7, v6 :: v_dual_lshlrev_b32 v7, 23, v7
	v_lshrrev_b32_e32 v8, 4, v8
	s_delay_alu instid0(VALU_DEP_1) | instskip(NEXT) | instid1(VALU_DEP_1)
	v_dual_sub_nc_u32 v7, v8, v7 :: v_dual_ashrrev_i32 v8, 8, v9
	v_add_nc_u32_e32 v7, 0x3c000000, v7
	s_delay_alu instid0(VALU_DEP_1) | instskip(NEXT) | instid1(VALU_DEP_1)
	v_and_or_b32 v7, 0x7f800000, v8, v7
	v_cndmask_b32_e32 v6, 0, v7, vcc_lo
	s_delay_alu instid0(VALU_DEP_1) | instskip(NEXT) | instid1(VALU_DEP_1)
	v_and_or_b32 v3, 0x80000000, v3, v6
	v_cvt_f64_f32_e32 v[6:7], v3
.LBB8_1261:
	s_mov_b32 s12, 0
.LBB8_1262:
	s_delay_alu instid0(SALU_CYCLE_1)
	s_and_not1_b32 vcc_lo, exec_lo, s12
	s_cbranch_vccnz .LBB8_1264
; %bb.1263:
	global_load_u8 v3, v[4:5], off
	s_wait_loadcnt 0x0
	v_lshlrev_b32_e32 v6, 25, v3
	v_lshlrev_b16 v3, 8, v3
	s_delay_alu instid0(VALU_DEP_1) | instskip(SKIP_1) | instid1(VALU_DEP_2)
	v_and_or_b32 v8, 0x7f00, v3, 0.5
	v_bfe_i32 v3, v3, 0, 16
	v_dual_add_f32 v8, -0.5, v8 :: v_dual_lshrrev_b32 v7, 4, v6
	v_cmp_gt_u32_e32 vcc_lo, 0x8000000, v6
	s_delay_alu instid0(VALU_DEP_2) | instskip(NEXT) | instid1(VALU_DEP_1)
	v_or_b32_e32 v7, 0x70000000, v7
	v_mul_f32_e32 v7, 0x7800000, v7
	s_delay_alu instid0(VALU_DEP_1) | instskip(NEXT) | instid1(VALU_DEP_1)
	v_cndmask_b32_e32 v6, v7, v8, vcc_lo
	v_and_or_b32 v3, 0x80000000, v3, v6
	s_delay_alu instid0(VALU_DEP_1)
	v_cvt_f64_f32_e32 v[6:7], v3
.LBB8_1264:
	s_mov_b32 s12, 0
	s_mov_b32 s13, -1
.LBB8_1265:
	s_and_not1_b32 vcc_lo, exec_lo, s12
	s_mov_b32 s12, 0
	s_cbranch_vccnz .LBB8_1276
; %bb.1266:
	s_cmp_gt_i32 s9, 14
	s_cbranch_scc0 .LBB8_1269
; %bb.1267:
	s_cmp_eq_u32 s9, 15
	s_cbranch_scc0 .LBB8_1272
; %bb.1268:
	global_load_u16 v3, v[4:5], off
	s_mov_b32 s0, 0
	s_mov_b32 s13, -1
	s_wait_loadcnt 0x0
	v_lshlrev_b32_e32 v3, 16, v3
	s_delay_alu instid0(VALU_DEP_1)
	v_cvt_f64_f32_e32 v[6:7], v3
	s_branch .LBB8_1274
.LBB8_1269:
	s_mov_b32 s12, -1
	s_branch .LBB8_1273
.LBB8_1270:
	s_or_saveexec_b32 s13, s13
	v_mov_b64_e32 v[6:7], 0x7ff8000020000000
	s_xor_b32 exec_lo, exec_lo, s13
	s_cbranch_execz .LBB8_1251
.LBB8_1271:
	v_cmp_ne_u16_e32 vcc_lo, 0, v3
	v_mov_b64_e32 v[6:7], 0
	s_and_not1_b32 s12, s12, exec_lo
	s_and_b32 s14, vcc_lo, exec_lo
	s_delay_alu instid0(SALU_CYCLE_1)
	s_or_b32 s12, s12, s14
	s_or_b32 exec_lo, exec_lo, s13
	s_and_saveexec_b32 s13, s12
	s_cbranch_execnz .LBB8_1252
	s_branch .LBB8_1253
.LBB8_1272:
	s_mov_b32 s0, -1
.LBB8_1273:
                                        ; implicit-def: $vgpr6_vgpr7
.LBB8_1274:
	s_and_b32 vcc_lo, exec_lo, s12
	s_mov_b32 s12, 0
	s_cbranch_vccz .LBB8_1276
; %bb.1275:
	s_cmp_lg_u32 s9, 11
	s_mov_b32 s12, -1
	s_cselect_b32 s0, -1, 0
.LBB8_1276:
	s_delay_alu instid0(SALU_CYCLE_1)
	s_and_b32 vcc_lo, exec_lo, s0
	s_cbranch_vccnz .LBB8_1347
; %bb.1277:
	s_and_not1_b32 vcc_lo, exec_lo, s12
	s_cbranch_vccnz .LBB8_1279
.LBB8_1278:
	global_load_u8 v3, v[4:5], off
	v_mov_b32_e32 v6, 0
	s_mov_b32 s13, -1
	s_wait_loadcnt 0x0
	v_cmp_ne_u16_e32 vcc_lo, 0, v3
	v_cndmask_b32_e64 v7, 0, 0x3ff00000, vcc_lo
.LBB8_1279:
	s_branch .LBB8_1205
.LBB8_1280:
	s_cmp_lt_i32 s9, 5
	s_cbranch_scc1 .LBB8_1285
; %bb.1281:
	s_cmp_lt_i32 s9, 8
	s_cbranch_scc1 .LBB8_1286
; %bb.1282:
	;; [unrolled: 3-line block ×3, first 2 shown]
	s_cmp_gt_i32 s9, 9
	s_cbranch_scc0 .LBB8_1288
; %bb.1284:
	global_load_b64 v[6:7], v[4:5], off
	s_mov_b32 s0, 0
	s_branch .LBB8_1289
.LBB8_1285:
                                        ; implicit-def: $vgpr6_vgpr7
	s_branch .LBB8_1307
.LBB8_1286:
	s_mov_b32 s0, -1
                                        ; implicit-def: $vgpr6_vgpr7
	s_branch .LBB8_1295
.LBB8_1287:
	s_mov_b32 s0, -1
                                        ; implicit-def: $vgpr6_vgpr7
	s_branch .LBB8_1292
.LBB8_1288:
	s_mov_b32 s0, -1
                                        ; implicit-def: $vgpr6_vgpr7
.LBB8_1289:
	s_delay_alu instid0(SALU_CYCLE_1)
	s_and_not1_b32 vcc_lo, exec_lo, s0
	s_cbranch_vccnz .LBB8_1291
; %bb.1290:
	global_load_b32 v3, v[4:5], off
	s_wait_loadcnt 0x0
	v_cvt_f64_f32_e32 v[6:7], v3
.LBB8_1291:
	s_mov_b32 s0, 0
.LBB8_1292:
	s_delay_alu instid0(SALU_CYCLE_1)
	s_and_not1_b32 vcc_lo, exec_lo, s0
	s_cbranch_vccnz .LBB8_1294
; %bb.1293:
	global_load_b32 v3, v[4:5], off
	s_wait_loadcnt 0x0
	v_cvt_f32_f16_e32 v3, v3
	s_delay_alu instid0(VALU_DEP_1)
	v_cvt_f64_f32_e32 v[6:7], v3
.LBB8_1294:
	s_mov_b32 s0, 0
.LBB8_1295:
	s_delay_alu instid0(SALU_CYCLE_1)
	s_and_not1_b32 vcc_lo, exec_lo, s0
	s_cbranch_vccnz .LBB8_1306
; %bb.1296:
	s_cmp_lt_i32 s9, 6
	s_cbranch_scc1 .LBB8_1299
; %bb.1297:
	s_cmp_gt_i32 s9, 6
	s_cbranch_scc0 .LBB8_1300
; %bb.1298:
	s_wait_loadcnt 0x0
	global_load_b64 v[6:7], v[4:5], off
	s_mov_b32 s0, 0
	s_branch .LBB8_1301
.LBB8_1299:
	s_mov_b32 s0, -1
                                        ; implicit-def: $vgpr6_vgpr7
	s_branch .LBB8_1304
.LBB8_1300:
	s_mov_b32 s0, -1
                                        ; implicit-def: $vgpr6_vgpr7
.LBB8_1301:
	s_delay_alu instid0(SALU_CYCLE_1)
	s_and_not1_b32 vcc_lo, exec_lo, s0
	s_cbranch_vccnz .LBB8_1303
; %bb.1302:
	global_load_b32 v3, v[4:5], off
	s_wait_loadcnt 0x0
	v_cvt_f64_f32_e32 v[6:7], v3
.LBB8_1303:
	s_mov_b32 s0, 0
.LBB8_1304:
	s_delay_alu instid0(SALU_CYCLE_1)
	s_and_not1_b32 vcc_lo, exec_lo, s0
	s_cbranch_vccnz .LBB8_1306
; %bb.1305:
	global_load_u16 v3, v[4:5], off
	s_wait_loadcnt 0x0
	v_cvt_f32_f16_e32 v3, v3
	s_delay_alu instid0(VALU_DEP_1)
	v_cvt_f64_f32_e32 v[6:7], v3
.LBB8_1306:
	s_cbranch_execnz .LBB8_1326
.LBB8_1307:
	s_cmp_lt_i32 s9, 2
	s_cbranch_scc1 .LBB8_1311
; %bb.1308:
	s_cmp_lt_i32 s9, 3
	s_cbranch_scc1 .LBB8_1312
; %bb.1309:
	s_cmp_gt_i32 s9, 3
	s_cbranch_scc0 .LBB8_1313
; %bb.1310:
	s_wait_loadcnt 0x0
	global_load_b64 v[6:7], v[4:5], off
	s_mov_b32 s0, 0
	s_wait_loadcnt 0x0
	v_cvt_f64_i32_e32 v[8:9], v7
	v_cvt_f64_u32_e32 v[6:7], v6
	s_delay_alu instid0(VALU_DEP_2) | instskip(NEXT) | instid1(VALU_DEP_1)
	v_ldexp_f64 v[8:9], v[8:9], 32
	v_add_f64_e32 v[6:7], v[8:9], v[6:7]
	s_branch .LBB8_1314
.LBB8_1311:
	s_mov_b32 s0, -1
                                        ; implicit-def: $vgpr6_vgpr7
	s_branch .LBB8_1320
.LBB8_1312:
	s_mov_b32 s0, -1
                                        ; implicit-def: $vgpr6_vgpr7
	s_branch .LBB8_1317
.LBB8_1313:
	s_mov_b32 s0, -1
                                        ; implicit-def: $vgpr6_vgpr7
.LBB8_1314:
	s_delay_alu instid0(SALU_CYCLE_1)
	s_and_not1_b32 vcc_lo, exec_lo, s0
	s_cbranch_vccnz .LBB8_1316
; %bb.1315:
	global_load_b32 v3, v[4:5], off
	s_wait_loadcnt 0x0
	v_cvt_f64_i32_e32 v[6:7], v3
.LBB8_1316:
	s_mov_b32 s0, 0
.LBB8_1317:
	s_delay_alu instid0(SALU_CYCLE_1)
	s_and_not1_b32 vcc_lo, exec_lo, s0
	s_cbranch_vccnz .LBB8_1319
; %bb.1318:
	global_load_i16 v3, v[4:5], off
	s_wait_loadcnt 0x0
	v_cvt_f64_i32_e32 v[6:7], v3
.LBB8_1319:
	s_mov_b32 s0, 0
.LBB8_1320:
	s_delay_alu instid0(SALU_CYCLE_1)
	s_and_not1_b32 vcc_lo, exec_lo, s0
	s_cbranch_vccnz .LBB8_1326
; %bb.1321:
	s_cmp_gt_i32 s9, 0
	s_mov_b32 s0, 0
	s_cbranch_scc0 .LBB8_1323
; %bb.1322:
	global_load_i8 v3, v[4:5], off
	s_wait_loadcnt 0x0
	v_cvt_f64_i32_e32 v[6:7], v3
	s_branch .LBB8_1324
.LBB8_1323:
	s_mov_b32 s0, -1
                                        ; implicit-def: $vgpr6_vgpr7
.LBB8_1324:
	s_delay_alu instid0(SALU_CYCLE_1)
	s_and_not1_b32 vcc_lo, exec_lo, s0
	s_cbranch_vccnz .LBB8_1326
; %bb.1325:
	global_load_u8 v3, v[4:5], off
	s_wait_loadcnt 0x0
	v_cvt_f64_u32_e32 v[6:7], v3
.LBB8_1326:
.LBB8_1327:
	s_wait_xcnt 0x0
	v_mov_b64_e32 v[4:5], 0x7ff0000000000000
	s_mov_b32 s12, exec_lo
	s_wait_loadcnt 0x0
	s_delay_alu instid0(VALU_DEP_2)
	v_cmpx_neq_f64_e32 0, v[6:7]
	s_cbranch_execz .LBB8_1335
; %bb.1328:
	v_mov_b64_e32 v[4:5], 0x7ff8000000000000
	s_mov_b32 s13, exec_lo
	v_cmpx_ngt_f64_e32 0, v[6:7]
	s_cbranch_execz .LBB8_1334
; %bb.1329:
                                        ; implicit-def: $vgpr4_vgpr5
	s_mov_b32 s0, exec_lo
	v_cmpx_ge_f64_e32 2.0, v[6:7]
	s_xor_b32 s14, exec_lo, s0
	s_cbranch_execz .LBB8_1331
; %bb.1330:
	v_fma_f64 v[4:5], v[6:7], 0.5, -2.0
	s_mov_b64 s[16:17], 0xbc545cb72134d0ef
	v_mul_f64_e32 v[14:15], 0.5, v[6:7]
	s_delay_alu instid0(VALU_DEP_2) | instskip(SKIP_1) | instid1(VALU_DEP_2)
	v_fmaak_f64 v[8:9], s[16:17], v[4:5], 0x3c833362977da589
	s_mov_b64 s[16:17], 0x3fe5555555555555
	v_frexp_mant_f64_e32 v[16:17], v[14:15]
	v_cmp_neq_f64_e64 s0, 0, v[14:15]
	s_delay_alu instid0(VALU_DEP_3) | instskip(NEXT) | instid1(VALU_DEP_1)
	v_fmaak_f64 v[12:13], v[4:5], v[8:9], 0x3c545cb72134d0ef
	v_add_f64_e32 v[12:13], 0xbcb184eb721ebbb4, v[12:13]
	s_delay_alu instid0(VALU_DEP_4) | instskip(SKIP_1) | instid1(VALU_DEP_2)
	v_cmp_gt_f64_e32 vcc_lo, s[16:17], v[16:17]
	s_mov_b64 s[16:17], 0x3fc3ab76bf559e2b
	v_fma_f64 v[8:9], v[4:5], v[12:13], -v[8:9]
	v_cndmask_b32_e64 v3, 0, 1, vcc_lo
	s_delay_alu instid0(VALU_DEP_1) | instskip(SKIP_1) | instid1(VALU_DEP_4)
	v_ldexp_f64 v[16:17], v[16:17], v3
	v_frexp_exp_i32_f64_e32 v3, v[14:15]
	v_add_f64_e32 v[8:9], 0x3cdee6d893f65eba, v[8:9]
	s_delay_alu instid0(VALU_DEP_3) | instskip(SKIP_1) | instid1(VALU_DEP_4)
	v_add_f64_e32 v[18:19], 1.0, v[16:17]
	v_add_f64_e32 v[24:25], -1.0, v[16:17]
	v_subrev_co_ci_u32_e64 v3, null, 0, v3, vcc_lo
	v_cmp_neq_f64_e32 vcc_lo, 0x7ff00000, v[14:15]
	v_fma_f64 v[12:13], v[4:5], v[8:9], -v[12:13]
	v_rcp_f64_e32 v[20:21], v[18:19]
	v_add_f64_e32 v[26:27], -1.0, v[18:19]
	s_delay_alu instid0(VALU_DEP_2) | instskip(NEXT) | instid1(VALU_DEP_2)
	v_add_f64_e32 v[12:13], 0xbd0a5022c297fbeb, v[12:13]
	v_add_f64_e64 v[16:17], v[16:17], -v[26:27]
	s_delay_alu instid0(TRANS32_DEP_1) | instskip(NEXT) | instid1(VALU_DEP_3)
	v_fma_f64 v[22:23], -v[18:19], v[20:21], 1.0
	v_fma_f64 v[8:9], v[4:5], v[12:13], -v[8:9]
	s_delay_alu instid0(VALU_DEP_2) | instskip(NEXT) | instid1(VALU_DEP_2)
	v_fmac_f64_e32 v[20:21], v[22:23], v[20:21]
	v_add_f64_e32 v[8:9], 0x3d359b464b262627, v[8:9]
	s_delay_alu instid0(VALU_DEP_2) | instskip(NEXT) | instid1(VALU_DEP_2)
	v_fma_f64 v[22:23], -v[18:19], v[20:21], 1.0
	v_fma_f64 v[12:13], v[4:5], v[8:9], -v[12:13]
	s_delay_alu instid0(VALU_DEP_2) | instskip(NEXT) | instid1(VALU_DEP_2)
	v_fmac_f64_e32 v[20:21], v[22:23], v[20:21]
	v_add_f64_e32 v[12:13], 0xbd61164c62ee1af0, v[12:13]
	s_delay_alu instid0(VALU_DEP_2) | instskip(NEXT) | instid1(VALU_DEP_2)
	v_mul_f64_e32 v[22:23], v[24:25], v[20:21]
	v_fma_f64 v[8:9], v[4:5], v[12:13], -v[8:9]
	s_delay_alu instid0(VALU_DEP_2) | instskip(NEXT) | instid1(VALU_DEP_2)
	v_mul_f64_e32 v[28:29], v[18:19], v[22:23]
	v_add_f64_e32 v[8:9], 0x3d89fe2fe19bd324, v[8:9]
	s_delay_alu instid0(VALU_DEP_2) | instskip(NEXT) | instid1(VALU_DEP_2)
	v_fma_f64 v[18:19], v[22:23], v[18:19], -v[28:29]
	v_fma_f64 v[12:13], v[4:5], v[8:9], -v[12:13]
	s_delay_alu instid0(VALU_DEP_2) | instskip(NEXT) | instid1(VALU_DEP_2)
	v_fmac_f64_e32 v[18:19], v[22:23], v[16:17]
	v_add_f64_e32 v[12:13], 0xbdb2fc957a946abc, v[12:13]
	s_delay_alu instid0(VALU_DEP_2) | instskip(NEXT) | instid1(VALU_DEP_2)
	v_add_f64_e32 v[16:17], v[28:29], v[18:19]
	v_fma_f64 v[8:9], v[4:5], v[12:13], -v[8:9]
	s_delay_alu instid0(VALU_DEP_2) | instskip(NEXT) | instid1(VALU_DEP_2)
	v_add_f64_e64 v[26:27], v[24:25], -v[16:17]
	v_add_f64_e32 v[8:9], 0x3dda98becc743c10, v[8:9]
	v_add_f64_e64 v[28:29], v[16:17], -v[28:29]
	s_delay_alu instid0(VALU_DEP_3) | instskip(NEXT) | instid1(VALU_DEP_3)
	v_add_f64_e64 v[24:25], v[24:25], -v[26:27]
	v_fma_f64 v[12:13], v[4:5], v[8:9], -v[12:13]
	s_delay_alu instid0(VALU_DEP_3) | instskip(SKIP_1) | instid1(VALU_DEP_4)
	v_add_f64_e64 v[18:19], v[28:29], -v[18:19]
	v_cvt_f64_i32_e32 v[28:29], v3
	v_add_f64_e64 v[16:17], v[24:25], -v[16:17]
	s_delay_alu instid0(VALU_DEP_4) | instskip(NEXT) | instid1(VALU_DEP_3)
	v_add_f64_e32 v[12:13], 0xbe01d4fe13ae9556, v[12:13]
	v_mul_f64_e32 v[30:31], 0x3fe62e42fefa39ef, v[28:29]
	s_delay_alu instid0(VALU_DEP_3) | instskip(NEXT) | instid1(VALU_DEP_3)
	v_add_f64_e32 v[16:17], v[18:19], v[16:17]
	v_fma_f64 v[8:9], v[4:5], v[12:13], -v[8:9]
	s_delay_alu instid0(VALU_DEP_2) | instskip(NEXT) | instid1(VALU_DEP_2)
	v_add_f64_e32 v[16:17], v[26:27], v[16:17]
	v_add_f64_e32 v[8:9], 0x3e26d903a454cb34, v[8:9]
	s_delay_alu instid0(VALU_DEP_2) | instskip(NEXT) | instid1(VALU_DEP_2)
	v_mul_f64_e32 v[16:17], v[20:21], v[16:17]
	v_fma_f64 v[12:13], v[4:5], v[8:9], -v[12:13]
	s_delay_alu instid0(VALU_DEP_2) | instskip(NEXT) | instid1(VALU_DEP_2)
	v_add_f64_e32 v[18:19], v[22:23], v[16:17]
	v_add_f64_e32 v[12:13], 0xbe4beaf68c0b30ab, v[12:13]
	s_delay_alu instid0(VALU_DEP_2) | instskip(NEXT) | instid1(VALU_DEP_2)
	v_mul_f64_e32 v[20:21], v[18:19], v[18:19]
	v_fma_f64 v[8:9], v[4:5], v[12:13], -v[8:9]
	s_delay_alu instid0(VALU_DEP_2) | instskip(NEXT) | instid1(VALU_DEP_2)
	v_fmaak_f64 v[24:25], s[16:17], v[20:21], 0x3fc385386b47b09a
	v_add_f64_e32 v[8:9], 0x3e703b769d4d6435, v[8:9]
	v_mul_f64_e32 v[26:27], v[18:19], v[20:21]
	s_mov_b64 s[16:17], 0x3ca3cee1e6a7fd77
	s_delay_alu instid0(VALU_DEP_3) | instskip(NEXT) | instid1(VALU_DEP_1)
	v_fmaak_f64 v[24:25], v[20:21], v[24:25], 0x3fc7474dd7f4df2e
	v_fmaak_f64 v[24:25], v[20:21], v[24:25], 0x3fcc71c016291751
	s_delay_alu instid0(VALU_DEP_1) | instskip(NEXT) | instid1(VALU_DEP_1)
	v_fmaak_f64 v[24:25], v[20:21], v[24:25], 0x3fd249249b27acf1
	v_fmaak_f64 v[24:25], v[20:21], v[24:25], 0x3fd99999998ef7b6
	v_fma_f64 v[12:13], v[4:5], v[8:9], -v[12:13]
	s_delay_alu instid0(VALU_DEP_2) | instskip(SKIP_2) | instid1(VALU_DEP_3)
	v_fmaak_f64 v[20:21], v[20:21], v[24:25], 0x3fe5555555555780
	v_ldexp_f64 v[24:25], v[18:19], 1
	v_add_f64_e64 v[18:19], v[18:19], -v[22:23]
	v_mul_f64_e32 v[20:21], v[26:27], v[20:21]
	v_fma_f64 v[26:27], v[6:7], v[6:7], -2.0
	v_add_f64_e32 v[12:13], 0xbe91ec638f227f8d, v[12:13]
	s_delay_alu instid0(VALU_DEP_4) | instskip(NEXT) | instid1(VALU_DEP_4)
	v_add_f64_e64 v[16:17], v[16:17], -v[18:19]
	v_add_f64_e32 v[22:23], v[24:25], v[20:21]
	s_delay_alu instid0(VALU_DEP_3) | instskip(NEXT) | instid1(VALU_DEP_3)
	v_fma_f64 v[8:9], v[4:5], v[12:13], -v[8:9]
	v_ldexp_f64 v[16:17], v[16:17], 1
	s_delay_alu instid0(VALU_DEP_3) | instskip(SKIP_2) | instid1(VALU_DEP_1)
	v_add_f64_e64 v[18:19], v[22:23], -v[24:25]
	v_fmaak_f64 v[24:25], s[16:17], v[26:27], 0x3d27fb0ac384c2aa
	s_mov_b64 s[16:17], 0x3fe62e42fefa39ef
	v_fmaak_f64 v[32:33], v[26:27], v[24:25], 0xbca3cee1e6a7fd77
	v_add_f64_e32 v[8:9], 0x3eb2bf24978cf4ac, v[8:9]
	s_delay_alu instid0(VALU_DEP_4) | instskip(NEXT) | instid1(VALU_DEP_3)
	v_add_f64_e64 v[18:19], v[20:21], -v[18:19]
	v_add_f64_e32 v[20:21], 0x3da6c25c47512144, v[32:33]
	v_fma_f64 v[32:33], v[28:29], s[16:17], -v[30:31]
	s_mov_b64 s[16:17], 0x3e5ade156a5dcb37
	s_delay_alu instid0(VALU_DEP_4) | instskip(NEXT) | instid1(VALU_DEP_4)
	v_fma_f64 v[12:13], v[4:5], v[8:9], -v[12:13]
	v_add_f64_e32 v[16:17], v[16:17], v[18:19]
	s_delay_alu instid0(VALU_DEP_4) | instskip(NEXT) | instid1(VALU_DEP_4)
	v_fma_f64 v[18:19], v[26:27], v[20:21], -v[24:25]
	v_fmamk_f64 v[24:25], v[28:29], 0x3c7abc9e3b39803f, v[32:33]
	s_delay_alu instid0(VALU_DEP_1) | instskip(SKIP_3) | instid1(VALU_DEP_4)
	v_add_f64_e32 v[32:33], v[30:31], v[24:25]
	v_add_f64_e32 v[12:13], 0xbed2866fcba56427, v[12:13]
	;; [unrolled: 1-line block ×4, first 2 shown]
	v_add_f64_e64 v[30:31], v[32:33], -v[30:31]
	s_delay_alu instid0(VALU_DEP_4) | instskip(NEXT) | instid1(VALU_DEP_4)
	v_fma_f64 v[8:9], v[4:5], v[12:13], -v[8:9]
	v_add_f64_e32 v[34:35], v[32:33], v[28:29]
	s_delay_alu instid0(VALU_DEP_4) | instskip(SKIP_1) | instid1(VALU_DEP_4)
	v_fma_f64 v[20:21], v[26:27], v[18:19], -v[20:21]
	v_add_f64_e64 v[22:23], v[28:29], -v[22:23]
	v_add_f64_e32 v[8:9], 0x3ef13f58be9a2859, v[8:9]
	s_delay_alu instid0(VALU_DEP_4) | instskip(NEXT) | instid1(VALU_DEP_4)
	v_add_f64_e64 v[36:37], v[34:35], -v[32:33]
	v_add_f64_e32 v[20:21], 0x3e9102bce7f95efc, v[20:21]
	s_delay_alu instid0(VALU_DEP_4)
	v_add_f64_e64 v[16:17], v[16:17], -v[22:23]
	v_add_f64_e64 v[22:23], v[24:25], -v[30:31]
	v_mul_f64_e32 v[30:31], 0x3ff71547652b82fe, v[6:7]
	v_fma_f64 v[12:13], v[4:5], v[8:9], -v[12:13]
	v_add_f64_e64 v[38:39], v[34:35], -v[36:37]
	v_fma_f64 v[18:19], v[26:27], v[20:21], -v[18:19]
	v_add_f64_e64 v[28:29], v[28:29], -v[36:37]
	s_delay_alu instid0(VALU_DEP_4) | instskip(NEXT) | instid1(VALU_DEP_4)
	v_add_f64_e32 v[12:13], 0xbf0e2b2659c41d5a, v[12:13]
	v_add_f64_e64 v[24:25], v[32:33], -v[38:39]
	s_delay_alu instid0(VALU_DEP_4) | instskip(SKIP_1) | instid1(VALU_DEP_4)
	v_add_f64_e32 v[18:19], 0x3ef7f900fe8cfca0, v[18:19]
	v_add_f64_e32 v[32:33], v[22:23], v[16:17]
	v_fma_f64 v[8:9], v[4:5], v[12:13], -v[8:9]
	s_delay_alu instid0(VALU_DEP_4) | instskip(NEXT) | instid1(VALU_DEP_4)
	v_add_f64_e32 v[24:25], v[28:29], v[24:25]
	v_fma_f64 v[20:21], v[26:27], v[18:19], -v[20:21]
	v_rndne_f64_e32 v[28:29], v[30:31]
	v_add_f64_e64 v[30:31], v[32:33], -v[22:23]
	v_add_f64_e32 v[8:9], 0x3f28b51b74107cab, v[8:9]
	v_add_f64_e32 v[24:25], v[32:33], v[24:25]
	;; [unrolled: 1-line block ×3, first 2 shown]
	v_fmamk_f64 v[6:7], v[28:29], 0xbfe62e42fefa39ef, v[6:7]
	v_add_f64_e64 v[32:33], v[32:33], -v[30:31]
	v_add_f64_e64 v[16:17], v[16:17], -v[30:31]
	v_cvt_i32_f64_e32 v3, v[28:29]
	s_delay_alu instid0(VALU_DEP_4) | instskip(NEXT) | instid1(VALU_DEP_1)
	v_fmamk_f64 v[6:7], v[28:29], 0xbc7abc9e3b39803f, v[6:7]
	v_fmaak_f64 v[38:39], s[16:17], v[6:7], 0x3e928af3fca7ab0c
	s_delay_alu instid0(VALU_DEP_1) | instskip(SKIP_1) | instid1(VALU_DEP_2)
	v_fmaak_f64 v[38:39], v[6:7], v[38:39], 0x3ec71dee623fde64
	v_fma_f64 v[12:13], v[4:5], v[8:9], -v[12:13]
	v_fmaak_f64 v[38:39], v[6:7], v[38:39], 0x3efa01997c89e6b0
	v_add_f64_e32 v[36:37], v[34:35], v[24:25]
	v_fma_f64 v[18:19], v[26:27], v[20:21], -v[18:19]
	v_add_f64_e64 v[22:23], v[22:23], -v[32:33]
	s_delay_alu instid0(VALU_DEP_4) | instskip(NEXT) | instid1(VALU_DEP_1)
	v_fmaak_f64 v[38:39], v[6:7], v[38:39], 0x3f2a01a014761f6e
	v_fmaak_f64 v[32:33], v[6:7], v[38:39], 0x3f56c16c1852b7b0
	v_add_f64_e32 v[12:13], 0xbf42e2fd1f15eb52, v[12:13]
	v_add_f64_e64 v[30:31], v[36:37], -v[34:35]
	v_add_f64_e32 v[18:19], 0x3fa26bf6554a9085, v[18:19]
	v_add_f64_e32 v[16:17], v[16:17], v[22:23]
	s_delay_alu instid0(VALU_DEP_4) | instskip(NEXT) | instid1(VALU_DEP_4)
	v_fma_f64 v[8:9], v[4:5], v[12:13], -v[8:9]
	v_add_f64_e64 v[22:23], v[24:25], -v[30:31]
	s_delay_alu instid0(VALU_DEP_4) | instskip(NEXT) | instid1(VALU_DEP_3)
	v_fma_f64 v[20:21], v[26:27], v[18:19], -v[20:21]
	v_add_f64_e32 v[8:9], 0x3f5adc758a12100e, v[8:9]
	s_delay_alu instid0(VALU_DEP_3) | instskip(NEXT) | instid1(VALU_DEP_3)
	v_add_f64_e32 v[16:17], v[16:17], v[22:23]
	v_add_f64_e32 v[20:21], 0x3fd608d881213db9, v[20:21]
	s_delay_alu instid0(VALU_DEP_3) | instskip(NEXT) | instid1(VALU_DEP_1)
	v_fma_f64 v[12:13], v[4:5], v[8:9], -v[12:13]
	v_add_f64_e32 v[12:13], 0xbf71b65e201aa849, v[12:13]
	s_delay_alu instid0(VALU_DEP_1) | instskip(NEXT) | instid1(VALU_DEP_1)
	v_fma_f64 v[8:9], v[4:5], v[12:13], -v[8:9]
	v_add_f64_e32 v[8:9], 0x3f859961f3dde3dd, v[8:9]
	s_delay_alu instid0(VALU_DEP_1) | instskip(NEXT) | instid1(VALU_DEP_1)
	;; [unrolled: 3-line block ×6, first 2 shown]
	v_fma_f64 v[12:13], v[4:5], v[8:9], -v[12:13]
	v_add_f64_e32 v[12:13], 0xbfd37febc057cd8d, v[12:13]
	s_delay_alu instid0(VALU_DEP_1) | instskip(SKIP_1) | instid1(VALU_DEP_1)
	v_fma_f64 v[4:5], v[4:5], v[12:13], -v[8:9]
	v_fmaak_f64 v[12:13], v[6:7], v[32:33], 0x3f81111111122322
	v_fmaak_f64 v[12:13], v[6:7], v[12:13], 0x3fa55555555502a1
	s_delay_alu instid0(VALU_DEP_1) | instskip(NEXT) | instid1(VALU_DEP_1)
	v_fmaak_f64 v[12:13], v[6:7], v[12:13], 0x3fc5555555555511
	v_fmaak_f64 v[12:13], v[6:7], v[12:13], 0x3fe000000000000b
	s_delay_alu instid0(VALU_DEP_1) | instskip(SKIP_1) | instid1(VALU_DEP_2)
	v_fma_f64 v[12:13], v[6:7], v[12:13], 1.0
	v_add_f64_e32 v[4:5], 0x3fe5a84e9035a22a, v[4:5]
	v_fma_f64 v[6:7], v[6:7], v[12:13], 1.0
	v_fma_f64 v[12:13], v[26:27], v[20:21], -v[18:19]
	s_delay_alu instid0(VALU_DEP_3) | instskip(SKIP_1) | instid1(VALU_DEP_4)
	v_add_f64_e64 v[4:5], v[4:5], -v[8:9]
	v_add_f64_e32 v[8:9], v[36:37], v[16:17]
	v_ldexp_f64 v[6:7], v[6:7], v3
	s_delay_alu instid0(VALU_DEP_4) | instskip(NEXT) | instid1(VALU_DEP_4)
	v_add_f64_e32 v[12:13], 0xbfe12166e9d2f61f, v[12:13]
	v_mul_f64_e32 v[4:5], 0.5, v[4:5]
	s_delay_alu instid0(VALU_DEP_4) | instskip(SKIP_2) | instid1(VALU_DEP_2)
	v_cndmask_b32_e32 v3, 0x7ff00000, v9, vcc_lo
	s_and_b32 vcc_lo, s0, vcc_lo
	v_cndmask_b32_e32 v8, 0, v8, vcc_lo
	v_cndmask_b32_e64 v9, 0xfff00000, v3, s0
	v_add_f64_e64 v[12:13], v[12:13], -v[18:19]
	v_mul_f64_e32 v[4:5], v[6:7], v[4:5]
	s_delay_alu instid0(VALU_DEP_1) | instskip(NEXT) | instid1(VALU_DEP_1)
	v_mul_f64_e32 v[4:5], v[8:9], v[4:5]
	v_fma_f64 v[4:5], v[12:13], 0.5, -v[4:5]
	s_delay_alu instid0(VALU_DEP_1)
	v_mul_f64_e32 v[4:5], v[6:7], v[4:5]
                                        ; implicit-def: $vgpr6_vgpr7
.LBB8_1331:
	s_and_not1_saveexec_b32 s0, s14
	s_cbranch_execz .LBB8_1333
; %bb.1332:
	v_div_scale_f64 v[4:5], null, v[6:7], v[6:7], 0x40200000
	v_div_scale_f64 v[14:15], vcc_lo, 0x40200000, v[6:7], 0x40200000
	s_mov_b64 s[14:15], 0x3c5871a5cf8c9ee1
	v_rcp_f64_e32 v[8:9], v[4:5]
	v_nop
	s_delay_alu instid0(TRANS32_DEP_1) | instskip(NEXT) | instid1(VALU_DEP_1)
	v_fma_f64 v[12:13], -v[4:5], v[8:9], 1.0
	v_fmac_f64_e32 v[8:9], v[8:9], v[12:13]
	s_delay_alu instid0(VALU_DEP_1) | instskip(NEXT) | instid1(VALU_DEP_1)
	v_fma_f64 v[12:13], -v[4:5], v[8:9], 1.0
	v_fmac_f64_e32 v[8:9], v[8:9], v[12:13]
	s_delay_alu instid0(VALU_DEP_1) | instskip(NEXT) | instid1(VALU_DEP_1)
	v_mul_f64_e32 v[12:13], v[14:15], v[8:9]
	v_fma_f64 v[4:5], -v[4:5], v[12:13], v[14:15]
	s_delay_alu instid0(VALU_DEP_1) | instskip(SKIP_1) | instid1(VALU_DEP_2)
	v_div_fmas_f64 v[4:5], v[4:5], v[8:9], v[12:13]
	v_cmp_gt_f64_e32 vcc_lo, 0x10000000, v[6:7]
	v_div_fixup_f64 v[4:5], v[4:5], v[6:7], 0x40200000
	v_cndmask_b32_e64 v3, 0, 0x100, vcc_lo
	s_delay_alu instid0(VALU_DEP_1) | instskip(SKIP_1) | instid1(VALU_DEP_2)
	v_ldexp_f64 v[6:7], v[6:7], v3
	v_cndmask_b32_e64 v3, 0, 0xffffff80, vcc_lo
	v_cmp_class_f64_e64 vcc_lo, v[6:7], 0x260
	v_add_f64_e32 v[4:5], -2.0, v[4:5]
	v_rsq_f64_e32 v[14:15], v[6:7]
	s_delay_alu instid0(VALU_DEP_1) | instskip(NEXT) | instid1(TRANS32_DEP_1)
	v_fmaak_f64 v[8:9], s[14:15], v[4:5], 0xbc72fecc93812603
	v_mul_f64_e32 v[16:17], v[6:7], v[14:15]
	s_delay_alu instid0(VALU_DEP_2) | instskip(SKIP_1) | instid1(VALU_DEP_2)
	v_fmaak_f64 v[12:13], v[4:5], v[8:9], 0xbc5871a5cf8c9ee1
	v_mul_f64_e32 v[14:15], 0.5, v[14:15]
	v_add_f64_e32 v[12:13], 0x3c8e092e41a8cdf4, v[12:13]
	s_delay_alu instid0(VALU_DEP_2) | instskip(NEXT) | instid1(VALU_DEP_2)
	v_fma_f64 v[18:19], -v[14:15], v[16:17], 0.5
	v_fma_f64 v[8:9], v[4:5], v[12:13], -v[8:9]
	s_delay_alu instid0(VALU_DEP_2) | instskip(SKIP_1) | instid1(VALU_DEP_3)
	v_fmac_f64_e32 v[16:17], v[16:17], v[18:19]
	v_fmac_f64_e32 v[14:15], v[14:15], v[18:19]
	v_add_f64_e32 v[8:9], 0xbca82f9474d77641, v[8:9]
	s_delay_alu instid0(VALU_DEP_3) | instskip(NEXT) | instid1(VALU_DEP_2)
	v_fma_f64 v[18:19], -v[16:17], v[16:17], v[6:7]
	v_fma_f64 v[12:13], v[4:5], v[8:9], -v[12:13]
	s_delay_alu instid0(VALU_DEP_2) | instskip(NEXT) | instid1(VALU_DEP_2)
	v_fmac_f64_e32 v[16:17], v[18:19], v[14:15]
	v_add_f64_e32 v[12:13], 0x3cc3dbf96b94785b, v[12:13]
	s_delay_alu instid0(VALU_DEP_1) | instskip(NEXT) | instid1(VALU_DEP_1)
	v_fma_f64 v[8:9], v[4:5], v[12:13], -v[8:9]
	v_add_f64_e32 v[8:9], 0xbce0a690ecfadd36, v[8:9]
	s_delay_alu instid0(VALU_DEP_1) | instskip(NEXT) | instid1(VALU_DEP_1)
	v_fma_f64 v[12:13], v[4:5], v[8:9], -v[12:13]
	;; [unrolled: 3-line block ×19, first 2 shown]
	v_add_f64_e32 v[8:9], 0xbfa019f72d4ff71e, v[8:9]
	s_delay_alu instid0(VALU_DEP_1) | instskip(SKIP_1) | instid1(VALU_DEP_2)
	v_fma_f64 v[4:5], v[4:5], v[8:9], -v[12:13]
	v_fma_f64 v[8:9], -v[16:17], v[16:17], v[6:7]
	v_add_f64_e32 v[4:5], 0x400385bd9f4e6907, v[4:5]
	s_delay_alu instid0(VALU_DEP_2) | instskip(NEXT) | instid1(VALU_DEP_2)
	v_fmac_f64_e32 v[16:17], v[8:9], v[14:15]
	v_add_f64_e64 v[4:5], v[4:5], -v[12:13]
	s_delay_alu instid0(VALU_DEP_2) | instskip(NEXT) | instid1(VALU_DEP_1)
	v_ldexp_f64 v[8:9], v[16:17], v3
	v_dual_mul_f64 v[4:5], 0.5, v[4:5] :: v_dual_cndmask_b32 v7, v9, v7, vcc_lo
	s_delay_alu instid0(VALU_DEP_2) | instskip(NEXT) | instid1(VALU_DEP_1)
	v_cndmask_b32_e32 v6, v8, v6, vcc_lo
	v_div_scale_f64 v[8:9], null, v[6:7], v[6:7], v[4:5]
	s_delay_alu instid0(VALU_DEP_1) | instskip(SKIP_1) | instid1(TRANS32_DEP_1)
	v_rcp_f64_e32 v[12:13], v[8:9]
	v_nop
	v_fma_f64 v[14:15], -v[8:9], v[12:13], 1.0
	s_delay_alu instid0(VALU_DEP_1) | instskip(NEXT) | instid1(VALU_DEP_1)
	v_fmac_f64_e32 v[12:13], v[12:13], v[14:15]
	v_fma_f64 v[14:15], -v[8:9], v[12:13], 1.0
	s_delay_alu instid0(VALU_DEP_1) | instskip(SKIP_1) | instid1(VALU_DEP_1)
	v_fmac_f64_e32 v[12:13], v[12:13], v[14:15]
	v_div_scale_f64 v[14:15], vcc_lo, v[4:5], v[6:7], v[4:5]
	v_mul_f64_e32 v[16:17], v[14:15], v[12:13]
	s_delay_alu instid0(VALU_DEP_1) | instskip(NEXT) | instid1(VALU_DEP_1)
	v_fma_f64 v[8:9], -v[8:9], v[16:17], v[14:15]
	v_div_fmas_f64 v[8:9], v[8:9], v[12:13], v[16:17]
	s_delay_alu instid0(VALU_DEP_1)
	v_div_fixup_f64 v[4:5], v[8:9], v[6:7], v[4:5]
.LBB8_1333:
	s_or_b32 exec_lo, exec_lo, s0
.LBB8_1334:
	s_delay_alu instid0(SALU_CYCLE_1)
	s_or_b32 exec_lo, exec_lo, s13
.LBB8_1335:
	s_delay_alu instid0(SALU_CYCLE_1) | instskip(SKIP_2) | instid1(VALU_DEP_1)
	s_or_b32 exec_lo, exec_lo, s12
	v_add_nc_u32_e32 v2, s3, v2
	s_cmp_lt_i32 s9, 11
	v_ashrrev_i32_e32 v3, 31, v2
	s_delay_alu instid0(VALU_DEP_1)
	v_add_nc_u64_e32 v[8:9], s[6:7], v[2:3]
	s_cbranch_scc1 .LBB8_1342
; %bb.1336:
	s_cmp_gt_i32 s9, 25
	s_mov_b32 s12, 0
	s_cbranch_scc0 .LBB8_1344
; %bb.1337:
	s_cmp_gt_i32 s9, 28
	s_cbranch_scc0 .LBB8_1345
; %bb.1338:
	s_cmp_gt_i32 s9, 43
	s_cbranch_scc0 .LBB8_1346
; %bb.1339:
	s_cmp_gt_i32 s9, 45
	s_cbranch_scc0 .LBB8_1348
; %bb.1340:
	s_cmp_eq_u32 s9, 46
	s_mov_b32 s14, 0
	s_cbranch_scc0 .LBB8_1349
; %bb.1341:
	global_load_b32 v3, v[8:9], off
	s_mov_b32 s0, 0
	s_mov_b32 s13, -1
	s_wait_loadcnt 0x0
	v_lshlrev_b32_e32 v3, 16, v3
	s_delay_alu instid0(VALU_DEP_1)
	v_cvt_f64_f32_e32 v[6:7], v3
	s_branch .LBB8_1351
.LBB8_1342:
	s_mov_b32 s13, 0
                                        ; implicit-def: $vgpr6_vgpr7
	s_cbranch_execnz .LBB8_1417
.LBB8_1343:
	s_and_not1_b32 vcc_lo, exec_lo, s13
	s_cbranch_vccnz .LBB8_1690
	s_branch .LBB8_1465
.LBB8_1344:
	s_mov_b32 s14, -1
	s_mov_b32 s13, 0
	s_mov_b32 s0, 0
                                        ; implicit-def: $vgpr6_vgpr7
	s_branch .LBB8_1380
.LBB8_1345:
	s_mov_b32 s14, -1
	s_mov_b32 s13, 0
	s_mov_b32 s0, 0
                                        ; implicit-def: $vgpr6_vgpr7
	s_branch .LBB8_1361
.LBB8_1346:
	s_mov_b32 s14, -1
	s_mov_b32 s13, 0
	s_mov_b32 s0, 0
                                        ; implicit-def: $vgpr6_vgpr7
	s_branch .LBB8_1356
.LBB8_1347:
	s_or_b32 s1, s1, exec_lo
	s_trap 2
	s_cbranch_execz .LBB8_1278
	s_branch .LBB8_1279
.LBB8_1348:
	s_mov_b32 s14, -1
	s_mov_b32 s13, 0
	s_mov_b32 s0, 0
	s_branch .LBB8_1350
.LBB8_1349:
	s_mov_b32 s0, -1
	s_mov_b32 s13, 0
.LBB8_1350:
                                        ; implicit-def: $vgpr6_vgpr7
.LBB8_1351:
	s_and_b32 vcc_lo, exec_lo, s14
	s_cbranch_vccz .LBB8_1355
; %bb.1352:
	s_cmp_eq_u32 s9, 44
	s_cbranch_scc0 .LBB8_1354
; %bb.1353:
	global_load_u8 v3, v[8:9], off
	s_mov_b32 s0, 0
	s_mov_b32 s13, -1
	s_wait_loadcnt 0x0
	v_lshlrev_b32_e32 v6, 23, v3
	v_cmp_ne_u32_e32 vcc_lo, 0xff, v3
	s_delay_alu instid0(VALU_DEP_2) | instskip(NEXT) | instid1(VALU_DEP_1)
	v_cvt_f64_f32_e32 v[6:7], v6
	v_cndmask_b32_e32 v6, 0x20000000, v6, vcc_lo
	s_delay_alu instid0(VALU_DEP_2) | instskip(SKIP_1) | instid1(VALU_DEP_2)
	v_cndmask_b32_e32 v7, 0x7ff80000, v7, vcc_lo
	v_cmp_ne_u32_e32 vcc_lo, 0, v3
	v_cndmask_b32_e32 v7, 0x38000000, v7, vcc_lo
	s_delay_alu instid0(VALU_DEP_4)
	v_cndmask_b32_e32 v6, 0, v6, vcc_lo
	s_branch .LBB8_1355
.LBB8_1354:
	s_mov_b32 s0, -1
                                        ; implicit-def: $vgpr6_vgpr7
.LBB8_1355:
	s_mov_b32 s14, 0
.LBB8_1356:
	s_delay_alu instid0(SALU_CYCLE_1)
	s_and_b32 vcc_lo, exec_lo, s14
	s_cbranch_vccz .LBB8_1360
; %bb.1357:
	s_cmp_eq_u32 s9, 29
	s_cbranch_scc0 .LBB8_1359
; %bb.1358:
	global_load_b64 v[6:7], v[8:9], off
	s_mov_b32 s0, 0
	s_mov_b32 s13, -1
	s_mov_b32 s14, 0
	s_wait_loadcnt 0x0
	v_cvt_f64_u32_e32 v[12:13], v7
	v_cvt_f64_u32_e32 v[6:7], v6
	s_delay_alu instid0(VALU_DEP_2) | instskip(NEXT) | instid1(VALU_DEP_1)
	v_ldexp_f64 v[12:13], v[12:13], 32
	v_add_f64_e32 v[6:7], v[12:13], v[6:7]
	s_branch .LBB8_1361
.LBB8_1359:
	s_mov_b32 s0, -1
                                        ; implicit-def: $vgpr6_vgpr7
.LBB8_1360:
	s_mov_b32 s14, 0
.LBB8_1361:
	s_delay_alu instid0(SALU_CYCLE_1)
	s_and_b32 vcc_lo, exec_lo, s14
	s_cbranch_vccz .LBB8_1379
; %bb.1362:
	s_cmp_lt_i32 s9, 27
	s_cbranch_scc1 .LBB8_1365
; %bb.1363:
	s_cmp_gt_i32 s9, 27
	s_cbranch_scc0 .LBB8_1366
; %bb.1364:
	global_load_b32 v3, v[8:9], off
	s_mov_b32 s13, 0
	s_wait_loadcnt 0x0
	v_cvt_f64_u32_e32 v[6:7], v3
	s_branch .LBB8_1367
.LBB8_1365:
	s_mov_b32 s13, -1
                                        ; implicit-def: $vgpr6_vgpr7
	s_branch .LBB8_1370
.LBB8_1366:
	s_mov_b32 s13, -1
                                        ; implicit-def: $vgpr6_vgpr7
.LBB8_1367:
	s_delay_alu instid0(SALU_CYCLE_1)
	s_and_not1_b32 vcc_lo, exec_lo, s13
	s_cbranch_vccnz .LBB8_1369
; %bb.1368:
	global_load_u16 v3, v[8:9], off
	s_wait_loadcnt 0x0
	v_cvt_f64_u32_e32 v[6:7], v3
.LBB8_1369:
	s_mov_b32 s13, 0
.LBB8_1370:
	s_delay_alu instid0(SALU_CYCLE_1)
	s_and_not1_b32 vcc_lo, exec_lo, s13
	s_cbranch_vccnz .LBB8_1378
; %bb.1371:
	global_load_u8 v3, v[8:9], off
	s_mov_b32 s13, 0
	s_mov_b32 s14, exec_lo
	s_wait_loadcnt 0x0
	v_cmpx_lt_i16_e32 0x7f, v3
	s_xor_b32 s14, exec_lo, s14
	s_cbranch_execz .LBB8_1392
; %bb.1372:
	s_mov_b32 s13, -1
	s_mov_b32 s15, exec_lo
	v_cmpx_eq_u16_e32 0x80, v3
; %bb.1373:
	s_xor_b32 s13, exec_lo, -1
; %bb.1374:
	s_or_b32 exec_lo, exec_lo, s15
	s_delay_alu instid0(SALU_CYCLE_1)
	s_and_b32 s13, s13, exec_lo
	s_or_saveexec_b32 s14, s14
	v_mov_b64_e32 v[6:7], 0x7ff8000020000000
	s_xor_b32 exec_lo, exec_lo, s14
	s_cbranch_execnz .LBB8_1393
.LBB8_1375:
	s_or_b32 exec_lo, exec_lo, s14
	s_and_saveexec_b32 s14, s13
	s_cbranch_execz .LBB8_1377
.LBB8_1376:
	v_and_b32_e32 v6, 0xffff, v3
	s_delay_alu instid0(VALU_DEP_1) | instskip(SKIP_1) | instid1(VALU_DEP_2)
	v_and_b32_e32 v7, 7, v6
	v_bfe_u32 v13, v6, 3, 4
	v_clz_i32_u32_e32 v11, v7
	s_delay_alu instid0(VALU_DEP_2) | instskip(NEXT) | instid1(VALU_DEP_2)
	v_cmp_eq_u32_e32 vcc_lo, 0, v13
	v_min_u32_e32 v11, 32, v11
	s_delay_alu instid0(VALU_DEP_1) | instskip(NEXT) | instid1(VALU_DEP_1)
	v_subrev_nc_u32_e32 v12, 28, v11
	v_dual_lshlrev_b32 v6, v12, v6 :: v_dual_sub_nc_u32 v11, 29, v11
	s_delay_alu instid0(VALU_DEP_1) | instskip(NEXT) | instid1(VALU_DEP_1)
	v_dual_lshlrev_b32 v3, 24, v3 :: v_dual_bitop2_b32 v6, 7, v6 bitop3:0x40
	v_dual_cndmask_b32 v6, v7, v6 :: v_dual_cndmask_b32 v11, v13, v11
	s_delay_alu instid0(VALU_DEP_2) | instskip(NEXT) | instid1(VALU_DEP_2)
	v_and_b32_e32 v3, 0x80000000, v3
	v_lshlrev_b32_e32 v6, 20, v6
	s_delay_alu instid0(VALU_DEP_3) | instskip(NEXT) | instid1(VALU_DEP_1)
	v_lshl_add_u32 v7, v11, 23, 0x3b800000
	v_or3_b32 v3, v3, v7, v6
	s_delay_alu instid0(VALU_DEP_1)
	v_cvt_f64_f32_e32 v[6:7], v3
.LBB8_1377:
	s_or_b32 exec_lo, exec_lo, s14
.LBB8_1378:
	s_mov_b32 s13, -1
.LBB8_1379:
	s_mov_b32 s14, 0
.LBB8_1380:
	s_delay_alu instid0(SALU_CYCLE_1)
	s_and_b32 vcc_lo, exec_lo, s14
	s_cbranch_vccz .LBB8_1413
; %bb.1381:
	s_cmp_gt_i32 s9, 22
	s_cbranch_scc0 .LBB8_1391
; %bb.1382:
	s_cmp_lt_i32 s9, 24
	s_cbranch_scc1 .LBB8_1394
; %bb.1383:
	s_cmp_gt_i32 s9, 24
	s_cbranch_scc0 .LBB8_1395
; %bb.1384:
	global_load_u8 v3, v[8:9], off
	s_mov_b32 s13, exec_lo
	s_wait_loadcnt 0x0
	v_cmpx_lt_i16_e32 0x7f, v3
	s_xor_b32 s13, exec_lo, s13
	s_cbranch_execz .LBB8_1407
; %bb.1385:
	s_mov_b32 s12, -1
	s_mov_b32 s14, exec_lo
	v_cmpx_eq_u16_e32 0x80, v3
; %bb.1386:
	s_xor_b32 s12, exec_lo, -1
; %bb.1387:
	s_or_b32 exec_lo, exec_lo, s14
	s_delay_alu instid0(SALU_CYCLE_1)
	s_and_b32 s12, s12, exec_lo
	s_or_saveexec_b32 s13, s13
	v_mov_b64_e32 v[6:7], 0x7ff8000020000000
	s_xor_b32 exec_lo, exec_lo, s13
	s_cbranch_execnz .LBB8_1408
.LBB8_1388:
	s_or_b32 exec_lo, exec_lo, s13
	s_and_saveexec_b32 s13, s12
	s_cbranch_execz .LBB8_1390
.LBB8_1389:
	v_and_b32_e32 v6, 0xffff, v3
	s_delay_alu instid0(VALU_DEP_1) | instskip(SKIP_1) | instid1(VALU_DEP_2)
	v_and_b32_e32 v7, 3, v6
	v_bfe_u32 v13, v6, 2, 5
	v_clz_i32_u32_e32 v11, v7
	s_delay_alu instid0(VALU_DEP_2) | instskip(NEXT) | instid1(VALU_DEP_2)
	v_cmp_eq_u32_e32 vcc_lo, 0, v13
	v_min_u32_e32 v11, 32, v11
	s_delay_alu instid0(VALU_DEP_1) | instskip(NEXT) | instid1(VALU_DEP_1)
	v_subrev_nc_u32_e32 v12, 29, v11
	v_dual_lshlrev_b32 v6, v12, v6 :: v_dual_sub_nc_u32 v11, 30, v11
	s_delay_alu instid0(VALU_DEP_1) | instskip(NEXT) | instid1(VALU_DEP_1)
	v_dual_lshlrev_b32 v3, 24, v3 :: v_dual_bitop2_b32 v6, 3, v6 bitop3:0x40
	v_dual_cndmask_b32 v6, v7, v6 :: v_dual_cndmask_b32 v11, v13, v11
	s_delay_alu instid0(VALU_DEP_2) | instskip(NEXT) | instid1(VALU_DEP_2)
	v_and_b32_e32 v3, 0x80000000, v3
	v_lshlrev_b32_e32 v6, 21, v6
	s_delay_alu instid0(VALU_DEP_3) | instskip(NEXT) | instid1(VALU_DEP_1)
	v_lshl_add_u32 v7, v11, 23, 0x37800000
	v_or3_b32 v3, v3, v7, v6
	s_delay_alu instid0(VALU_DEP_1)
	v_cvt_f64_f32_e32 v[6:7], v3
.LBB8_1390:
	s_or_b32 exec_lo, exec_lo, s13
	s_mov_b32 s12, 0
	s_branch .LBB8_1396
.LBB8_1391:
	s_mov_b32 s12, -1
                                        ; implicit-def: $vgpr6_vgpr7
	s_branch .LBB8_1402
.LBB8_1392:
	s_or_saveexec_b32 s14, s14
	v_mov_b64_e32 v[6:7], 0x7ff8000020000000
	s_xor_b32 exec_lo, exec_lo, s14
	s_cbranch_execz .LBB8_1375
.LBB8_1393:
	v_cmp_ne_u16_e32 vcc_lo, 0, v3
	v_mov_b64_e32 v[6:7], 0
	s_and_not1_b32 s13, s13, exec_lo
	s_and_b32 s15, vcc_lo, exec_lo
	s_delay_alu instid0(SALU_CYCLE_1)
	s_or_b32 s13, s13, s15
	s_or_b32 exec_lo, exec_lo, s14
	s_and_saveexec_b32 s14, s13
	s_cbranch_execnz .LBB8_1376
	s_branch .LBB8_1377
.LBB8_1394:
	s_mov_b32 s12, -1
                                        ; implicit-def: $vgpr6_vgpr7
	s_branch .LBB8_1399
.LBB8_1395:
	s_mov_b32 s12, -1
                                        ; implicit-def: $vgpr6_vgpr7
.LBB8_1396:
	s_delay_alu instid0(SALU_CYCLE_1)
	s_and_b32 vcc_lo, exec_lo, s12
	s_cbranch_vccz .LBB8_1398
; %bb.1397:
	global_load_u8 v3, v[8:9], off
	s_wait_loadcnt 0x0
	v_lshlrev_b32_e32 v3, 24, v3
	s_delay_alu instid0(VALU_DEP_1) | instskip(NEXT) | instid1(VALU_DEP_1)
	v_and_b32_e32 v6, 0x7f000000, v3
	v_clz_i32_u32_e32 v7, v6
	v_add_nc_u32_e32 v12, 0x1000000, v6
	v_cmp_ne_u32_e32 vcc_lo, 0, v6
	s_delay_alu instid0(VALU_DEP_3) | instskip(NEXT) | instid1(VALU_DEP_1)
	v_min_u32_e32 v7, 32, v7
	v_sub_nc_u32_e64 v7, v7, 4 clamp
	s_delay_alu instid0(VALU_DEP_1) | instskip(NEXT) | instid1(VALU_DEP_1)
	v_dual_lshlrev_b32 v11, v7, v6 :: v_dual_lshlrev_b32 v7, 23, v7
	v_lshrrev_b32_e32 v11, 4, v11
	s_delay_alu instid0(VALU_DEP_1) | instskip(NEXT) | instid1(VALU_DEP_1)
	v_dual_sub_nc_u32 v7, v11, v7 :: v_dual_ashrrev_i32 v11, 8, v12
	v_add_nc_u32_e32 v7, 0x3c000000, v7
	s_delay_alu instid0(VALU_DEP_1) | instskip(NEXT) | instid1(VALU_DEP_1)
	v_and_or_b32 v7, 0x7f800000, v11, v7
	v_cndmask_b32_e32 v6, 0, v7, vcc_lo
	s_delay_alu instid0(VALU_DEP_1) | instskip(NEXT) | instid1(VALU_DEP_1)
	v_and_or_b32 v3, 0x80000000, v3, v6
	v_cvt_f64_f32_e32 v[6:7], v3
.LBB8_1398:
	s_mov_b32 s12, 0
.LBB8_1399:
	s_delay_alu instid0(SALU_CYCLE_1)
	s_and_not1_b32 vcc_lo, exec_lo, s12
	s_cbranch_vccnz .LBB8_1401
; %bb.1400:
	global_load_u8 v3, v[8:9], off
	s_wait_loadcnt 0x0
	v_lshlrev_b32_e32 v6, 25, v3
	v_lshlrev_b16 v3, 8, v3
	s_delay_alu instid0(VALU_DEP_2) | instskip(NEXT) | instid1(VALU_DEP_2)
	v_cmp_gt_u32_e32 vcc_lo, 0x8000000, v6
	v_and_or_b32 v11, 0x7f00, v3, 0.5
	v_lshrrev_b32_e32 v7, 4, v6
	v_bfe_i32 v3, v3, 0, 16
	s_delay_alu instid0(VALU_DEP_3) | instskip(NEXT) | instid1(VALU_DEP_3)
	v_add_f32_e32 v11, -0.5, v11
	v_or_b32_e32 v7, 0x70000000, v7
	s_delay_alu instid0(VALU_DEP_1) | instskip(NEXT) | instid1(VALU_DEP_1)
	v_mul_f32_e32 v7, 0x7800000, v7
	v_cndmask_b32_e32 v6, v7, v11, vcc_lo
	s_delay_alu instid0(VALU_DEP_1) | instskip(NEXT) | instid1(VALU_DEP_1)
	v_and_or_b32 v3, 0x80000000, v3, v6
	v_cvt_f64_f32_e32 v[6:7], v3
.LBB8_1401:
	s_mov_b32 s12, 0
	s_mov_b32 s13, -1
.LBB8_1402:
	s_and_not1_b32 vcc_lo, exec_lo, s12
	s_mov_b32 s12, 0
	s_cbranch_vccnz .LBB8_1413
; %bb.1403:
	s_cmp_gt_i32 s9, 14
	s_cbranch_scc0 .LBB8_1406
; %bb.1404:
	s_cmp_eq_u32 s9, 15
	s_cbranch_scc0 .LBB8_1409
; %bb.1405:
	global_load_u16 v3, v[8:9], off
	s_mov_b32 s0, 0
	s_mov_b32 s13, -1
	s_wait_loadcnt 0x0
	v_lshlrev_b32_e32 v3, 16, v3
	s_delay_alu instid0(VALU_DEP_1)
	v_cvt_f64_f32_e32 v[6:7], v3
	s_branch .LBB8_1411
.LBB8_1406:
	s_mov_b32 s12, -1
	s_branch .LBB8_1410
.LBB8_1407:
	s_or_saveexec_b32 s13, s13
	v_mov_b64_e32 v[6:7], 0x7ff8000020000000
	s_xor_b32 exec_lo, exec_lo, s13
	s_cbranch_execz .LBB8_1388
.LBB8_1408:
	v_cmp_ne_u16_e32 vcc_lo, 0, v3
	v_mov_b64_e32 v[6:7], 0
	s_and_not1_b32 s12, s12, exec_lo
	s_and_b32 s14, vcc_lo, exec_lo
	s_delay_alu instid0(SALU_CYCLE_1)
	s_or_b32 s12, s12, s14
	s_or_b32 exec_lo, exec_lo, s13
	s_and_saveexec_b32 s13, s12
	s_cbranch_execnz .LBB8_1389
	s_branch .LBB8_1390
.LBB8_1409:
	s_mov_b32 s0, -1
.LBB8_1410:
                                        ; implicit-def: $vgpr6_vgpr7
.LBB8_1411:
	s_and_b32 vcc_lo, exec_lo, s12
	s_mov_b32 s12, 0
	s_cbranch_vccz .LBB8_1413
; %bb.1412:
	s_cmp_lg_u32 s9, 11
	s_mov_b32 s12, -1
	s_cselect_b32 s0, -1, 0
.LBB8_1413:
	s_delay_alu instid0(SALU_CYCLE_1)
	s_and_b32 vcc_lo, exec_lo, s0
	s_cbranch_vccnz .LBB8_1484
; %bb.1414:
	s_and_not1_b32 vcc_lo, exec_lo, s12
	s_cbranch_vccnz .LBB8_1416
.LBB8_1415:
	global_load_u8 v3, v[8:9], off
	v_mov_b32_e32 v6, 0
	s_mov_b32 s13, -1
	s_wait_loadcnt 0x0
	v_cmp_ne_u16_e32 vcc_lo, 0, v3
	v_cndmask_b32_e64 v7, 0, 0x3ff00000, vcc_lo
.LBB8_1416:
	s_branch .LBB8_1343
.LBB8_1417:
	s_cmp_lt_i32 s9, 5
	s_cbranch_scc1 .LBB8_1422
; %bb.1418:
	s_cmp_lt_i32 s9, 8
	s_cbranch_scc1 .LBB8_1423
; %bb.1419:
	;; [unrolled: 3-line block ×3, first 2 shown]
	s_cmp_gt_i32 s9, 9
	s_cbranch_scc0 .LBB8_1425
; %bb.1421:
	global_load_b64 v[6:7], v[8:9], off
	s_mov_b32 s0, 0
	s_branch .LBB8_1426
.LBB8_1422:
	s_mov_b32 s0, -1
                                        ; implicit-def: $vgpr6_vgpr7
	s_branch .LBB8_1444
.LBB8_1423:
	s_mov_b32 s0, -1
                                        ; implicit-def: $vgpr6_vgpr7
	s_branch .LBB8_1432
.LBB8_1424:
	s_mov_b32 s0, -1
                                        ; implicit-def: $vgpr6_vgpr7
	s_branch .LBB8_1429
.LBB8_1425:
	s_mov_b32 s0, -1
                                        ; implicit-def: $vgpr6_vgpr7
.LBB8_1426:
	s_delay_alu instid0(SALU_CYCLE_1)
	s_and_not1_b32 vcc_lo, exec_lo, s0
	s_cbranch_vccnz .LBB8_1428
; %bb.1427:
	global_load_b32 v3, v[8:9], off
	s_wait_loadcnt 0x0
	v_cvt_f64_f32_e32 v[6:7], v3
.LBB8_1428:
	s_mov_b32 s0, 0
.LBB8_1429:
	s_delay_alu instid0(SALU_CYCLE_1)
	s_and_not1_b32 vcc_lo, exec_lo, s0
	s_cbranch_vccnz .LBB8_1431
; %bb.1430:
	global_load_b32 v3, v[8:9], off
	s_wait_loadcnt 0x0
	v_cvt_f32_f16_e32 v3, v3
	s_delay_alu instid0(VALU_DEP_1)
	v_cvt_f64_f32_e32 v[6:7], v3
.LBB8_1431:
	s_mov_b32 s0, 0
.LBB8_1432:
	s_delay_alu instid0(SALU_CYCLE_1)
	s_and_not1_b32 vcc_lo, exec_lo, s0
	s_cbranch_vccnz .LBB8_1443
; %bb.1433:
	s_cmp_lt_i32 s9, 6
	s_cbranch_scc1 .LBB8_1436
; %bb.1434:
	s_cmp_gt_i32 s9, 6
	s_cbranch_scc0 .LBB8_1437
; %bb.1435:
	s_wait_loadcnt 0x0
	global_load_b64 v[6:7], v[8:9], off
	s_mov_b32 s0, 0
	s_branch .LBB8_1438
.LBB8_1436:
	s_mov_b32 s0, -1
                                        ; implicit-def: $vgpr6_vgpr7
	s_branch .LBB8_1441
.LBB8_1437:
	s_mov_b32 s0, -1
                                        ; implicit-def: $vgpr6_vgpr7
.LBB8_1438:
	s_delay_alu instid0(SALU_CYCLE_1)
	s_and_not1_b32 vcc_lo, exec_lo, s0
	s_cbranch_vccnz .LBB8_1440
; %bb.1439:
	global_load_b32 v3, v[8:9], off
	s_wait_loadcnt 0x0
	v_cvt_f64_f32_e32 v[6:7], v3
.LBB8_1440:
	s_mov_b32 s0, 0
.LBB8_1441:
	s_delay_alu instid0(SALU_CYCLE_1)
	s_and_not1_b32 vcc_lo, exec_lo, s0
	s_cbranch_vccnz .LBB8_1443
; %bb.1442:
	global_load_u16 v3, v[8:9], off
	s_wait_loadcnt 0x0
	v_cvt_f32_f16_e32 v3, v3
	s_delay_alu instid0(VALU_DEP_1)
	v_cvt_f64_f32_e32 v[6:7], v3
.LBB8_1443:
	s_mov_b32 s0, 0
.LBB8_1444:
	s_delay_alu instid0(SALU_CYCLE_1)
	s_and_not1_b32 vcc_lo, exec_lo, s0
	s_cbranch_vccnz .LBB8_1464
; %bb.1445:
	s_cmp_lt_i32 s9, 2
	s_cbranch_scc1 .LBB8_1449
; %bb.1446:
	s_cmp_lt_i32 s9, 3
	s_cbranch_scc1 .LBB8_1450
; %bb.1447:
	s_cmp_gt_i32 s9, 3
	s_cbranch_scc0 .LBB8_1451
; %bb.1448:
	s_wait_loadcnt 0x0
	global_load_b64 v[6:7], v[8:9], off
	s_mov_b32 s0, 0
	s_wait_loadcnt 0x0
	v_cvt_f64_i32_e32 v[12:13], v7
	v_cvt_f64_u32_e32 v[6:7], v6
	s_delay_alu instid0(VALU_DEP_2) | instskip(NEXT) | instid1(VALU_DEP_1)
	v_ldexp_f64 v[12:13], v[12:13], 32
	v_add_f64_e32 v[6:7], v[12:13], v[6:7]
	s_branch .LBB8_1452
.LBB8_1449:
	s_mov_b32 s0, -1
                                        ; implicit-def: $vgpr6_vgpr7
	s_branch .LBB8_1458
.LBB8_1450:
	s_mov_b32 s0, -1
                                        ; implicit-def: $vgpr6_vgpr7
	s_branch .LBB8_1455
.LBB8_1451:
	s_mov_b32 s0, -1
                                        ; implicit-def: $vgpr6_vgpr7
.LBB8_1452:
	s_delay_alu instid0(SALU_CYCLE_1)
	s_and_not1_b32 vcc_lo, exec_lo, s0
	s_cbranch_vccnz .LBB8_1454
; %bb.1453:
	global_load_b32 v3, v[8:9], off
	s_wait_loadcnt 0x0
	v_cvt_f64_i32_e32 v[6:7], v3
.LBB8_1454:
	s_mov_b32 s0, 0
.LBB8_1455:
	s_delay_alu instid0(SALU_CYCLE_1)
	s_and_not1_b32 vcc_lo, exec_lo, s0
	s_cbranch_vccnz .LBB8_1457
; %bb.1456:
	global_load_i16 v3, v[8:9], off
	s_wait_loadcnt 0x0
	v_cvt_f64_i32_e32 v[6:7], v3
.LBB8_1457:
	s_mov_b32 s0, 0
.LBB8_1458:
	s_delay_alu instid0(SALU_CYCLE_1)
	s_and_not1_b32 vcc_lo, exec_lo, s0
	s_cbranch_vccnz .LBB8_1464
; %bb.1459:
	s_cmp_gt_i32 s9, 0
	s_mov_b32 s0, 0
	s_cbranch_scc0 .LBB8_1461
; %bb.1460:
	global_load_i8 v3, v[8:9], off
	s_wait_loadcnt 0x0
	v_cvt_f64_i32_e32 v[6:7], v3
	s_branch .LBB8_1462
.LBB8_1461:
	s_mov_b32 s0, -1
                                        ; implicit-def: $vgpr6_vgpr7
.LBB8_1462:
	s_delay_alu instid0(SALU_CYCLE_1)
	s_and_not1_b32 vcc_lo, exec_lo, s0
	s_cbranch_vccnz .LBB8_1464
; %bb.1463:
	global_load_u8 v3, v[8:9], off
	s_wait_loadcnt 0x0
	v_cvt_f64_u32_e32 v[6:7], v3
.LBB8_1464:
.LBB8_1465:
	s_wait_xcnt 0x0
	v_mov_b64_e32 v[8:9], 0x7ff0000000000000
	s_mov_b32 s12, exec_lo
	s_wait_loadcnt 0x0
	s_delay_alu instid0(VALU_DEP_2)
	v_cmpx_neq_f64_e32 0, v[6:7]
	s_cbranch_execz .LBB8_1473
; %bb.1466:
	v_mov_b64_e32 v[8:9], 0x7ff8000000000000
	s_mov_b32 s13, exec_lo
	v_cmpx_ngt_f64_e32 0, v[6:7]
	s_cbranch_execz .LBB8_1472
; %bb.1467:
                                        ; implicit-def: $vgpr8_vgpr9
	s_mov_b32 s0, exec_lo
	v_cmpx_ge_f64_e32 2.0, v[6:7]
	s_xor_b32 s14, exec_lo, s0
	s_cbranch_execz .LBB8_1469
; %bb.1468:
	v_fma_f64 v[8:9], v[6:7], 0.5, -2.0
	s_mov_b64 s[16:17], 0xbc545cb72134d0ef
	v_mul_f64_e32 v[16:17], 0.5, v[6:7]
	s_delay_alu instid0(VALU_DEP_2) | instskip(SKIP_1) | instid1(VALU_DEP_2)
	v_fmaak_f64 v[12:13], s[16:17], v[8:9], 0x3c833362977da589
	s_mov_b64 s[16:17], 0x3fe5555555555555
	v_frexp_mant_f64_e32 v[18:19], v[16:17]
	v_cmp_neq_f64_e64 s0, 0, v[16:17]
	s_delay_alu instid0(VALU_DEP_3) | instskip(NEXT) | instid1(VALU_DEP_1)
	v_fmaak_f64 v[14:15], v[8:9], v[12:13], 0x3c545cb72134d0ef
	v_add_f64_e32 v[14:15], 0xbcb184eb721ebbb4, v[14:15]
	s_delay_alu instid0(VALU_DEP_4) | instskip(SKIP_1) | instid1(VALU_DEP_2)
	v_cmp_gt_f64_e32 vcc_lo, s[16:17], v[18:19]
	s_mov_b64 s[16:17], 0x3fc3ab76bf559e2b
	v_fma_f64 v[12:13], v[8:9], v[14:15], -v[12:13]
	v_cndmask_b32_e64 v3, 0, 1, vcc_lo
	s_delay_alu instid0(VALU_DEP_1) | instskip(SKIP_1) | instid1(VALU_DEP_4)
	v_ldexp_f64 v[18:19], v[18:19], v3
	v_frexp_exp_i32_f64_e32 v3, v[16:17]
	v_add_f64_e32 v[12:13], 0x3cdee6d893f65eba, v[12:13]
	s_delay_alu instid0(VALU_DEP_3) | instskip(SKIP_1) | instid1(VALU_DEP_4)
	v_add_f64_e32 v[20:21], 1.0, v[18:19]
	v_add_f64_e32 v[26:27], -1.0, v[18:19]
	v_subrev_co_ci_u32_e64 v3, null, 0, v3, vcc_lo
	v_cmp_neq_f64_e32 vcc_lo, 0x7ff00000, v[16:17]
	v_fma_f64 v[14:15], v[8:9], v[12:13], -v[14:15]
	v_rcp_f64_e32 v[22:23], v[20:21]
	v_add_f64_e32 v[28:29], -1.0, v[20:21]
	s_delay_alu instid0(VALU_DEP_2) | instskip(NEXT) | instid1(VALU_DEP_2)
	v_add_f64_e32 v[14:15], 0xbd0a5022c297fbeb, v[14:15]
	v_add_f64_e64 v[18:19], v[18:19], -v[28:29]
	s_delay_alu instid0(TRANS32_DEP_1) | instskip(NEXT) | instid1(VALU_DEP_3)
	v_fma_f64 v[24:25], -v[20:21], v[22:23], 1.0
	v_fma_f64 v[12:13], v[8:9], v[14:15], -v[12:13]
	s_delay_alu instid0(VALU_DEP_2) | instskip(NEXT) | instid1(VALU_DEP_2)
	v_fmac_f64_e32 v[22:23], v[24:25], v[22:23]
	v_add_f64_e32 v[12:13], 0x3d359b464b262627, v[12:13]
	s_delay_alu instid0(VALU_DEP_2) | instskip(NEXT) | instid1(VALU_DEP_2)
	v_fma_f64 v[24:25], -v[20:21], v[22:23], 1.0
	v_fma_f64 v[14:15], v[8:9], v[12:13], -v[14:15]
	s_delay_alu instid0(VALU_DEP_2) | instskip(NEXT) | instid1(VALU_DEP_2)
	v_fmac_f64_e32 v[22:23], v[24:25], v[22:23]
	v_add_f64_e32 v[14:15], 0xbd61164c62ee1af0, v[14:15]
	s_delay_alu instid0(VALU_DEP_2) | instskip(NEXT) | instid1(VALU_DEP_2)
	v_mul_f64_e32 v[24:25], v[26:27], v[22:23]
	v_fma_f64 v[12:13], v[8:9], v[14:15], -v[12:13]
	s_delay_alu instid0(VALU_DEP_2) | instskip(NEXT) | instid1(VALU_DEP_2)
	v_mul_f64_e32 v[30:31], v[20:21], v[24:25]
	v_add_f64_e32 v[12:13], 0x3d89fe2fe19bd324, v[12:13]
	s_delay_alu instid0(VALU_DEP_2) | instskip(NEXT) | instid1(VALU_DEP_2)
	v_fma_f64 v[20:21], v[24:25], v[20:21], -v[30:31]
	v_fma_f64 v[14:15], v[8:9], v[12:13], -v[14:15]
	s_delay_alu instid0(VALU_DEP_2) | instskip(NEXT) | instid1(VALU_DEP_2)
	v_fmac_f64_e32 v[20:21], v[24:25], v[18:19]
	v_add_f64_e32 v[14:15], 0xbdb2fc957a946abc, v[14:15]
	s_delay_alu instid0(VALU_DEP_2) | instskip(NEXT) | instid1(VALU_DEP_2)
	v_add_f64_e32 v[18:19], v[30:31], v[20:21]
	v_fma_f64 v[12:13], v[8:9], v[14:15], -v[12:13]
	s_delay_alu instid0(VALU_DEP_2) | instskip(NEXT) | instid1(VALU_DEP_2)
	v_add_f64_e64 v[28:29], v[26:27], -v[18:19]
	v_add_f64_e32 v[12:13], 0x3dda98becc743c10, v[12:13]
	v_add_f64_e64 v[30:31], v[18:19], -v[30:31]
	s_delay_alu instid0(VALU_DEP_3) | instskip(NEXT) | instid1(VALU_DEP_3)
	v_add_f64_e64 v[26:27], v[26:27], -v[28:29]
	v_fma_f64 v[14:15], v[8:9], v[12:13], -v[14:15]
	s_delay_alu instid0(VALU_DEP_3) | instskip(SKIP_1) | instid1(VALU_DEP_4)
	v_add_f64_e64 v[20:21], v[30:31], -v[20:21]
	v_cvt_f64_i32_e32 v[30:31], v3
	v_add_f64_e64 v[18:19], v[26:27], -v[18:19]
	s_delay_alu instid0(VALU_DEP_4) | instskip(NEXT) | instid1(VALU_DEP_3)
	v_add_f64_e32 v[14:15], 0xbe01d4fe13ae9556, v[14:15]
	v_mul_f64_e32 v[32:33], 0x3fe62e42fefa39ef, v[30:31]
	s_delay_alu instid0(VALU_DEP_3) | instskip(NEXT) | instid1(VALU_DEP_3)
	v_add_f64_e32 v[18:19], v[20:21], v[18:19]
	v_fma_f64 v[12:13], v[8:9], v[14:15], -v[12:13]
	s_delay_alu instid0(VALU_DEP_2) | instskip(NEXT) | instid1(VALU_DEP_2)
	v_add_f64_e32 v[18:19], v[28:29], v[18:19]
	v_add_f64_e32 v[12:13], 0x3e26d903a454cb34, v[12:13]
	s_delay_alu instid0(VALU_DEP_2) | instskip(NEXT) | instid1(VALU_DEP_2)
	v_mul_f64_e32 v[18:19], v[22:23], v[18:19]
	v_fma_f64 v[14:15], v[8:9], v[12:13], -v[14:15]
	s_delay_alu instid0(VALU_DEP_2) | instskip(NEXT) | instid1(VALU_DEP_2)
	v_add_f64_e32 v[20:21], v[24:25], v[18:19]
	v_add_f64_e32 v[14:15], 0xbe4beaf68c0b30ab, v[14:15]
	s_delay_alu instid0(VALU_DEP_2) | instskip(NEXT) | instid1(VALU_DEP_2)
	v_mul_f64_e32 v[22:23], v[20:21], v[20:21]
	v_fma_f64 v[12:13], v[8:9], v[14:15], -v[12:13]
	s_delay_alu instid0(VALU_DEP_2) | instskip(NEXT) | instid1(VALU_DEP_2)
	v_fmaak_f64 v[26:27], s[16:17], v[22:23], 0x3fc385386b47b09a
	v_add_f64_e32 v[12:13], 0x3e703b769d4d6435, v[12:13]
	v_mul_f64_e32 v[28:29], v[20:21], v[22:23]
	s_mov_b64 s[16:17], 0x3ca3cee1e6a7fd77
	s_delay_alu instid0(VALU_DEP_3) | instskip(NEXT) | instid1(VALU_DEP_1)
	v_fmaak_f64 v[26:27], v[22:23], v[26:27], 0x3fc7474dd7f4df2e
	v_fmaak_f64 v[26:27], v[22:23], v[26:27], 0x3fcc71c016291751
	s_delay_alu instid0(VALU_DEP_1) | instskip(NEXT) | instid1(VALU_DEP_1)
	v_fmaak_f64 v[26:27], v[22:23], v[26:27], 0x3fd249249b27acf1
	v_fmaak_f64 v[26:27], v[22:23], v[26:27], 0x3fd99999998ef7b6
	v_fma_f64 v[14:15], v[8:9], v[12:13], -v[14:15]
	s_delay_alu instid0(VALU_DEP_2) | instskip(SKIP_2) | instid1(VALU_DEP_3)
	v_fmaak_f64 v[22:23], v[22:23], v[26:27], 0x3fe5555555555780
	v_ldexp_f64 v[26:27], v[20:21], 1
	v_add_f64_e64 v[20:21], v[20:21], -v[24:25]
	v_mul_f64_e32 v[22:23], v[28:29], v[22:23]
	v_fma_f64 v[28:29], v[6:7], v[6:7], -2.0
	v_add_f64_e32 v[14:15], 0xbe91ec638f227f8d, v[14:15]
	s_delay_alu instid0(VALU_DEP_4) | instskip(NEXT) | instid1(VALU_DEP_4)
	v_add_f64_e64 v[18:19], v[18:19], -v[20:21]
	v_add_f64_e32 v[24:25], v[26:27], v[22:23]
	s_delay_alu instid0(VALU_DEP_3) | instskip(NEXT) | instid1(VALU_DEP_3)
	v_fma_f64 v[12:13], v[8:9], v[14:15], -v[12:13]
	v_ldexp_f64 v[18:19], v[18:19], 1
	s_delay_alu instid0(VALU_DEP_3) | instskip(SKIP_2) | instid1(VALU_DEP_1)
	v_add_f64_e64 v[20:21], v[24:25], -v[26:27]
	v_fmaak_f64 v[26:27], s[16:17], v[28:29], 0x3d27fb0ac384c2aa
	s_mov_b64 s[16:17], 0x3fe62e42fefa39ef
	v_fmaak_f64 v[34:35], v[28:29], v[26:27], 0xbca3cee1e6a7fd77
	v_add_f64_e32 v[12:13], 0x3eb2bf24978cf4ac, v[12:13]
	s_delay_alu instid0(VALU_DEP_4) | instskip(NEXT) | instid1(VALU_DEP_3)
	v_add_f64_e64 v[20:21], v[22:23], -v[20:21]
	v_add_f64_e32 v[22:23], 0x3da6c25c47512144, v[34:35]
	v_fma_f64 v[34:35], v[30:31], s[16:17], -v[32:33]
	s_mov_b64 s[16:17], 0x3e5ade156a5dcb37
	s_delay_alu instid0(VALU_DEP_4) | instskip(NEXT) | instid1(VALU_DEP_4)
	v_fma_f64 v[14:15], v[8:9], v[12:13], -v[14:15]
	v_add_f64_e32 v[18:19], v[18:19], v[20:21]
	s_delay_alu instid0(VALU_DEP_4) | instskip(NEXT) | instid1(VALU_DEP_4)
	v_fma_f64 v[20:21], v[28:29], v[22:23], -v[26:27]
	v_fmamk_f64 v[26:27], v[30:31], 0x3c7abc9e3b39803f, v[34:35]
	s_delay_alu instid0(VALU_DEP_1) | instskip(SKIP_3) | instid1(VALU_DEP_4)
	v_add_f64_e32 v[34:35], v[32:33], v[26:27]
	v_add_f64_e32 v[14:15], 0xbed2866fcba56427, v[14:15]
	;; [unrolled: 1-line block ×4, first 2 shown]
	v_add_f64_e64 v[32:33], v[34:35], -v[32:33]
	s_delay_alu instid0(VALU_DEP_4) | instskip(NEXT) | instid1(VALU_DEP_4)
	v_fma_f64 v[12:13], v[8:9], v[14:15], -v[12:13]
	v_add_f64_e32 v[36:37], v[34:35], v[30:31]
	s_delay_alu instid0(VALU_DEP_4) | instskip(SKIP_1) | instid1(VALU_DEP_4)
	v_fma_f64 v[22:23], v[28:29], v[20:21], -v[22:23]
	v_add_f64_e64 v[24:25], v[30:31], -v[24:25]
	v_add_f64_e32 v[12:13], 0x3ef13f58be9a2859, v[12:13]
	s_delay_alu instid0(VALU_DEP_4) | instskip(NEXT) | instid1(VALU_DEP_4)
	v_add_f64_e64 v[38:39], v[36:37], -v[34:35]
	v_add_f64_e32 v[22:23], 0x3e9102bce7f95efc, v[22:23]
	s_delay_alu instid0(VALU_DEP_4)
	v_add_f64_e64 v[18:19], v[18:19], -v[24:25]
	v_add_f64_e64 v[24:25], v[26:27], -v[32:33]
	v_mul_f64_e32 v[32:33], 0x3ff71547652b82fe, v[6:7]
	v_fma_f64 v[14:15], v[8:9], v[12:13], -v[14:15]
	v_add_f64_e64 v[40:41], v[36:37], -v[38:39]
	v_fma_f64 v[20:21], v[28:29], v[22:23], -v[20:21]
	v_add_f64_e64 v[30:31], v[30:31], -v[38:39]
	s_delay_alu instid0(VALU_DEP_4) | instskip(NEXT) | instid1(VALU_DEP_4)
	v_add_f64_e32 v[14:15], 0xbf0e2b2659c41d5a, v[14:15]
	v_add_f64_e64 v[26:27], v[34:35], -v[40:41]
	s_delay_alu instid0(VALU_DEP_4) | instskip(SKIP_1) | instid1(VALU_DEP_4)
	v_add_f64_e32 v[20:21], 0x3ef7f900fe8cfca0, v[20:21]
	v_add_f64_e32 v[34:35], v[24:25], v[18:19]
	v_fma_f64 v[12:13], v[8:9], v[14:15], -v[12:13]
	s_delay_alu instid0(VALU_DEP_4) | instskip(NEXT) | instid1(VALU_DEP_4)
	v_add_f64_e32 v[26:27], v[30:31], v[26:27]
	v_fma_f64 v[22:23], v[28:29], v[20:21], -v[22:23]
	v_rndne_f64_e32 v[30:31], v[32:33]
	v_add_f64_e64 v[32:33], v[34:35], -v[24:25]
	v_add_f64_e32 v[12:13], 0x3f28b51b74107cab, v[12:13]
	v_add_f64_e32 v[26:27], v[34:35], v[26:27]
	;; [unrolled: 1-line block ×3, first 2 shown]
	v_fmamk_f64 v[6:7], v[30:31], 0xbfe62e42fefa39ef, v[6:7]
	v_add_f64_e64 v[34:35], v[34:35], -v[32:33]
	v_add_f64_e64 v[18:19], v[18:19], -v[32:33]
	v_cvt_i32_f64_e32 v3, v[30:31]
	s_delay_alu instid0(VALU_DEP_4) | instskip(NEXT) | instid1(VALU_DEP_1)
	v_fmamk_f64 v[6:7], v[30:31], 0xbc7abc9e3b39803f, v[6:7]
	v_fmaak_f64 v[40:41], s[16:17], v[6:7], 0x3e928af3fca7ab0c
	s_delay_alu instid0(VALU_DEP_1) | instskip(SKIP_1) | instid1(VALU_DEP_2)
	v_fmaak_f64 v[40:41], v[6:7], v[40:41], 0x3ec71dee623fde64
	v_fma_f64 v[14:15], v[8:9], v[12:13], -v[14:15]
	v_fmaak_f64 v[40:41], v[6:7], v[40:41], 0x3efa01997c89e6b0
	v_add_f64_e32 v[38:39], v[36:37], v[26:27]
	v_fma_f64 v[20:21], v[28:29], v[22:23], -v[20:21]
	v_add_f64_e64 v[24:25], v[24:25], -v[34:35]
	s_delay_alu instid0(VALU_DEP_4) | instskip(NEXT) | instid1(VALU_DEP_1)
	v_fmaak_f64 v[40:41], v[6:7], v[40:41], 0x3f2a01a014761f6e
	v_fmaak_f64 v[34:35], v[6:7], v[40:41], 0x3f56c16c1852b7b0
	v_add_f64_e32 v[14:15], 0xbf42e2fd1f15eb52, v[14:15]
	v_add_f64_e64 v[32:33], v[38:39], -v[36:37]
	v_add_f64_e32 v[20:21], 0x3fa26bf6554a9085, v[20:21]
	v_add_f64_e32 v[18:19], v[18:19], v[24:25]
	s_delay_alu instid0(VALU_DEP_4) | instskip(NEXT) | instid1(VALU_DEP_4)
	v_fma_f64 v[12:13], v[8:9], v[14:15], -v[12:13]
	v_add_f64_e64 v[24:25], v[26:27], -v[32:33]
	s_delay_alu instid0(VALU_DEP_4) | instskip(NEXT) | instid1(VALU_DEP_3)
	v_fma_f64 v[22:23], v[28:29], v[20:21], -v[22:23]
	v_add_f64_e32 v[12:13], 0x3f5adc758a12100e, v[12:13]
	s_delay_alu instid0(VALU_DEP_3) | instskip(NEXT) | instid1(VALU_DEP_3)
	v_add_f64_e32 v[18:19], v[18:19], v[24:25]
	v_add_f64_e32 v[22:23], 0x3fd608d881213db9, v[22:23]
	s_delay_alu instid0(VALU_DEP_3) | instskip(NEXT) | instid1(VALU_DEP_1)
	v_fma_f64 v[14:15], v[8:9], v[12:13], -v[14:15]
	v_add_f64_e32 v[14:15], 0xbf71b65e201aa849, v[14:15]
	s_delay_alu instid0(VALU_DEP_1) | instskip(NEXT) | instid1(VALU_DEP_1)
	v_fma_f64 v[12:13], v[8:9], v[14:15], -v[12:13]
	v_add_f64_e32 v[12:13], 0x3f859961f3dde3dd, v[12:13]
	s_delay_alu instid0(VALU_DEP_1) | instskip(NEXT) | instid1(VALU_DEP_1)
	;; [unrolled: 3-line block ×6, first 2 shown]
	v_fma_f64 v[14:15], v[8:9], v[12:13], -v[14:15]
	v_add_f64_e32 v[14:15], 0xbfd37febc057cd8d, v[14:15]
	s_delay_alu instid0(VALU_DEP_1) | instskip(SKIP_1) | instid1(VALU_DEP_1)
	v_fma_f64 v[8:9], v[8:9], v[14:15], -v[12:13]
	v_fmaak_f64 v[14:15], v[6:7], v[34:35], 0x3f81111111122322
	v_fmaak_f64 v[14:15], v[6:7], v[14:15], 0x3fa55555555502a1
	s_delay_alu instid0(VALU_DEP_1) | instskip(NEXT) | instid1(VALU_DEP_1)
	v_fmaak_f64 v[14:15], v[6:7], v[14:15], 0x3fc5555555555511
	v_fmaak_f64 v[14:15], v[6:7], v[14:15], 0x3fe000000000000b
	s_delay_alu instid0(VALU_DEP_1) | instskip(SKIP_1) | instid1(VALU_DEP_2)
	v_fma_f64 v[14:15], v[6:7], v[14:15], 1.0
	v_add_f64_e32 v[8:9], 0x3fe5a84e9035a22a, v[8:9]
	v_fma_f64 v[6:7], v[6:7], v[14:15], 1.0
	v_fma_f64 v[14:15], v[28:29], v[22:23], -v[20:21]
	s_delay_alu instid0(VALU_DEP_3) | instskip(SKIP_1) | instid1(VALU_DEP_4)
	v_add_f64_e64 v[8:9], v[8:9], -v[12:13]
	v_add_f64_e32 v[12:13], v[38:39], v[18:19]
	v_ldexp_f64 v[6:7], v[6:7], v3
	s_delay_alu instid0(VALU_DEP_4) | instskip(NEXT) | instid1(VALU_DEP_4)
	v_add_f64_e32 v[14:15], 0xbfe12166e9d2f61f, v[14:15]
	v_mul_f64_e32 v[8:9], 0.5, v[8:9]
	s_delay_alu instid0(VALU_DEP_4) | instskip(SKIP_2) | instid1(VALU_DEP_2)
	v_cndmask_b32_e32 v3, 0x7ff00000, v13, vcc_lo
	s_and_b32 vcc_lo, s0, vcc_lo
	v_cndmask_b32_e32 v12, 0, v12, vcc_lo
	v_cndmask_b32_e64 v13, 0xfff00000, v3, s0
	v_add_f64_e64 v[14:15], v[14:15], -v[20:21]
	v_mul_f64_e32 v[8:9], v[6:7], v[8:9]
	s_delay_alu instid0(VALU_DEP_1) | instskip(NEXT) | instid1(VALU_DEP_1)
	v_mul_f64_e32 v[8:9], v[12:13], v[8:9]
	v_fma_f64 v[8:9], v[14:15], 0.5, -v[8:9]
	s_delay_alu instid0(VALU_DEP_1)
	v_mul_f64_e32 v[8:9], v[6:7], v[8:9]
                                        ; implicit-def: $vgpr6_vgpr7
.LBB8_1469:
	s_and_not1_saveexec_b32 s0, s14
	s_cbranch_execz .LBB8_1471
; %bb.1470:
	v_div_scale_f64 v[8:9], null, v[6:7], v[6:7], 0x40200000
	v_div_scale_f64 v[16:17], vcc_lo, 0x40200000, v[6:7], 0x40200000
	s_mov_b64 s[14:15], 0x3c5871a5cf8c9ee1
	v_rcp_f64_e32 v[12:13], v[8:9]
	v_nop
	s_delay_alu instid0(TRANS32_DEP_1) | instskip(NEXT) | instid1(VALU_DEP_1)
	v_fma_f64 v[14:15], -v[8:9], v[12:13], 1.0
	v_fmac_f64_e32 v[12:13], v[12:13], v[14:15]
	s_delay_alu instid0(VALU_DEP_1) | instskip(NEXT) | instid1(VALU_DEP_1)
	v_fma_f64 v[14:15], -v[8:9], v[12:13], 1.0
	v_fmac_f64_e32 v[12:13], v[12:13], v[14:15]
	s_delay_alu instid0(VALU_DEP_1) | instskip(NEXT) | instid1(VALU_DEP_1)
	v_mul_f64_e32 v[14:15], v[16:17], v[12:13]
	v_fma_f64 v[8:9], -v[8:9], v[14:15], v[16:17]
	s_delay_alu instid0(VALU_DEP_1) | instskip(SKIP_1) | instid1(VALU_DEP_2)
	v_div_fmas_f64 v[8:9], v[8:9], v[12:13], v[14:15]
	v_cmp_gt_f64_e32 vcc_lo, 0x10000000, v[6:7]
	v_div_fixup_f64 v[8:9], v[8:9], v[6:7], 0x40200000
	v_cndmask_b32_e64 v3, 0, 0x100, vcc_lo
	s_delay_alu instid0(VALU_DEP_1) | instskip(SKIP_1) | instid1(VALU_DEP_2)
	v_ldexp_f64 v[6:7], v[6:7], v3
	v_cndmask_b32_e64 v3, 0, 0xffffff80, vcc_lo
	v_cmp_class_f64_e64 vcc_lo, v[6:7], 0x260
	v_add_f64_e32 v[8:9], -2.0, v[8:9]
	v_rsq_f64_e32 v[16:17], v[6:7]
	s_delay_alu instid0(VALU_DEP_1) | instskip(NEXT) | instid1(TRANS32_DEP_1)
	v_fmaak_f64 v[12:13], s[14:15], v[8:9], 0xbc72fecc93812603
	v_mul_f64_e32 v[18:19], v[6:7], v[16:17]
	s_delay_alu instid0(VALU_DEP_2) | instskip(SKIP_1) | instid1(VALU_DEP_2)
	v_fmaak_f64 v[14:15], v[8:9], v[12:13], 0xbc5871a5cf8c9ee1
	v_mul_f64_e32 v[16:17], 0.5, v[16:17]
	v_add_f64_e32 v[14:15], 0x3c8e092e41a8cdf4, v[14:15]
	s_delay_alu instid0(VALU_DEP_2) | instskip(NEXT) | instid1(VALU_DEP_2)
	v_fma_f64 v[20:21], -v[16:17], v[18:19], 0.5
	v_fma_f64 v[12:13], v[8:9], v[14:15], -v[12:13]
	s_delay_alu instid0(VALU_DEP_2) | instskip(SKIP_1) | instid1(VALU_DEP_3)
	v_fmac_f64_e32 v[18:19], v[18:19], v[20:21]
	v_fmac_f64_e32 v[16:17], v[16:17], v[20:21]
	v_add_f64_e32 v[12:13], 0xbca82f9474d77641, v[12:13]
	s_delay_alu instid0(VALU_DEP_3) | instskip(NEXT) | instid1(VALU_DEP_2)
	v_fma_f64 v[20:21], -v[18:19], v[18:19], v[6:7]
	v_fma_f64 v[14:15], v[8:9], v[12:13], -v[14:15]
	s_delay_alu instid0(VALU_DEP_2) | instskip(NEXT) | instid1(VALU_DEP_2)
	v_fmac_f64_e32 v[18:19], v[20:21], v[16:17]
	v_add_f64_e32 v[14:15], 0x3cc3dbf96b94785b, v[14:15]
	s_delay_alu instid0(VALU_DEP_1) | instskip(NEXT) | instid1(VALU_DEP_1)
	v_fma_f64 v[12:13], v[8:9], v[14:15], -v[12:13]
	v_add_f64_e32 v[12:13], 0xbce0a690ecfadd36, v[12:13]
	s_delay_alu instid0(VALU_DEP_1) | instskip(NEXT) | instid1(VALU_DEP_1)
	v_fma_f64 v[14:15], v[8:9], v[12:13], -v[14:15]
	;; [unrolled: 3-line block ×19, first 2 shown]
	v_add_f64_e32 v[12:13], 0xbfa019f72d4ff71e, v[12:13]
	s_delay_alu instid0(VALU_DEP_1) | instskip(SKIP_1) | instid1(VALU_DEP_2)
	v_fma_f64 v[8:9], v[8:9], v[12:13], -v[14:15]
	v_fma_f64 v[12:13], -v[18:19], v[18:19], v[6:7]
	v_add_f64_e32 v[8:9], 0x400385bd9f4e6907, v[8:9]
	s_delay_alu instid0(VALU_DEP_2) | instskip(NEXT) | instid1(VALU_DEP_2)
	v_fmac_f64_e32 v[18:19], v[12:13], v[16:17]
	v_add_f64_e64 v[8:9], v[8:9], -v[14:15]
	s_delay_alu instid0(VALU_DEP_2) | instskip(NEXT) | instid1(VALU_DEP_1)
	v_ldexp_f64 v[12:13], v[18:19], v3
	v_dual_mul_f64 v[8:9], 0.5, v[8:9] :: v_dual_cndmask_b32 v7, v13, v7, vcc_lo
	s_delay_alu instid0(VALU_DEP_2) | instskip(NEXT) | instid1(VALU_DEP_1)
	v_cndmask_b32_e32 v6, v12, v6, vcc_lo
	v_div_scale_f64 v[12:13], null, v[6:7], v[6:7], v[8:9]
	s_delay_alu instid0(VALU_DEP_1) | instskip(SKIP_1) | instid1(TRANS32_DEP_1)
	v_rcp_f64_e32 v[14:15], v[12:13]
	v_nop
	v_fma_f64 v[16:17], -v[12:13], v[14:15], 1.0
	s_delay_alu instid0(VALU_DEP_1) | instskip(NEXT) | instid1(VALU_DEP_1)
	v_fmac_f64_e32 v[14:15], v[14:15], v[16:17]
	v_fma_f64 v[16:17], -v[12:13], v[14:15], 1.0
	s_delay_alu instid0(VALU_DEP_1) | instskip(SKIP_1) | instid1(VALU_DEP_1)
	v_fmac_f64_e32 v[14:15], v[14:15], v[16:17]
	v_div_scale_f64 v[16:17], vcc_lo, v[8:9], v[6:7], v[8:9]
	v_mul_f64_e32 v[18:19], v[16:17], v[14:15]
	s_delay_alu instid0(VALU_DEP_1) | instskip(NEXT) | instid1(VALU_DEP_1)
	v_fma_f64 v[12:13], -v[12:13], v[18:19], v[16:17]
	v_div_fmas_f64 v[12:13], v[12:13], v[14:15], v[18:19]
	s_delay_alu instid0(VALU_DEP_1)
	v_div_fixup_f64 v[8:9], v[12:13], v[6:7], v[8:9]
.LBB8_1471:
	s_or_b32 exec_lo, exec_lo, s0
.LBB8_1472:
	s_delay_alu instid0(SALU_CYCLE_1)
	s_or_b32 exec_lo, exec_lo, s13
.LBB8_1473:
	s_delay_alu instid0(SALU_CYCLE_1) | instskip(SKIP_2) | instid1(VALU_DEP_1)
	s_or_b32 exec_lo, exec_lo, s12
	v_add_nc_u32_e32 v2, s3, v2
	s_cmp_lt_i32 s9, 11
	v_ashrrev_i32_e32 v3, 31, v2
	s_delay_alu instid0(VALU_DEP_1)
	v_add_nc_u64_e32 v[6:7], s[6:7], v[2:3]
	s_cbranch_scc1 .LBB8_1480
; %bb.1474:
	s_cmp_gt_i32 s9, 25
	s_mov_b32 s3, 0
	s_cbranch_scc0 .LBB8_1481
; %bb.1475:
	s_cmp_gt_i32 s9, 28
	s_cbranch_scc0 .LBB8_1482
; %bb.1476:
	s_cmp_gt_i32 s9, 43
	;; [unrolled: 3-line block ×3, first 2 shown]
	s_cbranch_scc0 .LBB8_1485
; %bb.1478:
	s_cmp_eq_u32 s9, 46
	s_mov_b32 s7, 0
	s_cbranch_scc0 .LBB8_1486
; %bb.1479:
	global_load_b32 v2, v[6:7], off
	s_mov_b32 s0, 0
	s_mov_b32 s6, -1
	s_wait_loadcnt 0x0
	v_lshlrev_b32_e32 v2, 16, v2
	s_delay_alu instid0(VALU_DEP_1)
	v_cvt_f64_f32_e32 v[2:3], v2
	s_branch .LBB8_1488
.LBB8_1480:
	s_mov_b32 s0, -1
	s_mov_b32 s6, 0
                                        ; implicit-def: $vgpr2_vgpr3
	s_branch .LBB8_1554
.LBB8_1481:
	s_mov_b32 s7, -1
	s_mov_b32 s6, 0
	s_mov_b32 s0, 0
                                        ; implicit-def: $vgpr2_vgpr3
	s_branch .LBB8_1517
.LBB8_1482:
	s_mov_b32 s7, -1
	s_mov_b32 s6, 0
	s_mov_b32 s0, 0
                                        ; implicit-def: $vgpr2_vgpr3
	s_branch .LBB8_1498
.LBB8_1483:
	s_mov_b32 s7, -1
	s_mov_b32 s6, 0
	s_mov_b32 s0, 0
                                        ; implicit-def: $vgpr2_vgpr3
	s_branch .LBB8_1493
.LBB8_1484:
	s_or_b32 s1, s1, exec_lo
	s_trap 2
	s_cbranch_execz .LBB8_1415
	s_branch .LBB8_1416
.LBB8_1485:
	s_mov_b32 s7, -1
	s_mov_b32 s6, 0
	s_mov_b32 s0, 0
	s_branch .LBB8_1487
.LBB8_1486:
	s_mov_b32 s0, -1
	s_mov_b32 s6, 0
.LBB8_1487:
                                        ; implicit-def: $vgpr2_vgpr3
.LBB8_1488:
	s_and_b32 vcc_lo, exec_lo, s7
	s_cbranch_vccz .LBB8_1492
; %bb.1489:
	s_cmp_eq_u32 s9, 44
	s_cbranch_scc0 .LBB8_1491
; %bb.1490:
	global_load_u8 v11, v[6:7], off
	s_mov_b32 s0, 0
	s_mov_b32 s6, -1
	s_wait_loadcnt 0x0
	v_lshlrev_b32_e32 v2, 23, v11
	v_cmp_ne_u32_e32 vcc_lo, 0xff, v11
	s_delay_alu instid0(VALU_DEP_2) | instskip(NEXT) | instid1(VALU_DEP_1)
	v_cvt_f64_f32_e32 v[2:3], v2
	v_cndmask_b32_e32 v2, 0x20000000, v2, vcc_lo
	s_delay_alu instid0(VALU_DEP_2) | instskip(SKIP_1) | instid1(VALU_DEP_2)
	v_cndmask_b32_e32 v3, 0x7ff80000, v3, vcc_lo
	v_cmp_ne_u32_e32 vcc_lo, 0, v11
	v_cndmask_b32_e32 v3, 0x38000000, v3, vcc_lo
	s_delay_alu instid0(VALU_DEP_4)
	v_cndmask_b32_e32 v2, 0, v2, vcc_lo
	s_branch .LBB8_1492
.LBB8_1491:
	s_mov_b32 s0, -1
                                        ; implicit-def: $vgpr2_vgpr3
.LBB8_1492:
	s_mov_b32 s7, 0
.LBB8_1493:
	s_delay_alu instid0(SALU_CYCLE_1)
	s_and_b32 vcc_lo, exec_lo, s7
	s_cbranch_vccz .LBB8_1497
; %bb.1494:
	s_cmp_eq_u32 s9, 29
	s_cbranch_scc0 .LBB8_1496
; %bb.1495:
	global_load_b64 v[2:3], v[6:7], off
	s_mov_b32 s0, 0
	s_mov_b32 s6, -1
	s_mov_b32 s7, 0
	s_wait_loadcnt 0x0
	v_cvt_f64_u32_e32 v[12:13], v3
	v_cvt_f64_u32_e32 v[2:3], v2
	s_delay_alu instid0(VALU_DEP_2) | instskip(NEXT) | instid1(VALU_DEP_1)
	v_ldexp_f64 v[12:13], v[12:13], 32
	v_add_f64_e32 v[2:3], v[12:13], v[2:3]
	s_branch .LBB8_1498
.LBB8_1496:
	s_mov_b32 s0, -1
                                        ; implicit-def: $vgpr2_vgpr3
.LBB8_1497:
	s_mov_b32 s7, 0
.LBB8_1498:
	s_delay_alu instid0(SALU_CYCLE_1)
	s_and_b32 vcc_lo, exec_lo, s7
	s_cbranch_vccz .LBB8_1516
; %bb.1499:
	s_cmp_lt_i32 s9, 27
	s_cbranch_scc1 .LBB8_1502
; %bb.1500:
	s_cmp_gt_i32 s9, 27
	s_cbranch_scc0 .LBB8_1503
; %bb.1501:
	global_load_b32 v2, v[6:7], off
	s_mov_b32 s6, 0
	s_wait_loadcnt 0x0
	v_cvt_f64_u32_e32 v[2:3], v2
	s_branch .LBB8_1504
.LBB8_1502:
	s_mov_b32 s6, -1
                                        ; implicit-def: $vgpr2_vgpr3
	s_branch .LBB8_1507
.LBB8_1503:
	s_mov_b32 s6, -1
                                        ; implicit-def: $vgpr2_vgpr3
.LBB8_1504:
	s_delay_alu instid0(SALU_CYCLE_1)
	s_and_not1_b32 vcc_lo, exec_lo, s6
	s_cbranch_vccnz .LBB8_1506
; %bb.1505:
	global_load_u16 v2, v[6:7], off
	s_wait_loadcnt 0x0
	v_cvt_f64_u32_e32 v[2:3], v2
.LBB8_1506:
	s_mov_b32 s6, 0
.LBB8_1507:
	s_delay_alu instid0(SALU_CYCLE_1)
	s_and_not1_b32 vcc_lo, exec_lo, s6
	s_cbranch_vccnz .LBB8_1515
; %bb.1508:
	global_load_u8 v11, v[6:7], off
	s_mov_b32 s6, 0
	s_mov_b32 s7, exec_lo
	s_wait_loadcnt 0x0
	v_cmpx_lt_i16_e32 0x7f, v11
	s_xor_b32 s7, exec_lo, s7
	s_cbranch_execz .LBB8_1529
; %bb.1509:
	s_mov_b32 s6, -1
	s_mov_b32 s12, exec_lo
	v_cmpx_eq_u16_e32 0x80, v11
; %bb.1510:
	s_xor_b32 s6, exec_lo, -1
; %bb.1511:
	s_or_b32 exec_lo, exec_lo, s12
	s_delay_alu instid0(SALU_CYCLE_1)
	s_and_b32 s6, s6, exec_lo
	s_or_saveexec_b32 s7, s7
	v_mov_b64_e32 v[2:3], 0x7ff8000020000000
	s_xor_b32 exec_lo, exec_lo, s7
	s_cbranch_execnz .LBB8_1530
.LBB8_1512:
	s_or_b32 exec_lo, exec_lo, s7
	s_and_saveexec_b32 s7, s6
	s_cbranch_execz .LBB8_1514
.LBB8_1513:
	v_and_b32_e32 v2, 0xffff, v11
	s_delay_alu instid0(VALU_DEP_1) | instskip(SKIP_1) | instid1(VALU_DEP_2)
	v_and_b32_e32 v3, 7, v2
	v_bfe_u32 v14, v2, 3, 4
	v_clz_i32_u32_e32 v12, v3
	s_delay_alu instid0(VALU_DEP_2) | instskip(NEXT) | instid1(VALU_DEP_2)
	v_cmp_eq_u32_e32 vcc_lo, 0, v14
	v_min_u32_e32 v12, 32, v12
	s_delay_alu instid0(VALU_DEP_1) | instskip(NEXT) | instid1(VALU_DEP_1)
	v_subrev_nc_u32_e32 v13, 28, v12
	v_dual_lshlrev_b32 v2, v13, v2 :: v_dual_sub_nc_u32 v12, 29, v12
	s_delay_alu instid0(VALU_DEP_1) | instskip(NEXT) | instid1(VALU_DEP_1)
	v_dual_lshlrev_b32 v11, 24, v11 :: v_dual_bitop2_b32 v2, 7, v2 bitop3:0x40
	v_dual_cndmask_b32 v12, v14, v12, vcc_lo :: v_dual_cndmask_b32 v2, v3, v2, vcc_lo
	s_delay_alu instid0(VALU_DEP_2) | instskip(NEXT) | instid1(VALU_DEP_2)
	v_and_b32_e32 v3, 0x80000000, v11
	v_lshl_add_u32 v11, v12, 23, 0x3b800000
	s_delay_alu instid0(VALU_DEP_3) | instskip(NEXT) | instid1(VALU_DEP_1)
	v_lshlrev_b32_e32 v2, 20, v2
	v_or3_b32 v2, v3, v11, v2
	s_delay_alu instid0(VALU_DEP_1)
	v_cvt_f64_f32_e32 v[2:3], v2
.LBB8_1514:
	s_or_b32 exec_lo, exec_lo, s7
.LBB8_1515:
	s_mov_b32 s6, -1
.LBB8_1516:
	s_mov_b32 s7, 0
.LBB8_1517:
	s_delay_alu instid0(SALU_CYCLE_1)
	s_and_b32 vcc_lo, exec_lo, s7
	s_cbranch_vccz .LBB8_1550
; %bb.1518:
	s_cmp_gt_i32 s9, 22
	s_cbranch_scc0 .LBB8_1528
; %bb.1519:
	s_cmp_lt_i32 s9, 24
	s_cbranch_scc1 .LBB8_1531
; %bb.1520:
	s_cmp_gt_i32 s9, 24
	s_cbranch_scc0 .LBB8_1532
; %bb.1521:
	global_load_u8 v11, v[6:7], off
	s_mov_b32 s6, exec_lo
	s_wait_loadcnt 0x0
	v_cmpx_lt_i16_e32 0x7f, v11
	s_xor_b32 s6, exec_lo, s6
	s_cbranch_execz .LBB8_1544
; %bb.1522:
	s_mov_b32 s3, -1
	s_mov_b32 s7, exec_lo
	v_cmpx_eq_u16_e32 0x80, v11
; %bb.1523:
	s_xor_b32 s3, exec_lo, -1
; %bb.1524:
	s_or_b32 exec_lo, exec_lo, s7
	s_delay_alu instid0(SALU_CYCLE_1)
	s_and_b32 s3, s3, exec_lo
	s_or_saveexec_b32 s6, s6
	v_mov_b64_e32 v[2:3], 0x7ff8000020000000
	s_xor_b32 exec_lo, exec_lo, s6
	s_cbranch_execnz .LBB8_1545
.LBB8_1525:
	s_or_b32 exec_lo, exec_lo, s6
	s_and_saveexec_b32 s6, s3
	s_cbranch_execz .LBB8_1527
.LBB8_1526:
	v_and_b32_e32 v2, 0xffff, v11
	s_delay_alu instid0(VALU_DEP_1) | instskip(SKIP_1) | instid1(VALU_DEP_2)
	v_and_b32_e32 v3, 3, v2
	v_bfe_u32 v14, v2, 2, 5
	v_clz_i32_u32_e32 v12, v3
	s_delay_alu instid0(VALU_DEP_2) | instskip(NEXT) | instid1(VALU_DEP_2)
	v_cmp_eq_u32_e32 vcc_lo, 0, v14
	v_min_u32_e32 v12, 32, v12
	s_delay_alu instid0(VALU_DEP_1) | instskip(NEXT) | instid1(VALU_DEP_1)
	v_subrev_nc_u32_e32 v13, 29, v12
	v_dual_lshlrev_b32 v2, v13, v2 :: v_dual_sub_nc_u32 v12, 30, v12
	s_delay_alu instid0(VALU_DEP_1) | instskip(NEXT) | instid1(VALU_DEP_1)
	v_dual_lshlrev_b32 v11, 24, v11 :: v_dual_bitop2_b32 v2, 3, v2 bitop3:0x40
	v_dual_cndmask_b32 v12, v14, v12, vcc_lo :: v_dual_cndmask_b32 v2, v3, v2, vcc_lo
	s_delay_alu instid0(VALU_DEP_2) | instskip(NEXT) | instid1(VALU_DEP_2)
	v_and_b32_e32 v3, 0x80000000, v11
	v_lshl_add_u32 v11, v12, 23, 0x37800000
	s_delay_alu instid0(VALU_DEP_3) | instskip(NEXT) | instid1(VALU_DEP_1)
	v_lshlrev_b32_e32 v2, 21, v2
	v_or3_b32 v2, v3, v11, v2
	s_delay_alu instid0(VALU_DEP_1)
	v_cvt_f64_f32_e32 v[2:3], v2
.LBB8_1527:
	s_or_b32 exec_lo, exec_lo, s6
	s_mov_b32 s3, 0
	s_branch .LBB8_1533
.LBB8_1528:
	s_mov_b32 s3, -1
                                        ; implicit-def: $vgpr2_vgpr3
	s_branch .LBB8_1539
.LBB8_1529:
	s_or_saveexec_b32 s7, s7
	v_mov_b64_e32 v[2:3], 0x7ff8000020000000
	s_xor_b32 exec_lo, exec_lo, s7
	s_cbranch_execz .LBB8_1512
.LBB8_1530:
	v_cmp_ne_u16_e32 vcc_lo, 0, v11
	v_mov_b64_e32 v[2:3], 0
	s_and_not1_b32 s6, s6, exec_lo
	s_and_b32 s12, vcc_lo, exec_lo
	s_delay_alu instid0(SALU_CYCLE_1)
	s_or_b32 s6, s6, s12
	s_or_b32 exec_lo, exec_lo, s7
	s_and_saveexec_b32 s7, s6
	s_cbranch_execnz .LBB8_1513
	s_branch .LBB8_1514
.LBB8_1531:
	s_mov_b32 s3, -1
                                        ; implicit-def: $vgpr2_vgpr3
	s_branch .LBB8_1536
.LBB8_1532:
	s_mov_b32 s3, -1
                                        ; implicit-def: $vgpr2_vgpr3
.LBB8_1533:
	s_delay_alu instid0(SALU_CYCLE_1)
	s_and_b32 vcc_lo, exec_lo, s3
	s_cbranch_vccz .LBB8_1535
; %bb.1534:
	global_load_u8 v2, v[6:7], off
	s_wait_loadcnt 0x0
	v_lshlrev_b32_e32 v2, 24, v2
	s_delay_alu instid0(VALU_DEP_1) | instskip(NEXT) | instid1(VALU_DEP_1)
	v_and_b32_e32 v3, 0x7f000000, v2
	v_clz_i32_u32_e32 v11, v3
	v_add_nc_u32_e32 v13, 0x1000000, v3
	v_cmp_ne_u32_e32 vcc_lo, 0, v3
	s_delay_alu instid0(VALU_DEP_3) | instskip(NEXT) | instid1(VALU_DEP_1)
	v_min_u32_e32 v11, 32, v11
	v_sub_nc_u32_e64 v11, v11, 4 clamp
	s_delay_alu instid0(VALU_DEP_1) | instskip(NEXT) | instid1(VALU_DEP_1)
	v_lshlrev_b32_e32 v12, v11, v3
	v_dual_lshlrev_b32 v11, 23, v11 :: v_dual_lshrrev_b32 v12, 4, v12
	s_delay_alu instid0(VALU_DEP_1) | instskip(NEXT) | instid1(VALU_DEP_1)
	v_dual_sub_nc_u32 v11, v12, v11 :: v_dual_ashrrev_i32 v12, 8, v13
	v_add_nc_u32_e32 v11, 0x3c000000, v11
	s_delay_alu instid0(VALU_DEP_1) | instskip(NEXT) | instid1(VALU_DEP_1)
	v_and_or_b32 v11, 0x7f800000, v12, v11
	v_cndmask_b32_e32 v3, 0, v11, vcc_lo
	s_delay_alu instid0(VALU_DEP_1) | instskip(NEXT) | instid1(VALU_DEP_1)
	v_and_or_b32 v2, 0x80000000, v2, v3
	v_cvt_f64_f32_e32 v[2:3], v2
.LBB8_1535:
	s_mov_b32 s3, 0
.LBB8_1536:
	s_delay_alu instid0(SALU_CYCLE_1)
	s_and_not1_b32 vcc_lo, exec_lo, s3
	s_cbranch_vccnz .LBB8_1538
; %bb.1537:
	global_load_u8 v2, v[6:7], off
	s_wait_loadcnt 0x0
	v_lshlrev_b32_e32 v3, 25, v2
	v_lshlrev_b16 v2, 8, v2
	s_delay_alu instid0(VALU_DEP_1) | instskip(SKIP_1) | instid1(VALU_DEP_2)
	v_and_or_b32 v12, 0x7f00, v2, 0.5
	v_bfe_i32 v2, v2, 0, 16
	v_dual_add_f32 v12, -0.5, v12 :: v_dual_lshrrev_b32 v11, 4, v3
	v_cmp_gt_u32_e32 vcc_lo, 0x8000000, v3
	s_delay_alu instid0(VALU_DEP_2) | instskip(NEXT) | instid1(VALU_DEP_1)
	v_or_b32_e32 v11, 0x70000000, v11
	v_mul_f32_e32 v11, 0x7800000, v11
	s_delay_alu instid0(VALU_DEP_1) | instskip(NEXT) | instid1(VALU_DEP_1)
	v_cndmask_b32_e32 v3, v11, v12, vcc_lo
	v_and_or_b32 v2, 0x80000000, v2, v3
	s_delay_alu instid0(VALU_DEP_1)
	v_cvt_f64_f32_e32 v[2:3], v2
.LBB8_1538:
	s_mov_b32 s3, 0
	s_mov_b32 s6, -1
.LBB8_1539:
	s_and_not1_b32 vcc_lo, exec_lo, s3
	s_mov_b32 s3, 0
	s_cbranch_vccnz .LBB8_1550
; %bb.1540:
	s_cmp_gt_i32 s9, 14
	s_cbranch_scc0 .LBB8_1543
; %bb.1541:
	s_cmp_eq_u32 s9, 15
	s_cbranch_scc0 .LBB8_1546
; %bb.1542:
	global_load_u16 v2, v[6:7], off
	s_mov_b32 s0, 0
	s_mov_b32 s6, -1
	s_wait_loadcnt 0x0
	v_lshlrev_b32_e32 v2, 16, v2
	s_delay_alu instid0(VALU_DEP_1)
	v_cvt_f64_f32_e32 v[2:3], v2
	s_branch .LBB8_1548
.LBB8_1543:
	s_mov_b32 s3, -1
	s_branch .LBB8_1547
.LBB8_1544:
	s_or_saveexec_b32 s6, s6
	v_mov_b64_e32 v[2:3], 0x7ff8000020000000
	s_xor_b32 exec_lo, exec_lo, s6
	s_cbranch_execz .LBB8_1525
.LBB8_1545:
	v_cmp_ne_u16_e32 vcc_lo, 0, v11
	v_mov_b64_e32 v[2:3], 0
	s_and_not1_b32 s3, s3, exec_lo
	s_and_b32 s7, vcc_lo, exec_lo
	s_delay_alu instid0(SALU_CYCLE_1)
	s_or_b32 s3, s3, s7
	s_or_b32 exec_lo, exec_lo, s6
	s_and_saveexec_b32 s6, s3
	s_cbranch_execnz .LBB8_1526
	s_branch .LBB8_1527
.LBB8_1546:
	s_mov_b32 s0, -1
.LBB8_1547:
                                        ; implicit-def: $vgpr2_vgpr3
.LBB8_1548:
	s_and_b32 vcc_lo, exec_lo, s3
	s_mov_b32 s3, 0
	s_cbranch_vccz .LBB8_1550
; %bb.1549:
	s_cmp_lg_u32 s9, 11
	s_mov_b32 s3, -1
	s_cselect_b32 s0, -1, 0
.LBB8_1550:
	s_delay_alu instid0(SALU_CYCLE_1)
	s_and_b32 vcc_lo, exec_lo, s0
	s_cbranch_vccnz .LBB8_2092
; %bb.1551:
	s_and_not1_b32 vcc_lo, exec_lo, s3
	s_cbranch_vccnz .LBB8_1553
.LBB8_1552:
	global_load_u8 v2, v[6:7], off
	s_mov_b32 s6, -1
	s_wait_loadcnt 0x0
	v_cmp_ne_u16_e32 vcc_lo, 0, v2
	v_mov_b32_e32 v2, 0
	v_cndmask_b32_e64 v3, 0, 0x3ff00000, vcc_lo
.LBB8_1553:
	s_mov_b32 s0, 0
.LBB8_1554:
	s_delay_alu instid0(SALU_CYCLE_1)
	s_and_b32 vcc_lo, exec_lo, s0
	s_cbranch_vccz .LBB8_1603
; %bb.1555:
	s_cmp_lt_i32 s9, 5
	s_cbranch_scc1 .LBB8_1560
; %bb.1556:
	s_cmp_lt_i32 s9, 8
	s_cbranch_scc1 .LBB8_1561
; %bb.1557:
	s_cmp_lt_i32 s9, 9
	s_cbranch_scc1 .LBB8_1562
; %bb.1558:
	s_cmp_gt_i32 s9, 9
	s_cbranch_scc0 .LBB8_1563
; %bb.1559:
	global_load_b64 v[2:3], v[6:7], off
	s_mov_b32 s0, 0
	s_branch .LBB8_1564
.LBB8_1560:
	s_mov_b32 s0, -1
                                        ; implicit-def: $vgpr2_vgpr3
	s_branch .LBB8_1582
.LBB8_1561:
	s_mov_b32 s0, -1
                                        ; implicit-def: $vgpr2_vgpr3
	s_branch .LBB8_1570
.LBB8_1562:
	s_mov_b32 s0, -1
                                        ; implicit-def: $vgpr2_vgpr3
	s_branch .LBB8_1567
.LBB8_1563:
	s_mov_b32 s0, -1
                                        ; implicit-def: $vgpr2_vgpr3
.LBB8_1564:
	s_delay_alu instid0(SALU_CYCLE_1)
	s_and_not1_b32 vcc_lo, exec_lo, s0
	s_cbranch_vccnz .LBB8_1566
; %bb.1565:
	s_wait_loadcnt 0x0
	global_load_b32 v2, v[6:7], off
	s_wait_loadcnt 0x0
	v_cvt_f64_f32_e32 v[2:3], v2
.LBB8_1566:
	s_mov_b32 s0, 0
.LBB8_1567:
	s_delay_alu instid0(SALU_CYCLE_1)
	s_and_not1_b32 vcc_lo, exec_lo, s0
	s_cbranch_vccnz .LBB8_1569
; %bb.1568:
	s_wait_loadcnt 0x0
	global_load_b32 v2, v[6:7], off
	s_wait_loadcnt 0x0
	v_cvt_f32_f16_e32 v2, v2
	s_delay_alu instid0(VALU_DEP_1)
	v_cvt_f64_f32_e32 v[2:3], v2
.LBB8_1569:
	s_mov_b32 s0, 0
.LBB8_1570:
	s_delay_alu instid0(SALU_CYCLE_1)
	s_and_not1_b32 vcc_lo, exec_lo, s0
	s_cbranch_vccnz .LBB8_1581
; %bb.1571:
	s_cmp_lt_i32 s9, 6
	s_cbranch_scc1 .LBB8_1574
; %bb.1572:
	s_cmp_gt_i32 s9, 6
	s_cbranch_scc0 .LBB8_1575
; %bb.1573:
	s_wait_loadcnt 0x0
	global_load_b64 v[2:3], v[6:7], off
	s_mov_b32 s0, 0
	s_branch .LBB8_1576
.LBB8_1574:
	s_mov_b32 s0, -1
                                        ; implicit-def: $vgpr2_vgpr3
	s_branch .LBB8_1579
.LBB8_1575:
	s_mov_b32 s0, -1
                                        ; implicit-def: $vgpr2_vgpr3
.LBB8_1576:
	s_delay_alu instid0(SALU_CYCLE_1)
	s_and_not1_b32 vcc_lo, exec_lo, s0
	s_cbranch_vccnz .LBB8_1578
; %bb.1577:
	s_wait_loadcnt 0x0
	global_load_b32 v2, v[6:7], off
	s_wait_loadcnt 0x0
	v_cvt_f64_f32_e32 v[2:3], v2
.LBB8_1578:
	s_mov_b32 s0, 0
.LBB8_1579:
	s_delay_alu instid0(SALU_CYCLE_1)
	s_and_not1_b32 vcc_lo, exec_lo, s0
	s_cbranch_vccnz .LBB8_1581
; %bb.1580:
	s_wait_loadcnt 0x0
	global_load_u16 v2, v[6:7], off
	s_wait_loadcnt 0x0
	v_cvt_f32_f16_e32 v2, v2
	s_delay_alu instid0(VALU_DEP_1)
	v_cvt_f64_f32_e32 v[2:3], v2
.LBB8_1581:
	s_mov_b32 s0, 0
.LBB8_1582:
	s_delay_alu instid0(SALU_CYCLE_1)
	s_and_not1_b32 vcc_lo, exec_lo, s0
	s_cbranch_vccnz .LBB8_1602
; %bb.1583:
	s_cmp_lt_i32 s9, 2
	s_cbranch_scc1 .LBB8_1587
; %bb.1584:
	s_cmp_lt_i32 s9, 3
	s_cbranch_scc1 .LBB8_1588
; %bb.1585:
	s_cmp_gt_i32 s9, 3
	s_cbranch_scc0 .LBB8_1589
; %bb.1586:
	s_wait_loadcnt 0x0
	global_load_b64 v[2:3], v[6:7], off
	s_mov_b32 s0, 0
	s_wait_loadcnt 0x0
	v_cvt_f64_i32_e32 v[12:13], v3
	v_cvt_f64_u32_e32 v[2:3], v2
	s_delay_alu instid0(VALU_DEP_2) | instskip(NEXT) | instid1(VALU_DEP_1)
	v_ldexp_f64 v[12:13], v[12:13], 32
	v_add_f64_e32 v[2:3], v[12:13], v[2:3]
	s_branch .LBB8_1590
.LBB8_1587:
	s_mov_b32 s0, -1
                                        ; implicit-def: $vgpr2_vgpr3
	s_branch .LBB8_1596
.LBB8_1588:
	s_mov_b32 s0, -1
                                        ; implicit-def: $vgpr2_vgpr3
	s_branch .LBB8_1593
.LBB8_1589:
	s_mov_b32 s0, -1
                                        ; implicit-def: $vgpr2_vgpr3
.LBB8_1590:
	s_delay_alu instid0(SALU_CYCLE_1)
	s_and_not1_b32 vcc_lo, exec_lo, s0
	s_cbranch_vccnz .LBB8_1592
; %bb.1591:
	s_wait_loadcnt 0x0
	global_load_b32 v2, v[6:7], off
	s_wait_loadcnt 0x0
	v_cvt_f64_i32_e32 v[2:3], v2
.LBB8_1592:
	s_mov_b32 s0, 0
.LBB8_1593:
	s_delay_alu instid0(SALU_CYCLE_1)
	s_and_not1_b32 vcc_lo, exec_lo, s0
	s_cbranch_vccnz .LBB8_1595
; %bb.1594:
	s_wait_loadcnt 0x0
	global_load_i16 v2, v[6:7], off
	s_wait_loadcnt 0x0
	v_cvt_f64_i32_e32 v[2:3], v2
.LBB8_1595:
	s_mov_b32 s0, 0
.LBB8_1596:
	s_delay_alu instid0(SALU_CYCLE_1)
	s_and_not1_b32 vcc_lo, exec_lo, s0
	s_cbranch_vccnz .LBB8_1602
; %bb.1597:
	s_cmp_gt_i32 s9, 0
	s_mov_b32 s0, 0
	s_cbranch_scc0 .LBB8_1599
; %bb.1598:
	s_wait_loadcnt 0x0
	global_load_i8 v2, v[6:7], off
	s_wait_loadcnt 0x0
	v_cvt_f64_i32_e32 v[2:3], v2
	s_branch .LBB8_1600
.LBB8_1599:
	s_mov_b32 s0, -1
                                        ; implicit-def: $vgpr2_vgpr3
.LBB8_1600:
	s_delay_alu instid0(SALU_CYCLE_1)
	s_and_not1_b32 vcc_lo, exec_lo, s0
	s_cbranch_vccnz .LBB8_1602
; %bb.1601:
	s_wait_loadcnt 0x0
	global_load_u8 v2, v[6:7], off
	s_wait_loadcnt 0x0
	v_cvt_f64_u32_e32 v[2:3], v2
.LBB8_1602:
	s_mov_b32 s6, -1
.LBB8_1603:
	s_delay_alu instid0(SALU_CYCLE_1)
	s_and_not1_b32 vcc_lo, exec_lo, s6
	s_cbranch_vccnz .LBB8_1690
; %bb.1604:
	v_mov_b64_e32 v[12:13], 0x7ff0000000000000
	s_mov_b32 s3, exec_lo
	s_wait_loadcnt 0x0
	s_delay_alu instid0(VALU_DEP_2)
	v_cmpx_neq_f64_e32 0, v[2:3]
	s_cbranch_execz .LBB8_1612
; %bb.1605:
	v_mov_b64_e32 v[12:13], 0x7ff8000000000000
	s_mov_b32 s6, exec_lo
	v_cmpx_ngt_f64_e32 0, v[2:3]
	s_cbranch_execz .LBB8_1611
; %bb.1606:
                                        ; implicit-def: $vgpr12_vgpr13
	s_mov_b32 s0, exec_lo
	v_cmpx_ge_f64_e32 2.0, v[2:3]
	s_xor_b32 s7, exec_lo, s0
	s_cbranch_execz .LBB8_1608
; %bb.1607:
	v_fma_f64 v[6:7], v[2:3], 0.5, -2.0
	s_mov_b64 s[12:13], 0xbc545cb72134d0ef
	v_mul_f64_e32 v[16:17], 0.5, v[2:3]
	s_delay_alu instid0(VALU_DEP_2) | instskip(SKIP_1) | instid1(VALU_DEP_2)
	v_fmaak_f64 v[12:13], s[12:13], v[6:7], 0x3c833362977da589
	s_mov_b64 s[12:13], 0x3fe5555555555555
	v_frexp_mant_f64_e32 v[18:19], v[16:17]
	v_cmp_neq_f64_e64 s0, 0, v[16:17]
	s_delay_alu instid0(VALU_DEP_3) | instskip(NEXT) | instid1(VALU_DEP_1)
	v_fmaak_f64 v[14:15], v[6:7], v[12:13], 0x3c545cb72134d0ef
	v_add_f64_e32 v[14:15], 0xbcb184eb721ebbb4, v[14:15]
	s_delay_alu instid0(VALU_DEP_4) | instskip(SKIP_1) | instid1(VALU_DEP_2)
	v_cmp_gt_f64_e32 vcc_lo, s[12:13], v[18:19]
	s_mov_b64 s[12:13], 0x3fc3ab76bf559e2b
	v_fma_f64 v[12:13], v[6:7], v[14:15], -v[12:13]
	v_cndmask_b32_e64 v11, 0, 1, vcc_lo
	s_delay_alu instid0(VALU_DEP_1) | instskip(SKIP_1) | instid1(VALU_DEP_4)
	v_ldexp_f64 v[18:19], v[18:19], v11
	v_frexp_exp_i32_f64_e32 v11, v[16:17]
	v_add_f64_e32 v[12:13], 0x3cdee6d893f65eba, v[12:13]
	s_delay_alu instid0(VALU_DEP_3) | instskip(SKIP_1) | instid1(VALU_DEP_4)
	v_add_f64_e32 v[20:21], 1.0, v[18:19]
	v_add_f64_e32 v[26:27], -1.0, v[18:19]
	v_subrev_co_ci_u32_e64 v11, null, 0, v11, vcc_lo
	v_cmp_neq_f64_e32 vcc_lo, 0x7ff00000, v[16:17]
	v_fma_f64 v[14:15], v[6:7], v[12:13], -v[14:15]
	v_rcp_f64_e32 v[22:23], v[20:21]
	v_add_f64_e32 v[28:29], -1.0, v[20:21]
	s_delay_alu instid0(VALU_DEP_2) | instskip(NEXT) | instid1(VALU_DEP_2)
	v_add_f64_e32 v[14:15], 0xbd0a5022c297fbeb, v[14:15]
	v_add_f64_e64 v[18:19], v[18:19], -v[28:29]
	s_delay_alu instid0(TRANS32_DEP_1) | instskip(NEXT) | instid1(VALU_DEP_3)
	v_fma_f64 v[24:25], -v[20:21], v[22:23], 1.0
	v_fma_f64 v[12:13], v[6:7], v[14:15], -v[12:13]
	s_delay_alu instid0(VALU_DEP_2) | instskip(NEXT) | instid1(VALU_DEP_2)
	v_fmac_f64_e32 v[22:23], v[24:25], v[22:23]
	v_add_f64_e32 v[12:13], 0x3d359b464b262627, v[12:13]
	s_delay_alu instid0(VALU_DEP_2) | instskip(NEXT) | instid1(VALU_DEP_2)
	v_fma_f64 v[24:25], -v[20:21], v[22:23], 1.0
	v_fma_f64 v[14:15], v[6:7], v[12:13], -v[14:15]
	s_delay_alu instid0(VALU_DEP_2) | instskip(NEXT) | instid1(VALU_DEP_2)
	v_fmac_f64_e32 v[22:23], v[24:25], v[22:23]
	v_add_f64_e32 v[14:15], 0xbd61164c62ee1af0, v[14:15]
	s_delay_alu instid0(VALU_DEP_2) | instskip(NEXT) | instid1(VALU_DEP_2)
	v_mul_f64_e32 v[24:25], v[26:27], v[22:23]
	v_fma_f64 v[12:13], v[6:7], v[14:15], -v[12:13]
	s_delay_alu instid0(VALU_DEP_2) | instskip(NEXT) | instid1(VALU_DEP_2)
	v_mul_f64_e32 v[30:31], v[20:21], v[24:25]
	v_add_f64_e32 v[12:13], 0x3d89fe2fe19bd324, v[12:13]
	s_delay_alu instid0(VALU_DEP_2) | instskip(NEXT) | instid1(VALU_DEP_2)
	v_fma_f64 v[20:21], v[24:25], v[20:21], -v[30:31]
	v_fma_f64 v[14:15], v[6:7], v[12:13], -v[14:15]
	s_delay_alu instid0(VALU_DEP_2) | instskip(NEXT) | instid1(VALU_DEP_2)
	v_fmac_f64_e32 v[20:21], v[24:25], v[18:19]
	v_add_f64_e32 v[14:15], 0xbdb2fc957a946abc, v[14:15]
	s_delay_alu instid0(VALU_DEP_2) | instskip(NEXT) | instid1(VALU_DEP_2)
	v_add_f64_e32 v[18:19], v[30:31], v[20:21]
	v_fma_f64 v[12:13], v[6:7], v[14:15], -v[12:13]
	s_delay_alu instid0(VALU_DEP_2) | instskip(NEXT) | instid1(VALU_DEP_2)
	v_add_f64_e64 v[28:29], v[26:27], -v[18:19]
	v_add_f64_e32 v[12:13], 0x3dda98becc743c10, v[12:13]
	v_add_f64_e64 v[30:31], v[18:19], -v[30:31]
	s_delay_alu instid0(VALU_DEP_3) | instskip(NEXT) | instid1(VALU_DEP_3)
	v_add_f64_e64 v[26:27], v[26:27], -v[28:29]
	v_fma_f64 v[14:15], v[6:7], v[12:13], -v[14:15]
	s_delay_alu instid0(VALU_DEP_3) | instskip(SKIP_1) | instid1(VALU_DEP_4)
	v_add_f64_e64 v[20:21], v[30:31], -v[20:21]
	v_cvt_f64_i32_e32 v[30:31], v11
	v_add_f64_e64 v[18:19], v[26:27], -v[18:19]
	s_delay_alu instid0(VALU_DEP_4) | instskip(NEXT) | instid1(VALU_DEP_3)
	v_add_f64_e32 v[14:15], 0xbe01d4fe13ae9556, v[14:15]
	v_mul_f64_e32 v[32:33], 0x3fe62e42fefa39ef, v[30:31]
	s_delay_alu instid0(VALU_DEP_3) | instskip(NEXT) | instid1(VALU_DEP_3)
	v_add_f64_e32 v[18:19], v[20:21], v[18:19]
	v_fma_f64 v[12:13], v[6:7], v[14:15], -v[12:13]
	s_delay_alu instid0(VALU_DEP_2) | instskip(NEXT) | instid1(VALU_DEP_2)
	v_add_f64_e32 v[18:19], v[28:29], v[18:19]
	v_add_f64_e32 v[12:13], 0x3e26d903a454cb34, v[12:13]
	s_delay_alu instid0(VALU_DEP_2) | instskip(NEXT) | instid1(VALU_DEP_2)
	v_mul_f64_e32 v[18:19], v[22:23], v[18:19]
	v_fma_f64 v[14:15], v[6:7], v[12:13], -v[14:15]
	s_delay_alu instid0(VALU_DEP_2) | instskip(NEXT) | instid1(VALU_DEP_2)
	v_add_f64_e32 v[20:21], v[24:25], v[18:19]
	v_add_f64_e32 v[14:15], 0xbe4beaf68c0b30ab, v[14:15]
	s_delay_alu instid0(VALU_DEP_2) | instskip(NEXT) | instid1(VALU_DEP_2)
	v_mul_f64_e32 v[22:23], v[20:21], v[20:21]
	v_fma_f64 v[12:13], v[6:7], v[14:15], -v[12:13]
	s_delay_alu instid0(VALU_DEP_2) | instskip(NEXT) | instid1(VALU_DEP_2)
	v_fmaak_f64 v[26:27], s[12:13], v[22:23], 0x3fc385386b47b09a
	v_add_f64_e32 v[12:13], 0x3e703b769d4d6435, v[12:13]
	v_mul_f64_e32 v[28:29], v[20:21], v[22:23]
	s_mov_b64 s[12:13], 0x3ca3cee1e6a7fd77
	s_delay_alu instid0(VALU_DEP_3) | instskip(NEXT) | instid1(VALU_DEP_1)
	v_fmaak_f64 v[26:27], v[22:23], v[26:27], 0x3fc7474dd7f4df2e
	v_fmaak_f64 v[26:27], v[22:23], v[26:27], 0x3fcc71c016291751
	s_delay_alu instid0(VALU_DEP_1) | instskip(NEXT) | instid1(VALU_DEP_1)
	v_fmaak_f64 v[26:27], v[22:23], v[26:27], 0x3fd249249b27acf1
	v_fmaak_f64 v[26:27], v[22:23], v[26:27], 0x3fd99999998ef7b6
	v_fma_f64 v[14:15], v[6:7], v[12:13], -v[14:15]
	s_delay_alu instid0(VALU_DEP_2) | instskip(SKIP_2) | instid1(VALU_DEP_3)
	v_fmaak_f64 v[22:23], v[22:23], v[26:27], 0x3fe5555555555780
	v_ldexp_f64 v[26:27], v[20:21], 1
	v_add_f64_e64 v[20:21], v[20:21], -v[24:25]
	v_mul_f64_e32 v[22:23], v[28:29], v[22:23]
	v_fma_f64 v[28:29], v[2:3], v[2:3], -2.0
	v_add_f64_e32 v[14:15], 0xbe91ec638f227f8d, v[14:15]
	s_delay_alu instid0(VALU_DEP_4) | instskip(NEXT) | instid1(VALU_DEP_4)
	v_add_f64_e64 v[18:19], v[18:19], -v[20:21]
	v_add_f64_e32 v[24:25], v[26:27], v[22:23]
	s_delay_alu instid0(VALU_DEP_3) | instskip(NEXT) | instid1(VALU_DEP_3)
	v_fma_f64 v[12:13], v[6:7], v[14:15], -v[12:13]
	v_ldexp_f64 v[18:19], v[18:19], 1
	s_delay_alu instid0(VALU_DEP_3) | instskip(SKIP_2) | instid1(VALU_DEP_1)
	v_add_f64_e64 v[20:21], v[24:25], -v[26:27]
	v_fmaak_f64 v[26:27], s[12:13], v[28:29], 0x3d27fb0ac384c2aa
	s_mov_b64 s[12:13], 0x3fe62e42fefa39ef
	v_fmaak_f64 v[34:35], v[28:29], v[26:27], 0xbca3cee1e6a7fd77
	v_add_f64_e32 v[12:13], 0x3eb2bf24978cf4ac, v[12:13]
	s_delay_alu instid0(VALU_DEP_4) | instskip(NEXT) | instid1(VALU_DEP_3)
	v_add_f64_e64 v[20:21], v[22:23], -v[20:21]
	v_add_f64_e32 v[22:23], 0x3da6c25c47512144, v[34:35]
	v_fma_f64 v[34:35], v[30:31], s[12:13], -v[32:33]
	s_mov_b64 s[12:13], 0x3e5ade156a5dcb37
	s_delay_alu instid0(VALU_DEP_4) | instskip(NEXT) | instid1(VALU_DEP_4)
	v_fma_f64 v[14:15], v[6:7], v[12:13], -v[14:15]
	v_add_f64_e32 v[18:19], v[18:19], v[20:21]
	s_delay_alu instid0(VALU_DEP_4) | instskip(NEXT) | instid1(VALU_DEP_4)
	v_fma_f64 v[20:21], v[28:29], v[22:23], -v[26:27]
	v_fmamk_f64 v[26:27], v[30:31], 0x3c7abc9e3b39803f, v[34:35]
	s_delay_alu instid0(VALU_DEP_1) | instskip(SKIP_3) | instid1(VALU_DEP_4)
	v_add_f64_e32 v[34:35], v[32:33], v[26:27]
	v_add_f64_e32 v[14:15], 0xbed2866fcba56427, v[14:15]
	;; [unrolled: 1-line block ×4, first 2 shown]
	v_add_f64_e64 v[32:33], v[34:35], -v[32:33]
	s_delay_alu instid0(VALU_DEP_4) | instskip(NEXT) | instid1(VALU_DEP_4)
	v_fma_f64 v[12:13], v[6:7], v[14:15], -v[12:13]
	v_add_f64_e32 v[36:37], v[34:35], v[30:31]
	s_delay_alu instid0(VALU_DEP_4) | instskip(SKIP_1) | instid1(VALU_DEP_4)
	v_fma_f64 v[22:23], v[28:29], v[20:21], -v[22:23]
	v_add_f64_e64 v[24:25], v[30:31], -v[24:25]
	v_add_f64_e32 v[12:13], 0x3ef13f58be9a2859, v[12:13]
	s_delay_alu instid0(VALU_DEP_4) | instskip(NEXT) | instid1(VALU_DEP_4)
	v_add_f64_e64 v[38:39], v[36:37], -v[34:35]
	v_add_f64_e32 v[22:23], 0x3e9102bce7f95efc, v[22:23]
	s_delay_alu instid0(VALU_DEP_4)
	v_add_f64_e64 v[18:19], v[18:19], -v[24:25]
	v_add_f64_e64 v[24:25], v[26:27], -v[32:33]
	v_mul_f64_e32 v[32:33], 0x3ff71547652b82fe, v[2:3]
	v_fma_f64 v[14:15], v[6:7], v[12:13], -v[14:15]
	v_add_f64_e64 v[40:41], v[36:37], -v[38:39]
	v_fma_f64 v[20:21], v[28:29], v[22:23], -v[20:21]
	v_add_f64_e64 v[30:31], v[30:31], -v[38:39]
	s_delay_alu instid0(VALU_DEP_4) | instskip(NEXT) | instid1(VALU_DEP_4)
	v_add_f64_e32 v[14:15], 0xbf0e2b2659c41d5a, v[14:15]
	v_add_f64_e64 v[26:27], v[34:35], -v[40:41]
	s_delay_alu instid0(VALU_DEP_4) | instskip(SKIP_1) | instid1(VALU_DEP_4)
	v_add_f64_e32 v[20:21], 0x3ef7f900fe8cfca0, v[20:21]
	v_add_f64_e32 v[34:35], v[24:25], v[18:19]
	v_fma_f64 v[12:13], v[6:7], v[14:15], -v[12:13]
	s_delay_alu instid0(VALU_DEP_4) | instskip(NEXT) | instid1(VALU_DEP_4)
	v_add_f64_e32 v[26:27], v[30:31], v[26:27]
	v_fma_f64 v[22:23], v[28:29], v[20:21], -v[22:23]
	v_rndne_f64_e32 v[30:31], v[32:33]
	v_add_f64_e64 v[32:33], v[34:35], -v[24:25]
	v_add_f64_e32 v[12:13], 0x3f28b51b74107cab, v[12:13]
	v_add_f64_e32 v[26:27], v[34:35], v[26:27]
	;; [unrolled: 1-line block ×3, first 2 shown]
	v_fmamk_f64 v[2:3], v[30:31], 0xbfe62e42fefa39ef, v[2:3]
	v_add_f64_e64 v[34:35], v[34:35], -v[32:33]
	v_add_f64_e64 v[18:19], v[18:19], -v[32:33]
	v_cvt_i32_f64_e32 v11, v[30:31]
	s_delay_alu instid0(VALU_DEP_4) | instskip(NEXT) | instid1(VALU_DEP_1)
	v_fmamk_f64 v[2:3], v[30:31], 0xbc7abc9e3b39803f, v[2:3]
	v_fmaak_f64 v[40:41], s[12:13], v[2:3], 0x3e928af3fca7ab0c
	s_delay_alu instid0(VALU_DEP_1) | instskip(SKIP_1) | instid1(VALU_DEP_2)
	v_fmaak_f64 v[40:41], v[2:3], v[40:41], 0x3ec71dee623fde64
	v_fma_f64 v[14:15], v[6:7], v[12:13], -v[14:15]
	v_fmaak_f64 v[40:41], v[2:3], v[40:41], 0x3efa01997c89e6b0
	v_add_f64_e32 v[38:39], v[36:37], v[26:27]
	v_fma_f64 v[20:21], v[28:29], v[22:23], -v[20:21]
	v_add_f64_e64 v[24:25], v[24:25], -v[34:35]
	s_delay_alu instid0(VALU_DEP_4) | instskip(NEXT) | instid1(VALU_DEP_1)
	v_fmaak_f64 v[40:41], v[2:3], v[40:41], 0x3f2a01a014761f6e
	v_fmaak_f64 v[34:35], v[2:3], v[40:41], 0x3f56c16c1852b7b0
	v_add_f64_e32 v[14:15], 0xbf42e2fd1f15eb52, v[14:15]
	v_add_f64_e64 v[32:33], v[38:39], -v[36:37]
	v_add_f64_e32 v[20:21], 0x3fa26bf6554a9085, v[20:21]
	v_add_f64_e32 v[18:19], v[18:19], v[24:25]
	s_delay_alu instid0(VALU_DEP_4) | instskip(NEXT) | instid1(VALU_DEP_4)
	v_fma_f64 v[12:13], v[6:7], v[14:15], -v[12:13]
	v_add_f64_e64 v[24:25], v[26:27], -v[32:33]
	s_delay_alu instid0(VALU_DEP_4) | instskip(NEXT) | instid1(VALU_DEP_3)
	v_fma_f64 v[22:23], v[28:29], v[20:21], -v[22:23]
	v_add_f64_e32 v[12:13], 0x3f5adc758a12100e, v[12:13]
	s_delay_alu instid0(VALU_DEP_3) | instskip(NEXT) | instid1(VALU_DEP_3)
	v_add_f64_e32 v[18:19], v[18:19], v[24:25]
	v_add_f64_e32 v[22:23], 0x3fd608d881213db9, v[22:23]
	s_delay_alu instid0(VALU_DEP_3) | instskip(NEXT) | instid1(VALU_DEP_1)
	v_fma_f64 v[14:15], v[6:7], v[12:13], -v[14:15]
	v_add_f64_e32 v[14:15], 0xbf71b65e201aa849, v[14:15]
	s_delay_alu instid0(VALU_DEP_1) | instskip(NEXT) | instid1(VALU_DEP_1)
	v_fma_f64 v[12:13], v[6:7], v[14:15], -v[12:13]
	v_add_f64_e32 v[12:13], 0x3f859961f3dde3dd, v[12:13]
	s_delay_alu instid0(VALU_DEP_1) | instskip(NEXT) | instid1(VALU_DEP_1)
	;; [unrolled: 3-line block ×6, first 2 shown]
	v_fma_f64 v[14:15], v[6:7], v[12:13], -v[14:15]
	v_add_f64_e32 v[14:15], 0xbfd37febc057cd8d, v[14:15]
	s_delay_alu instid0(VALU_DEP_1) | instskip(SKIP_1) | instid1(VALU_DEP_1)
	v_fma_f64 v[6:7], v[6:7], v[14:15], -v[12:13]
	v_fmaak_f64 v[14:15], v[2:3], v[34:35], 0x3f81111111122322
	v_fmaak_f64 v[14:15], v[2:3], v[14:15], 0x3fa55555555502a1
	s_delay_alu instid0(VALU_DEP_1) | instskip(NEXT) | instid1(VALU_DEP_1)
	v_fmaak_f64 v[14:15], v[2:3], v[14:15], 0x3fc5555555555511
	v_fmaak_f64 v[14:15], v[2:3], v[14:15], 0x3fe000000000000b
	s_delay_alu instid0(VALU_DEP_1) | instskip(SKIP_1) | instid1(VALU_DEP_2)
	v_fma_f64 v[14:15], v[2:3], v[14:15], 1.0
	v_add_f64_e32 v[6:7], 0x3fe5a84e9035a22a, v[6:7]
	v_fma_f64 v[2:3], v[2:3], v[14:15], 1.0
	v_fma_f64 v[14:15], v[28:29], v[22:23], -v[20:21]
	s_delay_alu instid0(VALU_DEP_3) | instskip(SKIP_1) | instid1(VALU_DEP_4)
	v_add_f64_e64 v[6:7], v[6:7], -v[12:13]
	v_add_f64_e32 v[12:13], v[38:39], v[18:19]
	v_ldexp_f64 v[2:3], v[2:3], v11
	s_delay_alu instid0(VALU_DEP_4) | instskip(NEXT) | instid1(VALU_DEP_4)
	v_add_f64_e32 v[14:15], 0xbfe12166e9d2f61f, v[14:15]
	v_mul_f64_e32 v[6:7], 0.5, v[6:7]
	s_delay_alu instid0(VALU_DEP_4) | instskip(SKIP_2) | instid1(VALU_DEP_2)
	v_cndmask_b32_e32 v11, 0x7ff00000, v13, vcc_lo
	s_and_b32 vcc_lo, s0, vcc_lo
	v_cndmask_b32_e32 v12, 0, v12, vcc_lo
	v_cndmask_b32_e64 v13, 0xfff00000, v11, s0
	v_add_f64_e64 v[14:15], v[14:15], -v[20:21]
	v_mul_f64_e32 v[6:7], v[2:3], v[6:7]
	s_delay_alu instid0(VALU_DEP_1) | instskip(NEXT) | instid1(VALU_DEP_1)
	v_mul_f64_e32 v[6:7], v[12:13], v[6:7]
	v_fma_f64 v[6:7], v[14:15], 0.5, -v[6:7]
	s_delay_alu instid0(VALU_DEP_1)
	v_mul_f64_e32 v[12:13], v[2:3], v[6:7]
                                        ; implicit-def: $vgpr2_vgpr3
.LBB8_1608:
	s_and_not1_saveexec_b32 s0, s7
	s_cbranch_execz .LBB8_1610
; %bb.1609:
	v_div_scale_f64 v[6:7], null, v[2:3], v[2:3], 0x40200000
	v_div_scale_f64 v[16:17], vcc_lo, 0x40200000, v[2:3], 0x40200000
	s_mov_b64 s[12:13], 0x3c5871a5cf8c9ee1
	v_rcp_f64_e32 v[12:13], v[6:7]
	v_nop
	s_delay_alu instid0(TRANS32_DEP_1) | instskip(NEXT) | instid1(VALU_DEP_1)
	v_fma_f64 v[14:15], -v[6:7], v[12:13], 1.0
	v_fmac_f64_e32 v[12:13], v[12:13], v[14:15]
	s_delay_alu instid0(VALU_DEP_1) | instskip(NEXT) | instid1(VALU_DEP_1)
	v_fma_f64 v[14:15], -v[6:7], v[12:13], 1.0
	v_fmac_f64_e32 v[12:13], v[12:13], v[14:15]
	s_delay_alu instid0(VALU_DEP_1) | instskip(NEXT) | instid1(VALU_DEP_1)
	v_mul_f64_e32 v[14:15], v[16:17], v[12:13]
	v_fma_f64 v[6:7], -v[6:7], v[14:15], v[16:17]
	s_delay_alu instid0(VALU_DEP_1) | instskip(SKIP_1) | instid1(VALU_DEP_2)
	v_div_fmas_f64 v[6:7], v[6:7], v[12:13], v[14:15]
	v_cmp_gt_f64_e32 vcc_lo, 0x10000000, v[2:3]
	v_div_fixup_f64 v[6:7], v[6:7], v[2:3], 0x40200000
	v_cndmask_b32_e64 v11, 0, 0x100, vcc_lo
	s_delay_alu instid0(VALU_DEP_1) | instskip(SKIP_1) | instid1(VALU_DEP_4)
	v_ldexp_f64 v[2:3], v[2:3], v11
	v_cndmask_b32_e64 v11, 0, 0xffffff80, vcc_lo
	v_add_f64_e32 v[6:7], -2.0, v[6:7]
	s_delay_alu instid0(VALU_DEP_3) | instskip(SKIP_1) | instid1(VALU_DEP_2)
	v_cmp_class_f64_e64 vcc_lo, v[2:3], 0x260
	v_rsq_f64_e32 v[16:17], v[2:3]
	v_fmaak_f64 v[12:13], s[12:13], v[6:7], 0xbc72fecc93812603
	s_delay_alu instid0(VALU_DEP_1) | instskip(NEXT) | instid1(TRANS32_DEP_1)
	v_fmaak_f64 v[14:15], v[6:7], v[12:13], 0xbc5871a5cf8c9ee1
	v_mul_f64_e32 v[18:19], v[2:3], v[16:17]
	s_delay_alu instid0(VALU_DEP_2) | instskip(SKIP_1) | instid1(VALU_DEP_2)
	v_add_f64_e32 v[14:15], 0x3c8e092e41a8cdf4, v[14:15]
	v_mul_f64_e32 v[16:17], 0.5, v[16:17]
	v_fma_f64 v[12:13], v[6:7], v[14:15], -v[12:13]
	s_delay_alu instid0(VALU_DEP_2) | instskip(NEXT) | instid1(VALU_DEP_2)
	v_fma_f64 v[20:21], -v[16:17], v[18:19], 0.5
	v_add_f64_e32 v[12:13], 0xbca82f9474d77641, v[12:13]
	s_delay_alu instid0(VALU_DEP_2) | instskip(SKIP_1) | instid1(VALU_DEP_3)
	v_fmac_f64_e32 v[18:19], v[18:19], v[20:21]
	v_fmac_f64_e32 v[16:17], v[16:17], v[20:21]
	v_fma_f64 v[14:15], v[6:7], v[12:13], -v[14:15]
	s_delay_alu instid0(VALU_DEP_3) | instskip(NEXT) | instid1(VALU_DEP_2)
	v_fma_f64 v[20:21], -v[18:19], v[18:19], v[2:3]
	v_add_f64_e32 v[14:15], 0x3cc3dbf96b94785b, v[14:15]
	s_delay_alu instid0(VALU_DEP_2) | instskip(NEXT) | instid1(VALU_DEP_2)
	v_fmac_f64_e32 v[18:19], v[20:21], v[16:17]
	v_fma_f64 v[12:13], v[6:7], v[14:15], -v[12:13]
	s_delay_alu instid0(VALU_DEP_1) | instskip(NEXT) | instid1(VALU_DEP_1)
	v_add_f64_e32 v[12:13], 0xbce0a690ecfadd36, v[12:13]
	v_fma_f64 v[14:15], v[6:7], v[12:13], -v[14:15]
	s_delay_alu instid0(VALU_DEP_1) | instskip(NEXT) | instid1(VALU_DEP_1)
	v_add_f64_e32 v[14:15], 0x3cfc8d9c4a7ddc98, v[14:15]
	;; [unrolled: 3-line block ×19, first 2 shown]
	v_fma_f64 v[6:7], v[6:7], v[12:13], -v[14:15]
	v_fma_f64 v[12:13], -v[18:19], v[18:19], v[2:3]
	s_delay_alu instid0(VALU_DEP_2) | instskip(NEXT) | instid1(VALU_DEP_2)
	v_add_f64_e32 v[6:7], 0x400385bd9f4e6907, v[6:7]
	v_fmac_f64_e32 v[18:19], v[12:13], v[16:17]
	s_delay_alu instid0(VALU_DEP_2) | instskip(NEXT) | instid1(VALU_DEP_2)
	v_add_f64_e64 v[6:7], v[6:7], -v[14:15]
	v_ldexp_f64 v[12:13], v[18:19], v11
	s_delay_alu instid0(VALU_DEP_2) | instskip(NEXT) | instid1(VALU_DEP_2)
	v_mul_f64_e32 v[6:7], 0.5, v[6:7]
	v_dual_cndmask_b32 v3, v13, v3 :: v_dual_cndmask_b32 v2, v12, v2
	s_delay_alu instid0(VALU_DEP_1) | instskip(NEXT) | instid1(VALU_DEP_1)
	v_div_scale_f64 v[12:13], null, v[2:3], v[2:3], v[6:7]
	v_rcp_f64_e32 v[14:15], v[12:13]
	v_nop
	s_delay_alu instid0(TRANS32_DEP_1) | instskip(NEXT) | instid1(VALU_DEP_1)
	v_fma_f64 v[16:17], -v[12:13], v[14:15], 1.0
	v_fmac_f64_e32 v[14:15], v[14:15], v[16:17]
	s_delay_alu instid0(VALU_DEP_1) | instskip(NEXT) | instid1(VALU_DEP_1)
	v_fma_f64 v[16:17], -v[12:13], v[14:15], 1.0
	v_fmac_f64_e32 v[14:15], v[14:15], v[16:17]
	v_div_scale_f64 v[16:17], vcc_lo, v[6:7], v[2:3], v[6:7]
	s_delay_alu instid0(VALU_DEP_1) | instskip(NEXT) | instid1(VALU_DEP_1)
	v_mul_f64_e32 v[18:19], v[16:17], v[14:15]
	v_fma_f64 v[12:13], -v[12:13], v[18:19], v[16:17]
	s_delay_alu instid0(VALU_DEP_1) | instskip(NEXT) | instid1(VALU_DEP_1)
	v_div_fmas_f64 v[12:13], v[12:13], v[14:15], v[18:19]
	v_div_fixup_f64 v[12:13], v[12:13], v[2:3], v[6:7]
.LBB8_1610:
	s_or_b32 exec_lo, exec_lo, s0
.LBB8_1611:
	s_delay_alu instid0(SALU_CYCLE_1)
	s_or_b32 exec_lo, exec_lo, s6
.LBB8_1612:
	s_delay_alu instid0(SALU_CYCLE_1) | instskip(SKIP_2) | instid1(SALU_CYCLE_1)
	s_or_b32 exec_lo, exec_lo, s3
	v_mul_lo_u32 v6, s2, v10
	s_and_b32 s12, s8, 0xff
	s_cmp_lt_i32 s12, 11
	s_delay_alu instid0(VALU_DEP_1) | instskip(NEXT) | instid1(VALU_DEP_1)
	v_ashrrev_i32_e32 v7, 31, v6
	v_add_nc_u64_e32 v[10:11], s[4:5], v[6:7]
	s_cbranch_scc1 .LBB8_1735
; %bb.1613:
	s_and_b32 s3, 0xffff, s12
	s_mov_b32 s8, -1
	s_mov_b32 s6, 0
	s_cmp_gt_i32 s3, 25
	s_mov_b32 s7, 0
	s_mov_b32 s0, 0
	s_cbranch_scc0 .LBB8_1646
; %bb.1614:
	s_cmp_gt_i32 s3, 28
	s_cbranch_scc0 .LBB8_1629
; %bb.1615:
	s_cmp_gt_i32 s3, 43
	;; [unrolled: 3-line block ×3, first 2 shown]
	s_cbranch_scc0 .LBB8_1619
; %bb.1617:
	s_mov_b32 s0, -1
	s_mov_b32 s8, 0
	s_cmp_eq_u32 s3, 46
	s_cbranch_scc0 .LBB8_1619
; %bb.1618:
	v_cvt_f32_f64_e32 v2, v[0:1]
	s_mov_b32 s0, 0
	s_mov_b32 s7, -1
	s_delay_alu instid0(VALU_DEP_1) | instskip(SKIP_1) | instid1(VALU_DEP_2)
	v_bfe_u32 v3, v2, 16, 1
	v_cmp_o_f32_e32 vcc_lo, v2, v2
	v_add3_u32 v3, v2, v3, 0x7fff
	s_delay_alu instid0(VALU_DEP_1) | instskip(NEXT) | instid1(VALU_DEP_1)
	v_lshrrev_b32_e32 v3, 16, v3
	v_cndmask_b32_e32 v2, 0x7fc0, v3, vcc_lo
	global_store_b32 v[10:11], v2, off
.LBB8_1619:
	s_and_b32 vcc_lo, exec_lo, s8
	s_cbranch_vccz .LBB8_1624
; %bb.1620:
	s_cmp_eq_u32 s3, 44
	s_mov_b32 s0, -1
	s_cbranch_scc0 .LBB8_1624
; %bb.1621:
	s_wait_xcnt 0x0
	v_cvt_f32_f64_e32 v2, v[0:1]
	v_mov_b32_e32 v3, 0xff
	s_mov_b32 s7, exec_lo
	s_delay_alu instid0(VALU_DEP_2) | instskip(NEXT) | instid1(VALU_DEP_1)
	v_bfe_u32 v7, v2, 23, 8
	v_cmpx_ne_u32_e32 0xff, v7
	s_cbranch_execz .LBB8_1623
; %bb.1622:
	v_and_b32_e32 v3, 0x400000, v2
	v_and_or_b32 v7, 0x3fffff, v2, v7
	v_lshrrev_b32_e32 v2, 23, v2
	s_delay_alu instid0(VALU_DEP_3) | instskip(NEXT) | instid1(VALU_DEP_3)
	v_cmp_ne_u32_e32 vcc_lo, 0, v3
	v_cmp_ne_u32_e64 s0, 0, v7
	s_and_b32 s0, vcc_lo, s0
	s_delay_alu instid0(SALU_CYCLE_1) | instskip(NEXT) | instid1(VALU_DEP_1)
	v_cndmask_b32_e64 v3, 0, 1, s0
	v_add_nc_u32_e32 v3, v2, v3
.LBB8_1623:
	s_or_b32 exec_lo, exec_lo, s7
	s_mov_b32 s0, 0
	s_mov_b32 s7, -1
	global_store_b8 v[10:11], v3, off
.LBB8_1624:
	s_mov_b32 s8, 0
.LBB8_1625:
	s_delay_alu instid0(SALU_CYCLE_1)
	s_and_b32 vcc_lo, exec_lo, s8
	s_cbranch_vccz .LBB8_1628
; %bb.1626:
	s_cmp_eq_u32 s3, 29
	s_mov_b32 s0, -1
	s_cbranch_scc0 .LBB8_1628
; %bb.1627:
	s_wait_xcnt 0x0
	v_trunc_f64_e32 v[2:3], v[0:1]
	s_mov_b32 s0, 0
	s_mov_b32 s7, -1
	s_delay_alu instid0(VALU_DEP_1) | instskip(NEXT) | instid1(VALU_DEP_1)
	v_ldexp_f64 v[14:15], v[2:3], 0xffffffe0
	v_floor_f64_e32 v[14:15], v[14:15]
	s_delay_alu instid0(VALU_DEP_1) | instskip(SKIP_1) | instid1(VALU_DEP_2)
	v_fmamk_f64 v[2:3], v[14:15], 0xc1f00000, v[2:3]
	v_cvt_u32_f64_e32 v15, v[14:15]
	v_cvt_u32_f64_e32 v14, v[2:3]
	global_store_b64 v[10:11], v[14:15], off
.LBB8_1628:
	s_mov_b32 s8, 0
.LBB8_1629:
	s_delay_alu instid0(SALU_CYCLE_1)
	s_and_b32 vcc_lo, exec_lo, s8
	s_cbranch_vccz .LBB8_1645
; %bb.1630:
	s_cmp_lt_i32 s3, 27
	s_mov_b32 s7, -1
	s_cbranch_scc1 .LBB8_1636
; %bb.1631:
	s_wait_xcnt 0x0
	v_cvt_u32_f64_e32 v2, v[0:1]
	s_cmp_gt_i32 s3, 27
	s_cbranch_scc0 .LBB8_1633
; %bb.1632:
	s_mov_b32 s7, 0
	global_store_b32 v[10:11], v2, off
.LBB8_1633:
	s_and_not1_b32 vcc_lo, exec_lo, s7
	s_cbranch_vccnz .LBB8_1635
; %bb.1634:
	global_store_b16 v[10:11], v2, off
.LBB8_1635:
	s_mov_b32 s7, 0
.LBB8_1636:
	s_delay_alu instid0(SALU_CYCLE_1)
	s_and_not1_b32 vcc_lo, exec_lo, s7
	s_cbranch_vccnz .LBB8_1644
; %bb.1637:
	s_wait_xcnt 0x0
	v_cvt_f32_f64_e32 v2, v[0:1]
	v_mov_b32_e32 v7, 0x80
	s_mov_b32 s7, exec_lo
	s_delay_alu instid0(VALU_DEP_2) | instskip(NEXT) | instid1(VALU_DEP_1)
	v_and_b32_e32 v3, 0x7fffffff, v2
	v_cmpx_gt_u32_e32 0x43800000, v3
	s_cbranch_execz .LBB8_1643
; %bb.1638:
	v_cmp_lt_u32_e32 vcc_lo, 0x3bffffff, v3
	s_mov_b32 s8, 0
                                        ; implicit-def: $vgpr3
	s_and_saveexec_b32 s9, vcc_lo
	s_delay_alu instid0(SALU_CYCLE_1)
	s_xor_b32 s9, exec_lo, s9
	s_cbranch_execz .LBB8_2093
; %bb.1639:
	v_bfe_u32 v3, v2, 20, 1
	s_mov_b32 s8, exec_lo
	s_delay_alu instid0(VALU_DEP_1) | instskip(NEXT) | instid1(VALU_DEP_1)
	v_add3_u32 v3, v2, v3, 0x487ffff
	v_lshrrev_b32_e32 v3, 20, v3
	s_and_not1_saveexec_b32 s9, s9
	s_cbranch_execnz .LBB8_2094
.LBB8_1640:
	s_or_b32 exec_lo, exec_lo, s9
	v_mov_b32_e32 v7, 0
	s_and_saveexec_b32 s9, s8
.LBB8_1641:
	v_lshrrev_b32_e32 v2, 24, v2
	s_delay_alu instid0(VALU_DEP_1)
	v_and_or_b32 v7, 0x80, v2, v3
.LBB8_1642:
	s_or_b32 exec_lo, exec_lo, s9
.LBB8_1643:
	s_delay_alu instid0(SALU_CYCLE_1)
	s_or_b32 exec_lo, exec_lo, s7
	global_store_b8 v[10:11], v7, off
.LBB8_1644:
	s_mov_b32 s7, -1
.LBB8_1645:
	s_mov_b32 s8, 0
.LBB8_1646:
	s_delay_alu instid0(SALU_CYCLE_1)
	s_and_b32 vcc_lo, exec_lo, s8
	s_cbranch_vccz .LBB8_1686
; %bb.1647:
	s_cmp_gt_i32 s3, 22
	s_mov_b32 s6, -1
	s_cbranch_scc0 .LBB8_1679
; %bb.1648:
	s_cmp_lt_i32 s3, 24
	s_cbranch_scc1 .LBB8_1668
; %bb.1649:
	s_cmp_gt_i32 s3, 24
	s_cbranch_scc0 .LBB8_1657
; %bb.1650:
	s_wait_xcnt 0x0
	v_cvt_f32_f64_e32 v2, v[0:1]
	v_mov_b32_e32 v7, 0x80
	s_mov_b32 s6, exec_lo
	s_delay_alu instid0(VALU_DEP_2) | instskip(NEXT) | instid1(VALU_DEP_1)
	v_and_b32_e32 v3, 0x7fffffff, v2
	v_cmpx_gt_u32_e32 0x47800000, v3
	s_cbranch_execz .LBB8_1656
; %bb.1651:
	v_cmp_lt_u32_e32 vcc_lo, 0x37ffffff, v3
	s_mov_b32 s7, 0
                                        ; implicit-def: $vgpr3
	s_and_saveexec_b32 s8, vcc_lo
	s_delay_alu instid0(SALU_CYCLE_1)
	s_xor_b32 s8, exec_lo, s8
	s_cbranch_execz .LBB8_2096
; %bb.1652:
	v_bfe_u32 v3, v2, 21, 1
	s_mov_b32 s7, exec_lo
	s_delay_alu instid0(VALU_DEP_1) | instskip(NEXT) | instid1(VALU_DEP_1)
	v_add3_u32 v3, v2, v3, 0x88fffff
	v_lshrrev_b32_e32 v3, 21, v3
	s_and_not1_saveexec_b32 s8, s8
	s_cbranch_execnz .LBB8_2097
.LBB8_1653:
	s_or_b32 exec_lo, exec_lo, s8
	v_mov_b32_e32 v7, 0
	s_and_saveexec_b32 s8, s7
.LBB8_1654:
	v_lshrrev_b32_e32 v2, 24, v2
	s_delay_alu instid0(VALU_DEP_1)
	v_and_or_b32 v7, 0x80, v2, v3
.LBB8_1655:
	s_or_b32 exec_lo, exec_lo, s8
.LBB8_1656:
	s_delay_alu instid0(SALU_CYCLE_1)
	s_or_b32 exec_lo, exec_lo, s6
	s_mov_b32 s6, 0
	global_store_b8 v[10:11], v7, off
.LBB8_1657:
	s_and_b32 vcc_lo, exec_lo, s6
	s_cbranch_vccz .LBB8_1667
; %bb.1658:
	s_wait_xcnt 0x0
	v_cvt_f32_f64_e32 v2, v[0:1]
	s_mov_b32 s6, exec_lo
                                        ; implicit-def: $vgpr3
	s_delay_alu instid0(VALU_DEP_1) | instskip(NEXT) | instid1(VALU_DEP_1)
	v_and_b32_e32 v7, 0x7fffffff, v2
	v_cmpx_gt_u32_e32 0x43f00000, v7
	s_xor_b32 s6, exec_lo, s6
	s_cbranch_execz .LBB8_1664
; %bb.1659:
	s_mov_b32 s7, exec_lo
                                        ; implicit-def: $vgpr3
	v_cmpx_lt_u32_e32 0x3c7fffff, v7
	s_xor_b32 s7, exec_lo, s7
; %bb.1660:
	v_bfe_u32 v3, v2, 20, 1
	s_delay_alu instid0(VALU_DEP_1) | instskip(NEXT) | instid1(VALU_DEP_1)
	v_add3_u32 v3, v2, v3, 0x407ffff
	v_and_b32_e32 v7, 0xff00000, v3
	v_lshrrev_b32_e32 v3, 20, v3
	s_delay_alu instid0(VALU_DEP_2) | instskip(NEXT) | instid1(VALU_DEP_2)
	v_cmp_ne_u32_e32 vcc_lo, 0x7f00000, v7
	v_cndmask_b32_e32 v3, 0x7e, v3, vcc_lo
; %bb.1661:
	s_and_not1_saveexec_b32 s7, s7
; %bb.1662:
	v_add_f32_e64 v3, 0x46800000, |v2|
; %bb.1663:
	s_or_b32 exec_lo, exec_lo, s7
                                        ; implicit-def: $vgpr7
.LBB8_1664:
	s_and_not1_saveexec_b32 s6, s6
; %bb.1665:
	v_mov_b32_e32 v3, 0x7f
	v_cmp_lt_u32_e32 vcc_lo, 0x7f800000, v7
	s_delay_alu instid0(VALU_DEP_2)
	v_cndmask_b32_e32 v3, 0x7e, v3, vcc_lo
; %bb.1666:
	s_or_b32 exec_lo, exec_lo, s6
	v_lshrrev_b32_e32 v2, 24, v2
	s_delay_alu instid0(VALU_DEP_1)
	v_and_or_b32 v2, 0x80, v2, v3
	global_store_b8 v[10:11], v2, off
.LBB8_1667:
	s_mov_b32 s6, 0
.LBB8_1668:
	s_delay_alu instid0(SALU_CYCLE_1)
	s_and_not1_b32 vcc_lo, exec_lo, s6
	s_cbranch_vccnz .LBB8_1678
; %bb.1669:
	s_wait_xcnt 0x0
	v_cvt_f32_f64_e32 v2, v[0:1]
	s_mov_b32 s6, exec_lo
                                        ; implicit-def: $vgpr3
	s_delay_alu instid0(VALU_DEP_1) | instskip(NEXT) | instid1(VALU_DEP_1)
	v_and_b32_e32 v7, 0x7fffffff, v2
	v_cmpx_gt_u32_e32 0x47800000, v7
	s_xor_b32 s6, exec_lo, s6
	s_cbranch_execz .LBB8_1675
; %bb.1670:
	s_mov_b32 s7, exec_lo
                                        ; implicit-def: $vgpr3
	v_cmpx_lt_u32_e32 0x387fffff, v7
	s_xor_b32 s7, exec_lo, s7
; %bb.1671:
	v_bfe_u32 v3, v2, 21, 1
	s_delay_alu instid0(VALU_DEP_1) | instskip(NEXT) | instid1(VALU_DEP_1)
	v_add3_u32 v3, v2, v3, 0x80fffff
	v_lshrrev_b32_e32 v3, 21, v3
; %bb.1672:
	s_and_not1_saveexec_b32 s7, s7
; %bb.1673:
	v_add_f32_e64 v3, 0x43000000, |v2|
; %bb.1674:
	s_or_b32 exec_lo, exec_lo, s7
                                        ; implicit-def: $vgpr7
.LBB8_1675:
	s_and_not1_saveexec_b32 s6, s6
; %bb.1676:
	v_mov_b32_e32 v3, 0x7f
	v_cmp_lt_u32_e32 vcc_lo, 0x7f800000, v7
	s_delay_alu instid0(VALU_DEP_2)
	v_cndmask_b32_e32 v3, 0x7c, v3, vcc_lo
; %bb.1677:
	s_or_b32 exec_lo, exec_lo, s6
	v_lshrrev_b32_e32 v2, 24, v2
	s_delay_alu instid0(VALU_DEP_1)
	v_and_or_b32 v2, 0x80, v2, v3
	global_store_b8 v[10:11], v2, off
.LBB8_1678:
	s_mov_b32 s6, 0
	s_mov_b32 s7, -1
.LBB8_1679:
	s_and_not1_b32 vcc_lo, exec_lo, s6
	s_mov_b32 s6, 0
	s_cbranch_vccnz .LBB8_1686
; %bb.1680:
	s_cmp_gt_i32 s3, 14
	s_mov_b32 s6, -1
	s_cbranch_scc0 .LBB8_1684
; %bb.1681:
	s_cmp_eq_u32 s3, 15
	s_mov_b32 s0, -1
	s_cbranch_scc0 .LBB8_1683
; %bb.1682:
	s_wait_xcnt 0x0
	v_cvt_f32_f64_e32 v2, v[0:1]
	s_mov_b32 s0, 0
	s_mov_b32 s7, -1
	s_delay_alu instid0(VALU_DEP_1) | instskip(SKIP_1) | instid1(VALU_DEP_2)
	v_bfe_u32 v3, v2, 16, 1
	v_cmp_o_f32_e32 vcc_lo, v2, v2
	v_add3_u32 v3, v2, v3, 0x7fff
	s_delay_alu instid0(VALU_DEP_1) | instskip(NEXT) | instid1(VALU_DEP_1)
	v_lshrrev_b32_e32 v3, 16, v3
	v_cndmask_b32_e32 v2, 0x7fc0, v3, vcc_lo
	global_store_b16 v[10:11], v2, off
.LBB8_1683:
	s_mov_b32 s6, 0
.LBB8_1684:
	s_delay_alu instid0(SALU_CYCLE_1)
	s_and_b32 vcc_lo, exec_lo, s6
	s_mov_b32 s6, 0
	s_cbranch_vccz .LBB8_1686
; %bb.1685:
	s_cmp_lg_u32 s3, 11
	s_mov_b32 s6, -1
	s_cselect_b32 s0, -1, 0
.LBB8_1686:
	s_delay_alu instid0(SALU_CYCLE_1)
	s_and_b32 vcc_lo, exec_lo, s0
	s_cbranch_vccnz .LBB8_2095
; %bb.1687:
	s_and_not1_b32 vcc_lo, exec_lo, s6
	s_cbranch_vccnz .LBB8_1689
.LBB8_1688:
	v_cmp_neq_f64_e32 vcc_lo, 0, v[0:1]
	s_mov_b32 s7, -1
	s_wait_xcnt 0x0
	v_cndmask_b32_e64 v2, 0, 1, vcc_lo
	global_store_b8 v[10:11], v2, off
.LBB8_1689:
	s_mov_b32 s0, 0
	s_branch .LBB8_1736
.LBB8_1690:
	s_mov_b32 s0, 0
	s_mov_b32 s3, 0
                                        ; implicit-def: $sgpr12
                                        ; implicit-def: $vgpr0_vgpr1
                                        ; implicit-def: $vgpr12_vgpr13
.LBB8_1691:
	s_and_not1_b32 s2, s11, exec_lo
	s_and_b32 s4, s1, exec_lo
	s_and_b32 s0, s0, exec_lo
	;; [unrolled: 1-line block ×3, first 2 shown]
	s_or_b32 s11, s2, s4
.LBB8_1692:
	s_wait_xcnt 0x0
	s_or_b32 exec_lo, exec_lo, s10
	s_and_saveexec_b32 s2, s11
	s_cbranch_execz .LBB8_1695
; %bb.1693:
	; divergent unreachable
	s_or_b32 exec_lo, exec_lo, s2
	s_and_saveexec_b32 s2, s1
	s_delay_alu instid0(SALU_CYCLE_1)
	s_xor_b32 s1, exec_lo, s2
	s_cbranch_execnz .LBB8_1696
.LBB8_1694:
	s_or_b32 exec_lo, exec_lo, s1
	s_and_saveexec_b32 s1, s0
	s_cbranch_execnz .LBB8_1697
	s_branch .LBB8_1734
.LBB8_1695:
	s_or_b32 exec_lo, exec_lo, s2
	s_and_saveexec_b32 s2, s1
	s_delay_alu instid0(SALU_CYCLE_1)
	s_xor_b32 s1, exec_lo, s2
	s_cbranch_execz .LBB8_1694
.LBB8_1696:
	v_cmp_neq_f64_e32 vcc_lo, 0, v[12:13]
	s_wait_loadcnt 0x0
	v_cndmask_b32_e64 v2, 0, 1, vcc_lo
	global_store_b8 v[0:1], v2, off
	s_wait_xcnt 0x0
	s_or_b32 exec_lo, exec_lo, s1
	s_and_saveexec_b32 s1, s0
	s_cbranch_execz .LBB8_1734
.LBB8_1697:
	s_sext_i32_i16 s1, s12
	s_mov_b32 s0, -1
	s_cmp_lt_i32 s1, 5
	s_cbranch_scc1 .LBB8_1718
; %bb.1698:
	s_cmp_lt_i32 s1, 8
	s_cbranch_scc1 .LBB8_1708
; %bb.1699:
	;; [unrolled: 3-line block ×3, first 2 shown]
	s_cmp_gt_i32 s1, 9
	s_cbranch_scc0 .LBB8_1702
; %bb.1701:
	v_mov_b32_e32 v14, 0
	s_mov_b32 s0, 0
	s_delay_alu instid0(VALU_DEP_1)
	v_mov_b32_e32 v15, v14
	global_store_b128 v[0:1], v[12:15], off
.LBB8_1702:
	s_and_not1_b32 vcc_lo, exec_lo, s0
	s_cbranch_vccnz .LBB8_1704
; %bb.1703:
	s_wait_loadcnt 0x0
	v_cvt_f32_f64_e32 v2, v[12:13]
	v_mov_b32_e32 v3, 0
	global_store_b64 v[0:1], v[2:3], off
.LBB8_1704:
	s_mov_b32 s0, 0
.LBB8_1705:
	s_delay_alu instid0(SALU_CYCLE_1)
	s_and_not1_b32 vcc_lo, exec_lo, s0
	s_cbranch_vccnz .LBB8_1707
; %bb.1706:
	s_wait_loadcnt 0x0
	v_and_or_b32 v2, 0x1ff, v13, v12
	v_lshrrev_b32_e32 v3, 8, v13
	v_bfe_u32 v4, v13, 20, 11
	s_delay_alu instid0(VALU_DEP_3) | instskip(NEXT) | instid1(VALU_DEP_2)
	v_cmp_ne_u32_e32 vcc_lo, 0, v2
	v_sub_nc_u32_e32 v5, 0x3f1, v4
	v_add_nc_u32_e32 v4, 0xfffffc10, v4
	v_cndmask_b32_e64 v2, 0, 1, vcc_lo
	s_delay_alu instid0(VALU_DEP_1) | instskip(NEXT) | instid1(VALU_DEP_4)
	v_and_or_b32 v2, 0xffe, v3, v2
	v_med3_i32 v3, v5, 0, 13
	s_delay_alu instid0(VALU_DEP_2) | instskip(NEXT) | instid1(VALU_DEP_1)
	v_or_b32_e32 v5, 0x1000, v2
	v_lshrrev_b32_e32 v6, v3, v5
	s_delay_alu instid0(VALU_DEP_1) | instskip(NEXT) | instid1(VALU_DEP_1)
	v_lshlrev_b32_e32 v3, v3, v6
	v_cmp_ne_u32_e32 vcc_lo, v3, v5
	v_lshl_or_b32 v5, v4, 12, v2
	v_cndmask_b32_e64 v3, 0, 1, vcc_lo
	v_cmp_gt_i32_e32 vcc_lo, 1, v4
	s_delay_alu instid0(VALU_DEP_2) | instskip(NEXT) | instid1(VALU_DEP_1)
	v_or_b32_e32 v3, v6, v3
	v_cndmask_b32_e32 v3, v5, v3, vcc_lo
	s_delay_alu instid0(VALU_DEP_1) | instskip(NEXT) | instid1(VALU_DEP_1)
	v_dual_lshrrev_b32 v3, 2, v3 :: v_dual_bitop2_b32 v5, 7, v3 bitop3:0x40
	v_cmp_lt_i32_e32 vcc_lo, 5, v5
	v_cndmask_b32_e64 v6, 0, 1, vcc_lo
	v_cmp_eq_u32_e32 vcc_lo, 3, v5
	v_cndmask_b32_e64 v5, 0, 1, vcc_lo
	v_cmp_ne_u32_e32 vcc_lo, 0, v2
	s_delay_alu instid0(VALU_DEP_2) | instskip(NEXT) | instid1(VALU_DEP_1)
	v_or_b32_e32 v5, v5, v6
	v_dual_mov_b32 v6, 0x7e00 :: v_dual_add_nc_u32 v3, v3, v5
	s_delay_alu instid0(VALU_DEP_1) | instskip(SKIP_2) | instid1(VALU_DEP_4)
	v_cndmask_b32_e32 v2, 0x7c00, v6, vcc_lo
	v_cmp_gt_i32_e32 vcc_lo, 31, v4
	v_lshrrev_b32_e32 v5, 16, v13
	v_cndmask_b32_e32 v3, 0x7c00, v3, vcc_lo
	v_cmp_eq_u32_e32 vcc_lo, 0x40f, v4
	s_delay_alu instid0(VALU_DEP_2) | instskip(NEXT) | instid1(VALU_DEP_4)
	v_cndmask_b32_e32 v2, v3, v2, vcc_lo
	v_and_b32_e32 v3, 0x8000, v5
	s_delay_alu instid0(VALU_DEP_1)
	v_bitop3_b32 v2, v3, 0xffff, v2 bitop3:0xc8
	global_store_b32 v[0:1], v2, off
.LBB8_1707:
	s_mov_b32 s0, 0
.LBB8_1708:
	s_delay_alu instid0(SALU_CYCLE_1)
	s_and_not1_b32 vcc_lo, exec_lo, s0
	s_cbranch_vccnz .LBB8_1717
; %bb.1709:
	s_sext_i32_i16 s1, s12
	s_mov_b32 s0, -1
	s_cmp_lt_i32 s1, 6
	s_cbranch_scc1 .LBB8_1715
; %bb.1710:
	s_cmp_gt_i32 s1, 6
	s_cbranch_scc0 .LBB8_1712
; %bb.1711:
	s_mov_b32 s0, 0
	global_store_b64 v[0:1], v[12:13], off
.LBB8_1712:
	s_and_not1_b32 vcc_lo, exec_lo, s0
	s_cbranch_vccnz .LBB8_1714
; %bb.1713:
	s_wait_loadcnt 0x0
	v_cvt_f32_f64_e32 v2, v[12:13]
	global_store_b32 v[0:1], v2, off
.LBB8_1714:
	s_mov_b32 s0, 0
.LBB8_1715:
	s_delay_alu instid0(SALU_CYCLE_1)
	s_and_not1_b32 vcc_lo, exec_lo, s0
	s_cbranch_vccnz .LBB8_1717
; %bb.1716:
	s_wait_loadcnt 0x0
	v_and_or_b32 v2, 0x1ff, v13, v12
	v_lshrrev_b32_e32 v3, 8, v13
	v_bfe_u32 v4, v13, 20, 11
	s_delay_alu instid0(VALU_DEP_3) | instskip(NEXT) | instid1(VALU_DEP_2)
	v_cmp_ne_u32_e32 vcc_lo, 0, v2
	v_sub_nc_u32_e32 v5, 0x3f1, v4
	v_add_nc_u32_e32 v4, 0xfffffc10, v4
	v_cndmask_b32_e64 v2, 0, 1, vcc_lo
	s_delay_alu instid0(VALU_DEP_1) | instskip(NEXT) | instid1(VALU_DEP_4)
	v_and_or_b32 v2, 0xffe, v3, v2
	v_med3_i32 v3, v5, 0, 13
	s_delay_alu instid0(VALU_DEP_2) | instskip(NEXT) | instid1(VALU_DEP_1)
	v_or_b32_e32 v5, 0x1000, v2
	v_lshrrev_b32_e32 v6, v3, v5
	s_delay_alu instid0(VALU_DEP_1) | instskip(NEXT) | instid1(VALU_DEP_1)
	v_lshlrev_b32_e32 v3, v3, v6
	v_cmp_ne_u32_e32 vcc_lo, v3, v5
	v_lshl_or_b32 v5, v4, 12, v2
	v_cndmask_b32_e64 v3, 0, 1, vcc_lo
	v_cmp_gt_i32_e32 vcc_lo, 1, v4
	s_delay_alu instid0(VALU_DEP_2) | instskip(NEXT) | instid1(VALU_DEP_1)
	v_or_b32_e32 v3, v6, v3
	v_cndmask_b32_e32 v3, v5, v3, vcc_lo
	s_delay_alu instid0(VALU_DEP_1) | instskip(NEXT) | instid1(VALU_DEP_1)
	v_dual_lshrrev_b32 v3, 2, v3 :: v_dual_bitop2_b32 v5, 7, v3 bitop3:0x40
	v_cmp_lt_i32_e32 vcc_lo, 5, v5
	v_cndmask_b32_e64 v6, 0, 1, vcc_lo
	v_cmp_eq_u32_e32 vcc_lo, 3, v5
	v_cndmask_b32_e64 v5, 0, 1, vcc_lo
	v_cmp_ne_u32_e32 vcc_lo, 0, v2
	s_delay_alu instid0(VALU_DEP_2) | instskip(NEXT) | instid1(VALU_DEP_1)
	v_or_b32_e32 v5, v5, v6
	v_dual_mov_b32 v6, 0x7e00 :: v_dual_add_nc_u32 v3, v3, v5
	s_delay_alu instid0(VALU_DEP_1) | instskip(SKIP_1) | instid1(VALU_DEP_3)
	v_cndmask_b32_e32 v2, 0x7c00, v6, vcc_lo
	v_cmp_gt_i32_e32 vcc_lo, 31, v4
	v_cndmask_b32_e32 v3, 0x7c00, v3, vcc_lo
	v_cmp_eq_u32_e32 vcc_lo, 0x40f, v4
	s_delay_alu instid0(VALU_DEP_2) | instskip(NEXT) | instid1(VALU_DEP_1)
	v_dual_cndmask_b32 v2, v3, v2 :: v_dual_lshrrev_b32 v3, 16, v13
	v_and_or_b32 v2, 0x8000, v3, v2
	global_store_b16 v[0:1], v2, off
.LBB8_1717:
	s_mov_b32 s0, 0
.LBB8_1718:
	s_delay_alu instid0(SALU_CYCLE_1)
	s_and_not1_b32 vcc_lo, exec_lo, s0
	s_cbranch_vccnz .LBB8_1734
; %bb.1719:
	s_sext_i32_i16 s1, s12
	s_mov_b32 s0, -1
	s_cmp_lt_i32 s1, 2
	s_cbranch_scc1 .LBB8_1729
; %bb.1720:
	s_cmp_lt_i32 s1, 3
	s_cbranch_scc1 .LBB8_1726
; %bb.1721:
	s_cmp_gt_i32 s1, 3
	s_cbranch_scc0 .LBB8_1723
; %bb.1722:
	s_wait_loadcnt 0x0
	v_trunc_f64_e32 v[2:3], v[12:13]
	s_mov_b32 s0, 0
	s_delay_alu instid0(VALU_DEP_1) | instskip(NEXT) | instid1(VALU_DEP_1)
	v_ldexp_f64 v[4:5], v[2:3], 0xffffffe0
	v_floor_f64_e32 v[4:5], v[4:5]
	s_delay_alu instid0(VALU_DEP_1) | instskip(SKIP_1) | instid1(VALU_DEP_2)
	v_fmamk_f64 v[2:3], v[4:5], 0xc1f00000, v[2:3]
	v_cvt_i32_f64_e32 v5, v[4:5]
	v_cvt_u32_f64_e32 v4, v[2:3]
	global_store_b64 v[0:1], v[4:5], off
.LBB8_1723:
	s_and_not1_b32 vcc_lo, exec_lo, s0
	s_cbranch_vccnz .LBB8_1725
; %bb.1724:
	s_wait_loadcnt 0x0
	v_cvt_i32_f64_e32 v2, v[12:13]
	global_store_b32 v[0:1], v2, off
.LBB8_1725:
	s_mov_b32 s0, 0
.LBB8_1726:
	s_delay_alu instid0(SALU_CYCLE_1)
	s_and_not1_b32 vcc_lo, exec_lo, s0
	s_cbranch_vccnz .LBB8_1728
; %bb.1727:
	s_wait_loadcnt 0x0
	v_cvt_i32_f64_e32 v2, v[12:13]
	global_store_b16 v[0:1], v2, off
.LBB8_1728:
	s_mov_b32 s0, 0
.LBB8_1729:
	s_delay_alu instid0(SALU_CYCLE_1)
	s_and_not1_b32 vcc_lo, exec_lo, s0
	s_cbranch_vccnz .LBB8_1734
; %bb.1730:
	s_sext_i32_i16 s0, s12
	s_delay_alu instid0(SALU_CYCLE_1)
	s_cmp_gt_i32 s0, 0
	s_mov_b32 s0, -1
	s_cbranch_scc0 .LBB8_1732
; %bb.1731:
	s_wait_loadcnt 0x0
	v_cvt_i32_f64_e32 v2, v[12:13]
	s_mov_b32 s0, 0
	global_store_b8 v[0:1], v2, off
.LBB8_1732:
	s_and_not1_b32 vcc_lo, exec_lo, s0
	s_cbranch_vccnz .LBB8_1734
; %bb.1733:
	s_wait_loadcnt 0x0
	v_trunc_f64_e32 v[2:3], v[12:13]
	s_delay_alu instid0(VALU_DEP_1) | instskip(NEXT) | instid1(VALU_DEP_1)
	v_ldexp_f64 v[4:5], v[2:3], 0xffffffe0
	v_floor_f64_e32 v[4:5], v[4:5]
	s_delay_alu instid0(VALU_DEP_1) | instskip(NEXT) | instid1(VALU_DEP_1)
	v_fmamk_f64 v[2:3], v[4:5], 0xc1f00000, v[2:3]
	v_cvt_u32_f64_e32 v2, v[2:3]
	global_store_b8 v[0:1], v2, off
	s_endpgm
.LBB8_1734:
	s_endpgm
.LBB8_1735:
	s_mov_b32 s0, -1
	s_mov_b32 s7, 0
.LBB8_1736:
	s_and_b32 vcc_lo, exec_lo, s0
	s_cbranch_vccz .LBB8_1775
; %bb.1737:
	s_and_b32 s0, 0xffff, s12
	s_mov_b32 s3, -1
	s_cmp_lt_i32 s0, 5
	s_cbranch_scc1 .LBB8_1758
; %bb.1738:
	s_cmp_lt_i32 s0, 8
	s_cbranch_scc1 .LBB8_1748
; %bb.1739:
	;; [unrolled: 3-line block ×3, first 2 shown]
	s_cmp_gt_i32 s0, 9
	s_cbranch_scc0 .LBB8_1742
; %bb.1741:
	s_wait_xcnt 0x0
	v_mov_b32_e32 v2, 0
	s_mov_b32 s3, 0
	s_delay_alu instid0(VALU_DEP_1)
	v_mov_b32_e32 v3, v2
	global_store_b128 v[10:11], v[0:3], off
.LBB8_1742:
	s_and_not1_b32 vcc_lo, exec_lo, s3
	s_cbranch_vccnz .LBB8_1744
; %bb.1743:
	s_wait_xcnt 0x0
	v_cvt_f32_f64_e32 v2, v[0:1]
	v_mov_b32_e32 v3, 0
	global_store_b64 v[10:11], v[2:3], off
.LBB8_1744:
	s_mov_b32 s3, 0
.LBB8_1745:
	s_delay_alu instid0(SALU_CYCLE_1)
	s_and_not1_b32 vcc_lo, exec_lo, s3
	s_cbranch_vccnz .LBB8_1747
; %bb.1746:
	s_wait_xcnt 0x0
	v_and_or_b32 v2, 0x1ff, v1, v0
	v_lshrrev_b32_e32 v3, 8, v1
	v_bfe_u32 v7, v1, 20, 11
	s_delay_alu instid0(VALU_DEP_3) | instskip(NEXT) | instid1(VALU_DEP_2)
	v_cmp_ne_u32_e32 vcc_lo, 0, v2
	v_sub_nc_u32_e32 v14, 0x3f1, v7
	v_add_nc_u32_e32 v7, 0xfffffc10, v7
	v_cndmask_b32_e64 v2, 0, 1, vcc_lo
	s_delay_alu instid0(VALU_DEP_1) | instskip(NEXT) | instid1(VALU_DEP_4)
	v_and_or_b32 v2, 0xffe, v3, v2
	v_med3_i32 v3, v14, 0, 13
	s_delay_alu instid0(VALU_DEP_2) | instskip(NEXT) | instid1(VALU_DEP_1)
	v_or_b32_e32 v14, 0x1000, v2
	v_lshrrev_b32_e32 v15, v3, v14
	s_delay_alu instid0(VALU_DEP_1) | instskip(NEXT) | instid1(VALU_DEP_1)
	v_lshlrev_b32_e32 v3, v3, v15
	v_cmp_ne_u32_e32 vcc_lo, v3, v14
	v_lshl_or_b32 v14, v7, 12, v2
	v_cndmask_b32_e64 v3, 0, 1, vcc_lo
	v_cmp_gt_i32_e32 vcc_lo, 1, v7
	s_delay_alu instid0(VALU_DEP_2) | instskip(NEXT) | instid1(VALU_DEP_1)
	v_or_b32_e32 v3, v15, v3
	v_cndmask_b32_e32 v3, v14, v3, vcc_lo
	s_delay_alu instid0(VALU_DEP_1) | instskip(NEXT) | instid1(VALU_DEP_1)
	v_dual_lshrrev_b32 v3, 2, v3 :: v_dual_bitop2_b32 v14, 7, v3 bitop3:0x40
	v_cmp_lt_i32_e32 vcc_lo, 5, v14
	v_cndmask_b32_e64 v15, 0, 1, vcc_lo
	v_cmp_eq_u32_e32 vcc_lo, 3, v14
	v_cndmask_b32_e64 v14, 0, 1, vcc_lo
	v_cmp_ne_u32_e32 vcc_lo, 0, v2
	s_delay_alu instid0(VALU_DEP_2) | instskip(SKIP_1) | instid1(VALU_DEP_1)
	v_or_b32_e32 v14, v14, v15
	v_mov_b32_e32 v15, 0x7e00
	v_dual_cndmask_b32 v2, 0x7c00, v15 :: v_dual_add_nc_u32 v3, v3, v14
	v_cmp_gt_i32_e32 vcc_lo, 31, v7
	s_delay_alu instid0(VALU_DEP_2) | instskip(SKIP_1) | instid1(VALU_DEP_2)
	v_dual_cndmask_b32 v3, 0x7c00, v3 :: v_dual_lshrrev_b32 v14, 16, v1
	v_cmp_eq_u32_e32 vcc_lo, 0x40f, v7
	v_cndmask_b32_e32 v2, v3, v2, vcc_lo
	s_delay_alu instid0(VALU_DEP_3) | instskip(NEXT) | instid1(VALU_DEP_1)
	v_and_b32_e32 v3, 0x8000, v14
	v_bitop3_b32 v2, v3, 0xffff, v2 bitop3:0xc8
	global_store_b32 v[10:11], v2, off
.LBB8_1747:
	s_mov_b32 s3, 0
.LBB8_1748:
	s_delay_alu instid0(SALU_CYCLE_1)
	s_and_not1_b32 vcc_lo, exec_lo, s3
	s_cbranch_vccnz .LBB8_1757
; %bb.1749:
	s_cmp_lt_i32 s0, 6
	s_mov_b32 s3, -1
	s_cbranch_scc1 .LBB8_1755
; %bb.1750:
	s_cmp_gt_i32 s0, 6
	s_cbranch_scc0 .LBB8_1752
; %bb.1751:
	s_mov_b32 s3, 0
	global_store_b64 v[10:11], v[0:1], off
.LBB8_1752:
	s_and_not1_b32 vcc_lo, exec_lo, s3
	s_cbranch_vccnz .LBB8_1754
; %bb.1753:
	s_wait_xcnt 0x0
	v_cvt_f32_f64_e32 v2, v[0:1]
	global_store_b32 v[10:11], v2, off
.LBB8_1754:
	s_mov_b32 s3, 0
.LBB8_1755:
	s_delay_alu instid0(SALU_CYCLE_1)
	s_and_not1_b32 vcc_lo, exec_lo, s3
	s_cbranch_vccnz .LBB8_1757
; %bb.1756:
	s_wait_xcnt 0x0
	v_and_or_b32 v2, 0x1ff, v1, v0
	v_lshrrev_b32_e32 v3, 8, v1
	v_bfe_u32 v7, v1, 20, 11
	s_delay_alu instid0(VALU_DEP_3) | instskip(NEXT) | instid1(VALU_DEP_2)
	v_cmp_ne_u32_e32 vcc_lo, 0, v2
	v_sub_nc_u32_e32 v14, 0x3f1, v7
	v_add_nc_u32_e32 v7, 0xfffffc10, v7
	v_cndmask_b32_e64 v2, 0, 1, vcc_lo
	s_delay_alu instid0(VALU_DEP_1) | instskip(NEXT) | instid1(VALU_DEP_4)
	v_and_or_b32 v2, 0xffe, v3, v2
	v_med3_i32 v3, v14, 0, 13
	s_delay_alu instid0(VALU_DEP_2) | instskip(NEXT) | instid1(VALU_DEP_1)
	v_or_b32_e32 v14, 0x1000, v2
	v_lshrrev_b32_e32 v15, v3, v14
	s_delay_alu instid0(VALU_DEP_1) | instskip(NEXT) | instid1(VALU_DEP_1)
	v_lshlrev_b32_e32 v3, v3, v15
	v_cmp_ne_u32_e32 vcc_lo, v3, v14
	v_lshl_or_b32 v14, v7, 12, v2
	v_cndmask_b32_e64 v3, 0, 1, vcc_lo
	v_cmp_gt_i32_e32 vcc_lo, 1, v7
	s_delay_alu instid0(VALU_DEP_2) | instskip(NEXT) | instid1(VALU_DEP_1)
	v_or_b32_e32 v3, v15, v3
	v_cndmask_b32_e32 v3, v14, v3, vcc_lo
	s_delay_alu instid0(VALU_DEP_1) | instskip(NEXT) | instid1(VALU_DEP_1)
	v_dual_lshrrev_b32 v3, 2, v3 :: v_dual_bitop2_b32 v14, 7, v3 bitop3:0x40
	v_cmp_lt_i32_e32 vcc_lo, 5, v14
	v_cndmask_b32_e64 v15, 0, 1, vcc_lo
	v_cmp_eq_u32_e32 vcc_lo, 3, v14
	v_cndmask_b32_e64 v14, 0, 1, vcc_lo
	v_cmp_ne_u32_e32 vcc_lo, 0, v2
	s_delay_alu instid0(VALU_DEP_2) | instskip(SKIP_1) | instid1(VALU_DEP_1)
	v_or_b32_e32 v14, v14, v15
	v_mov_b32_e32 v15, 0x7e00
	v_dual_cndmask_b32 v2, 0x7c00, v15 :: v_dual_add_nc_u32 v3, v3, v14
	v_cmp_gt_i32_e32 vcc_lo, 31, v7
	s_delay_alu instid0(VALU_DEP_2) | instskip(SKIP_1) | instid1(VALU_DEP_2)
	v_cndmask_b32_e32 v3, 0x7c00, v3, vcc_lo
	v_cmp_eq_u32_e32 vcc_lo, 0x40f, v7
	v_dual_cndmask_b32 v2, v3, v2 :: v_dual_lshrrev_b32 v3, 16, v1
	s_delay_alu instid0(VALU_DEP_1)
	v_and_or_b32 v2, 0x8000, v3, v2
	global_store_b16 v[10:11], v2, off
.LBB8_1757:
	s_mov_b32 s3, 0
.LBB8_1758:
	s_delay_alu instid0(SALU_CYCLE_1)
	s_and_not1_b32 vcc_lo, exec_lo, s3
	s_cbranch_vccnz .LBB8_1774
; %bb.1759:
	s_cmp_lt_i32 s0, 2
	s_mov_b32 s3, -1
	s_cbranch_scc1 .LBB8_1769
; %bb.1760:
	s_cmp_lt_i32 s0, 3
	s_cbranch_scc1 .LBB8_1766
; %bb.1761:
	s_cmp_gt_i32 s0, 3
	s_cbranch_scc0 .LBB8_1763
; %bb.1762:
	s_wait_xcnt 0x0
	v_trunc_f64_e32 v[2:3], v[0:1]
	s_mov_b32 s3, 0
	s_delay_alu instid0(VALU_DEP_1) | instskip(NEXT) | instid1(VALU_DEP_1)
	v_ldexp_f64 v[14:15], v[2:3], 0xffffffe0
	v_floor_f64_e32 v[14:15], v[14:15]
	s_delay_alu instid0(VALU_DEP_1) | instskip(SKIP_1) | instid1(VALU_DEP_2)
	v_fmamk_f64 v[2:3], v[14:15], 0xc1f00000, v[2:3]
	v_cvt_i32_f64_e32 v15, v[14:15]
	v_cvt_u32_f64_e32 v14, v[2:3]
	global_store_b64 v[10:11], v[14:15], off
.LBB8_1763:
	s_and_not1_b32 vcc_lo, exec_lo, s3
	s_cbranch_vccnz .LBB8_1765
; %bb.1764:
	s_wait_xcnt 0x0
	v_cvt_i32_f64_e32 v2, v[0:1]
	global_store_b32 v[10:11], v2, off
.LBB8_1765:
	s_mov_b32 s3, 0
.LBB8_1766:
	s_delay_alu instid0(SALU_CYCLE_1)
	s_and_not1_b32 vcc_lo, exec_lo, s3
	s_cbranch_vccnz .LBB8_1768
; %bb.1767:
	s_wait_xcnt 0x0
	v_cvt_i32_f64_e32 v2, v[0:1]
	global_store_b16 v[10:11], v2, off
.LBB8_1768:
	s_mov_b32 s3, 0
.LBB8_1769:
	s_delay_alu instid0(SALU_CYCLE_1)
	s_and_not1_b32 vcc_lo, exec_lo, s3
	s_cbranch_vccnz .LBB8_1774
; %bb.1770:
	s_cmp_gt_i32 s0, 0
	s_mov_b32 s0, -1
	s_cbranch_scc0 .LBB8_1772
; %bb.1771:
	s_wait_xcnt 0x0
	v_cvt_i32_f64_e32 v2, v[0:1]
	s_mov_b32 s0, 0
	global_store_b8 v[10:11], v2, off
.LBB8_1772:
	s_and_not1_b32 vcc_lo, exec_lo, s0
	s_cbranch_vccnz .LBB8_1774
; %bb.1773:
	s_wait_xcnt 0x0
	v_trunc_f64_e32 v[0:1], v[0:1]
	s_delay_alu instid0(VALU_DEP_1) | instskip(NEXT) | instid1(VALU_DEP_1)
	v_ldexp_f64 v[2:3], v[0:1], 0xffffffe0
	v_floor_f64_e32 v[2:3], v[2:3]
	s_delay_alu instid0(VALU_DEP_1) | instskip(NEXT) | instid1(VALU_DEP_1)
	v_fmamk_f64 v[0:1], v[2:3], 0xc1f00000, v[0:1]
	v_cvt_u32_f64_e32 v0, v[0:1]
	global_store_b8 v[10:11], v0, off
.LBB8_1774:
	s_mov_b32 s7, -1
.LBB8_1775:
	s_delay_alu instid0(SALU_CYCLE_1)
	s_and_not1_b32 vcc_lo, exec_lo, s7
	s_cbranch_vccnz .LBB8_2090
; %bb.1776:
	s_lshl_b32 s2, s2, 7
	s_cmp_lt_i32 s12, 11
	s_wait_xcnt 0x0
	v_add_nc_u32_e32 v0, s2, v6
	s_delay_alu instid0(VALU_DEP_1) | instskip(NEXT) | instid1(VALU_DEP_1)
	v_ashrrev_i32_e32 v1, 31, v0
	v_add_nc_u64_e32 v[2:3], s[4:5], v[0:1]
	s_cbranch_scc1 .LBB8_1854
; %bb.1777:
	s_and_b32 s3, 0xffff, s12
	s_mov_b32 s8, -1
	s_mov_b32 s6, 0
	s_cmp_gt_i32 s3, 25
	s_mov_b32 s7, 0
	s_mov_b32 s0, 0
	s_cbranch_scc0 .LBB8_1810
; %bb.1778:
	s_cmp_gt_i32 s3, 28
	s_cbranch_scc0 .LBB8_1793
; %bb.1779:
	s_cmp_gt_i32 s3, 43
	;; [unrolled: 3-line block ×3, first 2 shown]
	s_cbranch_scc0 .LBB8_1783
; %bb.1781:
	s_mov_b32 s0, -1
	s_mov_b32 s8, 0
	s_cmp_eq_u32 s3, 46
	s_cbranch_scc0 .LBB8_1783
; %bb.1782:
	v_cvt_f32_f64_e32 v1, v[4:5]
	s_mov_b32 s0, 0
	s_mov_b32 s7, -1
	s_delay_alu instid0(VALU_DEP_1) | instskip(SKIP_1) | instid1(VALU_DEP_2)
	v_bfe_u32 v6, v1, 16, 1
	v_cmp_o_f32_e32 vcc_lo, v1, v1
	v_add3_u32 v6, v1, v6, 0x7fff
	s_delay_alu instid0(VALU_DEP_1) | instskip(NEXT) | instid1(VALU_DEP_1)
	v_lshrrev_b32_e32 v6, 16, v6
	v_cndmask_b32_e32 v1, 0x7fc0, v6, vcc_lo
	global_store_b32 v[2:3], v1, off
.LBB8_1783:
	s_and_b32 vcc_lo, exec_lo, s8
	s_cbranch_vccz .LBB8_1788
; %bb.1784:
	s_cmp_eq_u32 s3, 44
	s_mov_b32 s0, -1
	s_cbranch_scc0 .LBB8_1788
; %bb.1785:
	s_wait_xcnt 0x0
	v_cvt_f32_f64_e32 v1, v[4:5]
	v_mov_b32_e32 v6, 0xff
	s_mov_b32 s7, exec_lo
	s_delay_alu instid0(VALU_DEP_2) | instskip(NEXT) | instid1(VALU_DEP_1)
	v_bfe_u32 v7, v1, 23, 8
	v_cmpx_ne_u32_e32 0xff, v7
	s_cbranch_execz .LBB8_1787
; %bb.1786:
	v_and_b32_e32 v6, 0x400000, v1
	v_and_or_b32 v7, 0x3fffff, v1, v7
	v_lshrrev_b32_e32 v1, 23, v1
	s_delay_alu instid0(VALU_DEP_3) | instskip(NEXT) | instid1(VALU_DEP_3)
	v_cmp_ne_u32_e32 vcc_lo, 0, v6
	v_cmp_ne_u32_e64 s0, 0, v7
	s_and_b32 s0, vcc_lo, s0
	s_delay_alu instid0(SALU_CYCLE_1) | instskip(NEXT) | instid1(VALU_DEP_1)
	v_cndmask_b32_e64 v6, 0, 1, s0
	v_add_nc_u32_e32 v6, v1, v6
.LBB8_1787:
	s_or_b32 exec_lo, exec_lo, s7
	s_mov_b32 s0, 0
	s_mov_b32 s7, -1
	global_store_b8 v[2:3], v6, off
.LBB8_1788:
	s_mov_b32 s8, 0
.LBB8_1789:
	s_delay_alu instid0(SALU_CYCLE_1)
	s_and_b32 vcc_lo, exec_lo, s8
	s_cbranch_vccz .LBB8_1792
; %bb.1790:
	s_cmp_eq_u32 s3, 29
	s_mov_b32 s0, -1
	s_cbranch_scc0 .LBB8_1792
; %bb.1791:
	s_wait_xcnt 0x0
	v_trunc_f64_e32 v[6:7], v[4:5]
	s_mov_b32 s0, 0
	s_mov_b32 s7, -1
	s_delay_alu instid0(VALU_DEP_1) | instskip(NEXT) | instid1(VALU_DEP_1)
	v_ldexp_f64 v[10:11], v[6:7], 0xffffffe0
	v_floor_f64_e32 v[10:11], v[10:11]
	s_delay_alu instid0(VALU_DEP_1) | instskip(SKIP_1) | instid1(VALU_DEP_2)
	v_fmamk_f64 v[6:7], v[10:11], 0xc1f00000, v[6:7]
	v_cvt_u32_f64_e32 v11, v[10:11]
	v_cvt_u32_f64_e32 v10, v[6:7]
	global_store_b64 v[2:3], v[10:11], off
.LBB8_1792:
	s_mov_b32 s8, 0
.LBB8_1793:
	s_delay_alu instid0(SALU_CYCLE_1)
	s_and_b32 vcc_lo, exec_lo, s8
	s_cbranch_vccz .LBB8_1809
; %bb.1794:
	s_cmp_lt_i32 s3, 27
	s_mov_b32 s7, -1
	s_cbranch_scc1 .LBB8_1800
; %bb.1795:
	s_wait_xcnt 0x0
	v_cvt_u32_f64_e32 v1, v[4:5]
	s_cmp_gt_i32 s3, 27
	s_cbranch_scc0 .LBB8_1797
; %bb.1796:
	s_mov_b32 s7, 0
	global_store_b32 v[2:3], v1, off
.LBB8_1797:
	s_and_not1_b32 vcc_lo, exec_lo, s7
	s_cbranch_vccnz .LBB8_1799
; %bb.1798:
	global_store_b16 v[2:3], v1, off
.LBB8_1799:
	s_mov_b32 s7, 0
.LBB8_1800:
	s_delay_alu instid0(SALU_CYCLE_1)
	s_and_not1_b32 vcc_lo, exec_lo, s7
	s_cbranch_vccnz .LBB8_1808
; %bb.1801:
	s_wait_xcnt 0x0
	v_cvt_f32_f64_e32 v1, v[4:5]
	v_mov_b32_e32 v7, 0x80
	s_mov_b32 s7, exec_lo
	s_delay_alu instid0(VALU_DEP_2) | instskip(NEXT) | instid1(VALU_DEP_1)
	v_and_b32_e32 v6, 0x7fffffff, v1
	v_cmpx_gt_u32_e32 0x43800000, v6
	s_cbranch_execz .LBB8_1807
; %bb.1802:
	v_cmp_lt_u32_e32 vcc_lo, 0x3bffffff, v6
	s_mov_b32 s8, 0
                                        ; implicit-def: $vgpr6
	s_and_saveexec_b32 s9, vcc_lo
	s_delay_alu instid0(SALU_CYCLE_1)
	s_xor_b32 s9, exec_lo, s9
	s_cbranch_execz .LBB8_2098
; %bb.1803:
	v_bfe_u32 v6, v1, 20, 1
	s_mov_b32 s8, exec_lo
	s_delay_alu instid0(VALU_DEP_1) | instskip(NEXT) | instid1(VALU_DEP_1)
	v_add3_u32 v6, v1, v6, 0x487ffff
	v_lshrrev_b32_e32 v6, 20, v6
	s_and_not1_saveexec_b32 s9, s9
	s_cbranch_execnz .LBB8_2099
.LBB8_1804:
	s_or_b32 exec_lo, exec_lo, s9
	v_mov_b32_e32 v7, 0
	s_and_saveexec_b32 s9, s8
.LBB8_1805:
	v_lshrrev_b32_e32 v1, 24, v1
	s_delay_alu instid0(VALU_DEP_1)
	v_and_or_b32 v7, 0x80, v1, v6
.LBB8_1806:
	s_or_b32 exec_lo, exec_lo, s9
.LBB8_1807:
	s_delay_alu instid0(SALU_CYCLE_1)
	s_or_b32 exec_lo, exec_lo, s7
	global_store_b8 v[2:3], v7, off
.LBB8_1808:
	s_mov_b32 s7, -1
.LBB8_1809:
	s_mov_b32 s8, 0
.LBB8_1810:
	s_delay_alu instid0(SALU_CYCLE_1)
	s_and_b32 vcc_lo, exec_lo, s8
	s_cbranch_vccz .LBB8_1850
; %bb.1811:
	s_cmp_gt_i32 s3, 22
	s_mov_b32 s6, -1
	s_cbranch_scc0 .LBB8_1843
; %bb.1812:
	s_cmp_lt_i32 s3, 24
	s_cbranch_scc1 .LBB8_1832
; %bb.1813:
	s_cmp_gt_i32 s3, 24
	s_cbranch_scc0 .LBB8_1821
; %bb.1814:
	s_wait_xcnt 0x0
	v_cvt_f32_f64_e32 v1, v[4:5]
	v_mov_b32_e32 v7, 0x80
	s_mov_b32 s6, exec_lo
	s_delay_alu instid0(VALU_DEP_2) | instskip(NEXT) | instid1(VALU_DEP_1)
	v_and_b32_e32 v6, 0x7fffffff, v1
	v_cmpx_gt_u32_e32 0x47800000, v6
	s_cbranch_execz .LBB8_1820
; %bb.1815:
	v_cmp_lt_u32_e32 vcc_lo, 0x37ffffff, v6
	s_mov_b32 s7, 0
                                        ; implicit-def: $vgpr6
	s_and_saveexec_b32 s8, vcc_lo
	s_delay_alu instid0(SALU_CYCLE_1)
	s_xor_b32 s8, exec_lo, s8
	s_cbranch_execz .LBB8_2101
; %bb.1816:
	v_bfe_u32 v6, v1, 21, 1
	s_mov_b32 s7, exec_lo
	s_delay_alu instid0(VALU_DEP_1) | instskip(NEXT) | instid1(VALU_DEP_1)
	v_add3_u32 v6, v1, v6, 0x88fffff
	v_lshrrev_b32_e32 v6, 21, v6
	s_and_not1_saveexec_b32 s8, s8
	s_cbranch_execnz .LBB8_2102
.LBB8_1817:
	s_or_b32 exec_lo, exec_lo, s8
	v_mov_b32_e32 v7, 0
	s_and_saveexec_b32 s8, s7
.LBB8_1818:
	v_lshrrev_b32_e32 v1, 24, v1
	s_delay_alu instid0(VALU_DEP_1)
	v_and_or_b32 v7, 0x80, v1, v6
.LBB8_1819:
	s_or_b32 exec_lo, exec_lo, s8
.LBB8_1820:
	s_delay_alu instid0(SALU_CYCLE_1)
	s_or_b32 exec_lo, exec_lo, s6
	s_mov_b32 s6, 0
	global_store_b8 v[2:3], v7, off
.LBB8_1821:
	s_and_b32 vcc_lo, exec_lo, s6
	s_cbranch_vccz .LBB8_1831
; %bb.1822:
	s_wait_xcnt 0x0
	v_cvt_f32_f64_e32 v1, v[4:5]
	s_mov_b32 s6, exec_lo
                                        ; implicit-def: $vgpr6
	s_delay_alu instid0(VALU_DEP_1) | instskip(NEXT) | instid1(VALU_DEP_1)
	v_and_b32_e32 v7, 0x7fffffff, v1
	v_cmpx_gt_u32_e32 0x43f00000, v7
	s_xor_b32 s6, exec_lo, s6
	s_cbranch_execz .LBB8_1828
; %bb.1823:
	s_mov_b32 s7, exec_lo
                                        ; implicit-def: $vgpr6
	v_cmpx_lt_u32_e32 0x3c7fffff, v7
	s_xor_b32 s7, exec_lo, s7
; %bb.1824:
	v_bfe_u32 v6, v1, 20, 1
	s_delay_alu instid0(VALU_DEP_1) | instskip(NEXT) | instid1(VALU_DEP_1)
	v_add3_u32 v6, v1, v6, 0x407ffff
	v_and_b32_e32 v7, 0xff00000, v6
	v_lshrrev_b32_e32 v6, 20, v6
	s_delay_alu instid0(VALU_DEP_2) | instskip(NEXT) | instid1(VALU_DEP_2)
	v_cmp_ne_u32_e32 vcc_lo, 0x7f00000, v7
	v_cndmask_b32_e32 v6, 0x7e, v6, vcc_lo
; %bb.1825:
	s_and_not1_saveexec_b32 s7, s7
; %bb.1826:
	v_add_f32_e64 v6, 0x46800000, |v1|
; %bb.1827:
	s_or_b32 exec_lo, exec_lo, s7
                                        ; implicit-def: $vgpr7
.LBB8_1828:
	s_and_not1_saveexec_b32 s6, s6
; %bb.1829:
	v_mov_b32_e32 v6, 0x7f
	v_cmp_lt_u32_e32 vcc_lo, 0x7f800000, v7
	s_delay_alu instid0(VALU_DEP_2)
	v_cndmask_b32_e32 v6, 0x7e, v6, vcc_lo
; %bb.1830:
	s_or_b32 exec_lo, exec_lo, s6
	v_lshrrev_b32_e32 v1, 24, v1
	s_delay_alu instid0(VALU_DEP_1)
	v_and_or_b32 v1, 0x80, v1, v6
	global_store_b8 v[2:3], v1, off
.LBB8_1831:
	s_mov_b32 s6, 0
.LBB8_1832:
	s_delay_alu instid0(SALU_CYCLE_1)
	s_and_not1_b32 vcc_lo, exec_lo, s6
	s_cbranch_vccnz .LBB8_1842
; %bb.1833:
	s_wait_xcnt 0x0
	v_cvt_f32_f64_e32 v1, v[4:5]
	s_mov_b32 s6, exec_lo
                                        ; implicit-def: $vgpr6
	s_delay_alu instid0(VALU_DEP_1) | instskip(NEXT) | instid1(VALU_DEP_1)
	v_and_b32_e32 v7, 0x7fffffff, v1
	v_cmpx_gt_u32_e32 0x47800000, v7
	s_xor_b32 s6, exec_lo, s6
	s_cbranch_execz .LBB8_1839
; %bb.1834:
	s_mov_b32 s7, exec_lo
                                        ; implicit-def: $vgpr6
	v_cmpx_lt_u32_e32 0x387fffff, v7
	s_xor_b32 s7, exec_lo, s7
; %bb.1835:
	v_bfe_u32 v6, v1, 21, 1
	s_delay_alu instid0(VALU_DEP_1) | instskip(NEXT) | instid1(VALU_DEP_1)
	v_add3_u32 v6, v1, v6, 0x80fffff
	v_lshrrev_b32_e32 v6, 21, v6
; %bb.1836:
	s_and_not1_saveexec_b32 s7, s7
; %bb.1837:
	v_add_f32_e64 v6, 0x43000000, |v1|
; %bb.1838:
	s_or_b32 exec_lo, exec_lo, s7
                                        ; implicit-def: $vgpr7
.LBB8_1839:
	s_and_not1_saveexec_b32 s6, s6
; %bb.1840:
	v_mov_b32_e32 v6, 0x7f
	v_cmp_lt_u32_e32 vcc_lo, 0x7f800000, v7
	s_delay_alu instid0(VALU_DEP_2)
	v_cndmask_b32_e32 v6, 0x7c, v6, vcc_lo
; %bb.1841:
	s_or_b32 exec_lo, exec_lo, s6
	v_lshrrev_b32_e32 v1, 24, v1
	s_delay_alu instid0(VALU_DEP_1)
	v_and_or_b32 v1, 0x80, v1, v6
	global_store_b8 v[2:3], v1, off
.LBB8_1842:
	s_mov_b32 s6, 0
	s_mov_b32 s7, -1
.LBB8_1843:
	s_and_not1_b32 vcc_lo, exec_lo, s6
	s_mov_b32 s6, 0
	s_cbranch_vccnz .LBB8_1850
; %bb.1844:
	s_cmp_gt_i32 s3, 14
	s_mov_b32 s6, -1
	s_cbranch_scc0 .LBB8_1848
; %bb.1845:
	s_cmp_eq_u32 s3, 15
	s_mov_b32 s0, -1
	s_cbranch_scc0 .LBB8_1847
; %bb.1846:
	s_wait_xcnt 0x0
	v_cvt_f32_f64_e32 v1, v[4:5]
	s_mov_b32 s0, 0
	s_mov_b32 s7, -1
	s_delay_alu instid0(VALU_DEP_1) | instskip(SKIP_1) | instid1(VALU_DEP_2)
	v_bfe_u32 v6, v1, 16, 1
	v_cmp_o_f32_e32 vcc_lo, v1, v1
	v_add3_u32 v6, v1, v6, 0x7fff
	s_delay_alu instid0(VALU_DEP_1) | instskip(NEXT) | instid1(VALU_DEP_1)
	v_lshrrev_b32_e32 v6, 16, v6
	v_cndmask_b32_e32 v1, 0x7fc0, v6, vcc_lo
	global_store_b16 v[2:3], v1, off
.LBB8_1847:
	s_mov_b32 s6, 0
.LBB8_1848:
	s_delay_alu instid0(SALU_CYCLE_1)
	s_and_b32 vcc_lo, exec_lo, s6
	s_mov_b32 s6, 0
	s_cbranch_vccz .LBB8_1850
; %bb.1849:
	s_cmp_lg_u32 s3, 11
	s_mov_b32 s6, -1
	s_cselect_b32 s0, -1, 0
.LBB8_1850:
	s_delay_alu instid0(SALU_CYCLE_1)
	s_and_b32 vcc_lo, exec_lo, s0
	s_cbranch_vccnz .LBB8_2100
; %bb.1851:
	s_and_not1_b32 vcc_lo, exec_lo, s6
	s_cbranch_vccnz .LBB8_1853
.LBB8_1852:
	v_cmp_neq_f64_e32 vcc_lo, 0, v[4:5]
	s_mov_b32 s7, -1
	s_wait_xcnt 0x0
	v_cndmask_b32_e64 v1, 0, 1, vcc_lo
	global_store_b8 v[2:3], v1, off
.LBB8_1853:
	s_mov_b32 s0, 0
	s_branch .LBB8_1855
.LBB8_1854:
	s_mov_b32 s0, -1
	s_mov_b32 s7, 0
.LBB8_1855:
	s_and_b32 vcc_lo, exec_lo, s0
	s_cbranch_vccz .LBB8_1894
; %bb.1856:
	s_and_b32 s0, 0xffff, s12
	s_mov_b32 s3, -1
	s_cmp_lt_i32 s0, 5
	s_cbranch_scc1 .LBB8_1877
; %bb.1857:
	s_cmp_lt_i32 s0, 8
	s_cbranch_scc1 .LBB8_1867
; %bb.1858:
	;; [unrolled: 3-line block ×3, first 2 shown]
	s_cmp_gt_i32 s0, 9
	s_cbranch_scc0 .LBB8_1861
; %bb.1860:
	s_wait_xcnt 0x0
	v_mov_b32_e32 v6, 0
	s_mov_b32 s3, 0
	s_delay_alu instid0(VALU_DEP_1)
	v_mov_b32_e32 v7, v6
	global_store_b128 v[2:3], v[4:7], off
.LBB8_1861:
	s_and_not1_b32 vcc_lo, exec_lo, s3
	s_cbranch_vccnz .LBB8_1863
; %bb.1862:
	s_wait_xcnt 0x0
	v_cvt_f32_f64_e32 v6, v[4:5]
	v_mov_b32_e32 v7, 0
	global_store_b64 v[2:3], v[6:7], off
.LBB8_1863:
	s_mov_b32 s3, 0
.LBB8_1864:
	s_delay_alu instid0(SALU_CYCLE_1)
	s_and_not1_b32 vcc_lo, exec_lo, s3
	s_cbranch_vccnz .LBB8_1866
; %bb.1865:
	s_wait_xcnt 0x0
	v_and_or_b32 v1, 0x1ff, v5, v4
	v_lshrrev_b32_e32 v6, 8, v5
	v_bfe_u32 v7, v5, 20, 11
	s_delay_alu instid0(VALU_DEP_3) | instskip(NEXT) | instid1(VALU_DEP_2)
	v_cmp_ne_u32_e32 vcc_lo, 0, v1
	v_sub_nc_u32_e32 v10, 0x3f1, v7
	v_cndmask_b32_e64 v1, 0, 1, vcc_lo
	s_delay_alu instid0(VALU_DEP_1) | instskip(NEXT) | instid1(VALU_DEP_3)
	v_and_or_b32 v1, 0xffe, v6, v1
	v_med3_i32 v6, v10, 0, 13
	s_delay_alu instid0(VALU_DEP_2) | instskip(NEXT) | instid1(VALU_DEP_1)
	v_or_b32_e32 v10, 0x1000, v1
	v_lshrrev_b32_e32 v11, v6, v10
	s_delay_alu instid0(VALU_DEP_1) | instskip(NEXT) | instid1(VALU_DEP_1)
	v_lshlrev_b32_e32 v6, v6, v11
	v_cmp_ne_u32_e32 vcc_lo, v6, v10
	v_cndmask_b32_e64 v6, 0, 1, vcc_lo
	s_delay_alu instid0(VALU_DEP_1) | instskip(SKIP_1) | instid1(VALU_DEP_1)
	v_or_b32_e32 v6, v11, v6
	v_add_nc_u32_e32 v7, 0xfffffc10, v7
	v_lshl_or_b32 v10, v7, 12, v1
	v_cmp_gt_i32_e32 vcc_lo, 1, v7
	s_delay_alu instid0(VALU_DEP_2) | instskip(NEXT) | instid1(VALU_DEP_1)
	v_cndmask_b32_e32 v6, v10, v6, vcc_lo
	v_dual_lshrrev_b32 v6, 2, v6 :: v_dual_bitop2_b32 v10, 7, v6 bitop3:0x40
	s_delay_alu instid0(VALU_DEP_1) | instskip(SKIP_4) | instid1(VALU_DEP_2)
	v_cmp_lt_i32_e32 vcc_lo, 5, v10
	v_cndmask_b32_e64 v11, 0, 1, vcc_lo
	v_cmp_eq_u32_e32 vcc_lo, 3, v10
	v_cndmask_b32_e64 v10, 0, 1, vcc_lo
	v_cmp_ne_u32_e32 vcc_lo, 0, v1
	v_or_b32_e32 v10, v10, v11
	s_delay_alu instid0(VALU_DEP_1) | instskip(NEXT) | instid1(VALU_DEP_1)
	v_dual_mov_b32 v11, 0x7e00 :: v_dual_add_nc_u32 v6, v6, v10
	v_cndmask_b32_e32 v1, 0x7c00, v11, vcc_lo
	v_cmp_gt_i32_e32 vcc_lo, 31, v7
	v_lshrrev_b32_e32 v10, 16, v5
	s_delay_alu instid0(VALU_DEP_4) | instskip(SKIP_1) | instid1(VALU_DEP_2)
	v_cndmask_b32_e32 v6, 0x7c00, v6, vcc_lo
	v_cmp_eq_u32_e32 vcc_lo, 0x40f, v7
	v_cndmask_b32_e32 v1, v6, v1, vcc_lo
	s_delay_alu instid0(VALU_DEP_4) | instskip(NEXT) | instid1(VALU_DEP_1)
	v_and_b32_e32 v6, 0x8000, v10
	v_bitop3_b32 v1, v6, 0xffff, v1 bitop3:0xc8
	global_store_b32 v[2:3], v1, off
.LBB8_1866:
	s_mov_b32 s3, 0
.LBB8_1867:
	s_delay_alu instid0(SALU_CYCLE_1)
	s_and_not1_b32 vcc_lo, exec_lo, s3
	s_cbranch_vccnz .LBB8_1876
; %bb.1868:
	s_cmp_lt_i32 s0, 6
	s_mov_b32 s3, -1
	s_cbranch_scc1 .LBB8_1874
; %bb.1869:
	s_cmp_gt_i32 s0, 6
	s_cbranch_scc0 .LBB8_1871
; %bb.1870:
	s_mov_b32 s3, 0
	global_store_b64 v[2:3], v[4:5], off
.LBB8_1871:
	s_and_not1_b32 vcc_lo, exec_lo, s3
	s_cbranch_vccnz .LBB8_1873
; %bb.1872:
	s_wait_xcnt 0x0
	v_cvt_f32_f64_e32 v1, v[4:5]
	global_store_b32 v[2:3], v1, off
.LBB8_1873:
	s_mov_b32 s3, 0
.LBB8_1874:
	s_delay_alu instid0(SALU_CYCLE_1)
	s_and_not1_b32 vcc_lo, exec_lo, s3
	s_cbranch_vccnz .LBB8_1876
; %bb.1875:
	s_wait_xcnt 0x0
	v_and_or_b32 v1, 0x1ff, v5, v4
	v_lshrrev_b32_e32 v6, 8, v5
	v_bfe_u32 v7, v5, 20, 11
	s_delay_alu instid0(VALU_DEP_3) | instskip(NEXT) | instid1(VALU_DEP_2)
	v_cmp_ne_u32_e32 vcc_lo, 0, v1
	v_sub_nc_u32_e32 v10, 0x3f1, v7
	v_cndmask_b32_e64 v1, 0, 1, vcc_lo
	s_delay_alu instid0(VALU_DEP_1) | instskip(NEXT) | instid1(VALU_DEP_3)
	v_and_or_b32 v1, 0xffe, v6, v1
	v_med3_i32 v6, v10, 0, 13
	s_delay_alu instid0(VALU_DEP_2) | instskip(NEXT) | instid1(VALU_DEP_1)
	v_or_b32_e32 v10, 0x1000, v1
	v_lshrrev_b32_e32 v11, v6, v10
	s_delay_alu instid0(VALU_DEP_1) | instskip(NEXT) | instid1(VALU_DEP_1)
	v_lshlrev_b32_e32 v6, v6, v11
	v_cmp_ne_u32_e32 vcc_lo, v6, v10
	v_cndmask_b32_e64 v6, 0, 1, vcc_lo
	s_delay_alu instid0(VALU_DEP_1) | instskip(SKIP_1) | instid1(VALU_DEP_1)
	v_or_b32_e32 v6, v11, v6
	v_add_nc_u32_e32 v7, 0xfffffc10, v7
	v_lshl_or_b32 v10, v7, 12, v1
	v_cmp_gt_i32_e32 vcc_lo, 1, v7
	s_delay_alu instid0(VALU_DEP_2) | instskip(NEXT) | instid1(VALU_DEP_1)
	v_cndmask_b32_e32 v6, v10, v6, vcc_lo
	v_dual_lshrrev_b32 v6, 2, v6 :: v_dual_bitop2_b32 v10, 7, v6 bitop3:0x40
	s_delay_alu instid0(VALU_DEP_1) | instskip(SKIP_4) | instid1(VALU_DEP_2)
	v_cmp_lt_i32_e32 vcc_lo, 5, v10
	v_cndmask_b32_e64 v11, 0, 1, vcc_lo
	v_cmp_eq_u32_e32 vcc_lo, 3, v10
	v_cndmask_b32_e64 v10, 0, 1, vcc_lo
	v_cmp_ne_u32_e32 vcc_lo, 0, v1
	v_or_b32_e32 v10, v10, v11
	s_delay_alu instid0(VALU_DEP_1) | instskip(NEXT) | instid1(VALU_DEP_1)
	v_dual_mov_b32 v11, 0x7e00 :: v_dual_add_nc_u32 v6, v6, v10
	v_cndmask_b32_e32 v1, 0x7c00, v11, vcc_lo
	v_cmp_gt_i32_e32 vcc_lo, 31, v7
	s_delay_alu instid0(VALU_DEP_3) | instskip(SKIP_1) | instid1(VALU_DEP_2)
	v_cndmask_b32_e32 v6, 0x7c00, v6, vcc_lo
	v_cmp_eq_u32_e32 vcc_lo, 0x40f, v7
	v_cndmask_b32_e32 v1, v6, v1, vcc_lo
	v_lshrrev_b32_e32 v6, 16, v5
	s_delay_alu instid0(VALU_DEP_1)
	v_and_or_b32 v1, 0x8000, v6, v1
	global_store_b16 v[2:3], v1, off
.LBB8_1876:
	s_mov_b32 s3, 0
.LBB8_1877:
	s_delay_alu instid0(SALU_CYCLE_1)
	s_and_not1_b32 vcc_lo, exec_lo, s3
	s_cbranch_vccnz .LBB8_1893
; %bb.1878:
	s_cmp_lt_i32 s0, 2
	s_mov_b32 s3, -1
	s_cbranch_scc1 .LBB8_1888
; %bb.1879:
	s_cmp_lt_i32 s0, 3
	s_cbranch_scc1 .LBB8_1885
; %bb.1880:
	s_cmp_gt_i32 s0, 3
	s_cbranch_scc0 .LBB8_1882
; %bb.1881:
	s_wait_xcnt 0x0
	v_trunc_f64_e32 v[6:7], v[4:5]
	s_mov_b32 s3, 0
	s_delay_alu instid0(VALU_DEP_1) | instskip(NEXT) | instid1(VALU_DEP_1)
	v_ldexp_f64 v[10:11], v[6:7], 0xffffffe0
	v_floor_f64_e32 v[10:11], v[10:11]
	s_delay_alu instid0(VALU_DEP_1) | instskip(SKIP_1) | instid1(VALU_DEP_2)
	v_fmamk_f64 v[6:7], v[10:11], 0xc1f00000, v[6:7]
	v_cvt_i32_f64_e32 v11, v[10:11]
	v_cvt_u32_f64_e32 v10, v[6:7]
	global_store_b64 v[2:3], v[10:11], off
.LBB8_1882:
	s_and_not1_b32 vcc_lo, exec_lo, s3
	s_cbranch_vccnz .LBB8_1884
; %bb.1883:
	s_wait_xcnt 0x0
	v_cvt_i32_f64_e32 v1, v[4:5]
	global_store_b32 v[2:3], v1, off
.LBB8_1884:
	s_mov_b32 s3, 0
.LBB8_1885:
	s_delay_alu instid0(SALU_CYCLE_1)
	s_and_not1_b32 vcc_lo, exec_lo, s3
	s_cbranch_vccnz .LBB8_1887
; %bb.1886:
	s_wait_xcnt 0x0
	v_cvt_i32_f64_e32 v1, v[4:5]
	global_store_b16 v[2:3], v1, off
.LBB8_1887:
	s_mov_b32 s3, 0
.LBB8_1888:
	s_delay_alu instid0(SALU_CYCLE_1)
	s_and_not1_b32 vcc_lo, exec_lo, s3
	s_cbranch_vccnz .LBB8_1893
; %bb.1889:
	s_cmp_gt_i32 s0, 0
	s_mov_b32 s0, -1
	s_cbranch_scc0 .LBB8_1891
; %bb.1890:
	s_wait_xcnt 0x0
	v_cvt_i32_f64_e32 v1, v[4:5]
	s_mov_b32 s0, 0
	global_store_b8 v[2:3], v1, off
.LBB8_1891:
	s_and_not1_b32 vcc_lo, exec_lo, s0
	s_cbranch_vccnz .LBB8_1893
; %bb.1892:
	s_wait_xcnt 0x0
	v_trunc_f64_e32 v[4:5], v[4:5]
	s_delay_alu instid0(VALU_DEP_1) | instskip(NEXT) | instid1(VALU_DEP_1)
	v_ldexp_f64 v[6:7], v[4:5], 0xffffffe0
	v_floor_f64_e32 v[6:7], v[6:7]
	s_delay_alu instid0(VALU_DEP_1) | instskip(NEXT) | instid1(VALU_DEP_1)
	v_fmamk_f64 v[4:5], v[6:7], 0xc1f00000, v[4:5]
	v_cvt_u32_f64_e32 v1, v[4:5]
	global_store_b8 v[2:3], v1, off
.LBB8_1893:
	s_mov_b32 s7, -1
.LBB8_1894:
	s_delay_alu instid0(SALU_CYCLE_1)
	s_and_not1_b32 vcc_lo, exec_lo, s7
	s_cbranch_vccnz .LBB8_2090
; %bb.1895:
	v_add_nc_u32_e32 v0, s2, v0
	s_cmp_lt_i32 s12, 11
	s_wait_xcnt 0x0
	s_delay_alu instid0(VALU_DEP_1) | instskip(NEXT) | instid1(VALU_DEP_1)
	v_ashrrev_i32_e32 v1, 31, v0
	v_add_nc_u64_e32 v[2:3], s[4:5], v[0:1]
	s_cbranch_scc1 .LBB8_1973
; %bb.1896:
	s_and_b32 s3, 0xffff, s12
	s_mov_b32 s8, -1
	s_mov_b32 s6, 0
	s_cmp_gt_i32 s3, 25
	s_mov_b32 s7, 0
	s_mov_b32 s0, 0
	s_cbranch_scc0 .LBB8_1929
; %bb.1897:
	s_cmp_gt_i32 s3, 28
	s_cbranch_scc0 .LBB8_1912
; %bb.1898:
	s_cmp_gt_i32 s3, 43
	;; [unrolled: 3-line block ×3, first 2 shown]
	s_cbranch_scc0 .LBB8_1902
; %bb.1900:
	s_mov_b32 s0, -1
	s_mov_b32 s8, 0
	s_cmp_eq_u32 s3, 46
	s_cbranch_scc0 .LBB8_1902
; %bb.1901:
	v_cvt_f32_f64_e32 v1, v[8:9]
	s_mov_b32 s0, 0
	s_mov_b32 s7, -1
	s_delay_alu instid0(VALU_DEP_1) | instskip(SKIP_1) | instid1(VALU_DEP_2)
	v_bfe_u32 v4, v1, 16, 1
	v_cmp_o_f32_e32 vcc_lo, v1, v1
	v_add3_u32 v4, v1, v4, 0x7fff
	s_delay_alu instid0(VALU_DEP_1) | instskip(NEXT) | instid1(VALU_DEP_1)
	v_lshrrev_b32_e32 v4, 16, v4
	v_cndmask_b32_e32 v1, 0x7fc0, v4, vcc_lo
	global_store_b32 v[2:3], v1, off
.LBB8_1902:
	s_and_b32 vcc_lo, exec_lo, s8
	s_cbranch_vccz .LBB8_1907
; %bb.1903:
	s_cmp_eq_u32 s3, 44
	s_mov_b32 s0, -1
	s_cbranch_scc0 .LBB8_1907
; %bb.1904:
	s_wait_xcnt 0x0
	v_cvt_f32_f64_e32 v1, v[8:9]
	v_mov_b32_e32 v4, 0xff
	s_mov_b32 s7, exec_lo
	s_delay_alu instid0(VALU_DEP_2) | instskip(NEXT) | instid1(VALU_DEP_1)
	v_bfe_u32 v5, v1, 23, 8
	v_cmpx_ne_u32_e32 0xff, v5
	s_cbranch_execz .LBB8_1906
; %bb.1905:
	v_and_b32_e32 v4, 0x400000, v1
	v_and_or_b32 v5, 0x3fffff, v1, v5
	v_lshrrev_b32_e32 v1, 23, v1
	s_delay_alu instid0(VALU_DEP_3) | instskip(NEXT) | instid1(VALU_DEP_3)
	v_cmp_ne_u32_e32 vcc_lo, 0, v4
	v_cmp_ne_u32_e64 s0, 0, v5
	s_and_b32 s0, vcc_lo, s0
	s_delay_alu instid0(SALU_CYCLE_1) | instskip(NEXT) | instid1(VALU_DEP_1)
	v_cndmask_b32_e64 v4, 0, 1, s0
	v_add_nc_u32_e32 v4, v1, v4
.LBB8_1906:
	s_or_b32 exec_lo, exec_lo, s7
	s_mov_b32 s0, 0
	s_mov_b32 s7, -1
	global_store_b8 v[2:3], v4, off
.LBB8_1907:
	s_mov_b32 s8, 0
.LBB8_1908:
	s_delay_alu instid0(SALU_CYCLE_1)
	s_and_b32 vcc_lo, exec_lo, s8
	s_cbranch_vccz .LBB8_1911
; %bb.1909:
	s_cmp_eq_u32 s3, 29
	s_mov_b32 s0, -1
	s_cbranch_scc0 .LBB8_1911
; %bb.1910:
	s_wait_xcnt 0x0
	v_trunc_f64_e32 v[4:5], v[8:9]
	s_mov_b32 s0, 0
	s_mov_b32 s7, -1
	s_delay_alu instid0(VALU_DEP_1) | instskip(NEXT) | instid1(VALU_DEP_1)
	v_ldexp_f64 v[6:7], v[4:5], 0xffffffe0
	v_floor_f64_e32 v[6:7], v[6:7]
	s_delay_alu instid0(VALU_DEP_1) | instskip(SKIP_1) | instid1(VALU_DEP_2)
	v_fmamk_f64 v[4:5], v[6:7], 0xc1f00000, v[4:5]
	v_cvt_u32_f64_e32 v7, v[6:7]
	v_cvt_u32_f64_e32 v6, v[4:5]
	global_store_b64 v[2:3], v[6:7], off
.LBB8_1911:
	s_mov_b32 s8, 0
.LBB8_1912:
	s_delay_alu instid0(SALU_CYCLE_1)
	s_and_b32 vcc_lo, exec_lo, s8
	s_cbranch_vccz .LBB8_1928
; %bb.1913:
	s_cmp_lt_i32 s3, 27
	s_mov_b32 s7, -1
	s_cbranch_scc1 .LBB8_1919
; %bb.1914:
	s_wait_xcnt 0x0
	v_cvt_u32_f64_e32 v1, v[8:9]
	s_cmp_gt_i32 s3, 27
	s_cbranch_scc0 .LBB8_1916
; %bb.1915:
	s_mov_b32 s7, 0
	global_store_b32 v[2:3], v1, off
.LBB8_1916:
	s_and_not1_b32 vcc_lo, exec_lo, s7
	s_cbranch_vccnz .LBB8_1918
; %bb.1917:
	global_store_b16 v[2:3], v1, off
.LBB8_1918:
	s_mov_b32 s7, 0
.LBB8_1919:
	s_delay_alu instid0(SALU_CYCLE_1)
	s_and_not1_b32 vcc_lo, exec_lo, s7
	s_cbranch_vccnz .LBB8_1927
; %bb.1920:
	s_wait_xcnt 0x0
	v_cvt_f32_f64_e32 v1, v[8:9]
	v_mov_b32_e32 v5, 0x80
	s_mov_b32 s7, exec_lo
	s_delay_alu instid0(VALU_DEP_2) | instskip(NEXT) | instid1(VALU_DEP_1)
	v_and_b32_e32 v4, 0x7fffffff, v1
	v_cmpx_gt_u32_e32 0x43800000, v4
	s_cbranch_execz .LBB8_1926
; %bb.1921:
	v_cmp_lt_u32_e32 vcc_lo, 0x3bffffff, v4
	s_mov_b32 s8, 0
                                        ; implicit-def: $vgpr4
	s_and_saveexec_b32 s9, vcc_lo
	s_delay_alu instid0(SALU_CYCLE_1)
	s_xor_b32 s9, exec_lo, s9
	s_cbranch_execz .LBB8_2103
; %bb.1922:
	v_bfe_u32 v4, v1, 20, 1
	s_mov_b32 s8, exec_lo
	s_delay_alu instid0(VALU_DEP_1) | instskip(NEXT) | instid1(VALU_DEP_1)
	v_add3_u32 v4, v1, v4, 0x487ffff
	v_lshrrev_b32_e32 v4, 20, v4
	s_and_not1_saveexec_b32 s9, s9
	s_cbranch_execnz .LBB8_2104
.LBB8_1923:
	s_or_b32 exec_lo, exec_lo, s9
	v_mov_b32_e32 v5, 0
	s_and_saveexec_b32 s9, s8
.LBB8_1924:
	v_lshrrev_b32_e32 v1, 24, v1
	s_delay_alu instid0(VALU_DEP_1)
	v_and_or_b32 v5, 0x80, v1, v4
.LBB8_1925:
	s_or_b32 exec_lo, exec_lo, s9
.LBB8_1926:
	s_delay_alu instid0(SALU_CYCLE_1)
	s_or_b32 exec_lo, exec_lo, s7
	global_store_b8 v[2:3], v5, off
.LBB8_1927:
	s_mov_b32 s7, -1
.LBB8_1928:
	s_mov_b32 s8, 0
.LBB8_1929:
	s_delay_alu instid0(SALU_CYCLE_1)
	s_and_b32 vcc_lo, exec_lo, s8
	s_cbranch_vccz .LBB8_1969
; %bb.1930:
	s_cmp_gt_i32 s3, 22
	s_mov_b32 s6, -1
	s_cbranch_scc0 .LBB8_1962
; %bb.1931:
	s_cmp_lt_i32 s3, 24
	s_cbranch_scc1 .LBB8_1951
; %bb.1932:
	s_cmp_gt_i32 s3, 24
	s_cbranch_scc0 .LBB8_1940
; %bb.1933:
	s_wait_xcnt 0x0
	v_cvt_f32_f64_e32 v1, v[8:9]
	v_mov_b32_e32 v5, 0x80
	s_mov_b32 s6, exec_lo
	s_delay_alu instid0(VALU_DEP_2) | instskip(NEXT) | instid1(VALU_DEP_1)
	v_and_b32_e32 v4, 0x7fffffff, v1
	v_cmpx_gt_u32_e32 0x47800000, v4
	s_cbranch_execz .LBB8_1939
; %bb.1934:
	v_cmp_lt_u32_e32 vcc_lo, 0x37ffffff, v4
	s_mov_b32 s7, 0
                                        ; implicit-def: $vgpr4
	s_and_saveexec_b32 s8, vcc_lo
	s_delay_alu instid0(SALU_CYCLE_1)
	s_xor_b32 s8, exec_lo, s8
	s_cbranch_execz .LBB8_2106
; %bb.1935:
	v_bfe_u32 v4, v1, 21, 1
	s_mov_b32 s7, exec_lo
	s_delay_alu instid0(VALU_DEP_1) | instskip(NEXT) | instid1(VALU_DEP_1)
	v_add3_u32 v4, v1, v4, 0x88fffff
	v_lshrrev_b32_e32 v4, 21, v4
	s_and_not1_saveexec_b32 s8, s8
	s_cbranch_execnz .LBB8_2107
.LBB8_1936:
	s_or_b32 exec_lo, exec_lo, s8
	v_mov_b32_e32 v5, 0
	s_and_saveexec_b32 s8, s7
.LBB8_1937:
	v_lshrrev_b32_e32 v1, 24, v1
	s_delay_alu instid0(VALU_DEP_1)
	v_and_or_b32 v5, 0x80, v1, v4
.LBB8_1938:
	s_or_b32 exec_lo, exec_lo, s8
.LBB8_1939:
	s_delay_alu instid0(SALU_CYCLE_1)
	s_or_b32 exec_lo, exec_lo, s6
	s_mov_b32 s6, 0
	global_store_b8 v[2:3], v5, off
.LBB8_1940:
	s_and_b32 vcc_lo, exec_lo, s6
	s_cbranch_vccz .LBB8_1950
; %bb.1941:
	s_wait_xcnt 0x0
	v_cvt_f32_f64_e32 v1, v[8:9]
	s_mov_b32 s6, exec_lo
                                        ; implicit-def: $vgpr4
	s_delay_alu instid0(VALU_DEP_1) | instskip(NEXT) | instid1(VALU_DEP_1)
	v_and_b32_e32 v5, 0x7fffffff, v1
	v_cmpx_gt_u32_e32 0x43f00000, v5
	s_xor_b32 s6, exec_lo, s6
	s_cbranch_execz .LBB8_1947
; %bb.1942:
	s_mov_b32 s7, exec_lo
                                        ; implicit-def: $vgpr4
	v_cmpx_lt_u32_e32 0x3c7fffff, v5
	s_xor_b32 s7, exec_lo, s7
; %bb.1943:
	v_bfe_u32 v4, v1, 20, 1
	s_delay_alu instid0(VALU_DEP_1) | instskip(NEXT) | instid1(VALU_DEP_1)
	v_add3_u32 v4, v1, v4, 0x407ffff
	v_and_b32_e32 v5, 0xff00000, v4
	v_lshrrev_b32_e32 v4, 20, v4
	s_delay_alu instid0(VALU_DEP_2) | instskip(NEXT) | instid1(VALU_DEP_2)
	v_cmp_ne_u32_e32 vcc_lo, 0x7f00000, v5
	v_cndmask_b32_e32 v4, 0x7e, v4, vcc_lo
; %bb.1944:
	s_and_not1_saveexec_b32 s7, s7
; %bb.1945:
	v_add_f32_e64 v4, 0x46800000, |v1|
; %bb.1946:
	s_or_b32 exec_lo, exec_lo, s7
                                        ; implicit-def: $vgpr5
.LBB8_1947:
	s_and_not1_saveexec_b32 s6, s6
; %bb.1948:
	v_mov_b32_e32 v4, 0x7f
	v_cmp_lt_u32_e32 vcc_lo, 0x7f800000, v5
	s_delay_alu instid0(VALU_DEP_2)
	v_cndmask_b32_e32 v4, 0x7e, v4, vcc_lo
; %bb.1949:
	s_or_b32 exec_lo, exec_lo, s6
	v_lshrrev_b32_e32 v1, 24, v1
	s_delay_alu instid0(VALU_DEP_1)
	v_and_or_b32 v1, 0x80, v1, v4
	global_store_b8 v[2:3], v1, off
.LBB8_1950:
	s_mov_b32 s6, 0
.LBB8_1951:
	s_delay_alu instid0(SALU_CYCLE_1)
	s_and_not1_b32 vcc_lo, exec_lo, s6
	s_cbranch_vccnz .LBB8_1961
; %bb.1952:
	s_wait_xcnt 0x0
	v_cvt_f32_f64_e32 v1, v[8:9]
	s_mov_b32 s6, exec_lo
                                        ; implicit-def: $vgpr4
	s_delay_alu instid0(VALU_DEP_1) | instskip(NEXT) | instid1(VALU_DEP_1)
	v_and_b32_e32 v5, 0x7fffffff, v1
	v_cmpx_gt_u32_e32 0x47800000, v5
	s_xor_b32 s6, exec_lo, s6
	s_cbranch_execz .LBB8_1958
; %bb.1953:
	s_mov_b32 s7, exec_lo
                                        ; implicit-def: $vgpr4
	v_cmpx_lt_u32_e32 0x387fffff, v5
	s_xor_b32 s7, exec_lo, s7
; %bb.1954:
	v_bfe_u32 v4, v1, 21, 1
	s_delay_alu instid0(VALU_DEP_1) | instskip(NEXT) | instid1(VALU_DEP_1)
	v_add3_u32 v4, v1, v4, 0x80fffff
	v_lshrrev_b32_e32 v4, 21, v4
; %bb.1955:
	s_and_not1_saveexec_b32 s7, s7
; %bb.1956:
	v_add_f32_e64 v4, 0x43000000, |v1|
; %bb.1957:
	s_or_b32 exec_lo, exec_lo, s7
                                        ; implicit-def: $vgpr5
.LBB8_1958:
	s_and_not1_saveexec_b32 s6, s6
; %bb.1959:
	v_mov_b32_e32 v4, 0x7f
	v_cmp_lt_u32_e32 vcc_lo, 0x7f800000, v5
	s_delay_alu instid0(VALU_DEP_2)
	v_cndmask_b32_e32 v4, 0x7c, v4, vcc_lo
; %bb.1960:
	s_or_b32 exec_lo, exec_lo, s6
	v_lshrrev_b32_e32 v1, 24, v1
	s_delay_alu instid0(VALU_DEP_1)
	v_and_or_b32 v1, 0x80, v1, v4
	global_store_b8 v[2:3], v1, off
.LBB8_1961:
	s_mov_b32 s6, 0
	s_mov_b32 s7, -1
.LBB8_1962:
	s_and_not1_b32 vcc_lo, exec_lo, s6
	s_mov_b32 s6, 0
	s_cbranch_vccnz .LBB8_1969
; %bb.1963:
	s_cmp_gt_i32 s3, 14
	s_mov_b32 s6, -1
	s_cbranch_scc0 .LBB8_1967
; %bb.1964:
	s_cmp_eq_u32 s3, 15
	s_mov_b32 s0, -1
	s_cbranch_scc0 .LBB8_1966
; %bb.1965:
	s_wait_xcnt 0x0
	v_cvt_f32_f64_e32 v1, v[8:9]
	s_mov_b32 s0, 0
	s_mov_b32 s7, -1
	s_delay_alu instid0(VALU_DEP_1) | instskip(SKIP_1) | instid1(VALU_DEP_2)
	v_bfe_u32 v4, v1, 16, 1
	v_cmp_o_f32_e32 vcc_lo, v1, v1
	v_add3_u32 v4, v1, v4, 0x7fff
	s_delay_alu instid0(VALU_DEP_1) | instskip(NEXT) | instid1(VALU_DEP_1)
	v_lshrrev_b32_e32 v4, 16, v4
	v_cndmask_b32_e32 v1, 0x7fc0, v4, vcc_lo
	global_store_b16 v[2:3], v1, off
.LBB8_1966:
	s_mov_b32 s6, 0
.LBB8_1967:
	s_delay_alu instid0(SALU_CYCLE_1)
	s_and_b32 vcc_lo, exec_lo, s6
	s_mov_b32 s6, 0
	s_cbranch_vccz .LBB8_1969
; %bb.1968:
	s_cmp_lg_u32 s3, 11
	s_mov_b32 s6, -1
	s_cselect_b32 s0, -1, 0
.LBB8_1969:
	s_delay_alu instid0(SALU_CYCLE_1)
	s_and_b32 vcc_lo, exec_lo, s0
	s_cbranch_vccnz .LBB8_2105
; %bb.1970:
	s_and_not1_b32 vcc_lo, exec_lo, s6
	s_cbranch_vccnz .LBB8_1972
.LBB8_1971:
	v_cmp_neq_f64_e32 vcc_lo, 0, v[8:9]
	s_mov_b32 s7, -1
	s_wait_xcnt 0x0
	v_cndmask_b32_e64 v1, 0, 1, vcc_lo
	global_store_b8 v[2:3], v1, off
.LBB8_1972:
	s_mov_b32 s0, 0
	s_branch .LBB8_1974
.LBB8_1973:
	s_mov_b32 s0, -1
	s_mov_b32 s7, 0
.LBB8_1974:
	s_and_b32 vcc_lo, exec_lo, s0
	s_cbranch_vccz .LBB8_2013
; %bb.1975:
	s_and_b32 s0, 0xffff, s12
	s_mov_b32 s3, -1
	s_cmp_lt_i32 s0, 5
	s_cbranch_scc1 .LBB8_1996
; %bb.1976:
	s_cmp_lt_i32 s0, 8
	s_cbranch_scc1 .LBB8_1986
; %bb.1977:
	;; [unrolled: 3-line block ×3, first 2 shown]
	s_cmp_gt_i32 s0, 9
	s_cbranch_scc0 .LBB8_1980
; %bb.1979:
	v_mov_b32_e32 v10, 0
	s_mov_b32 s3, 0
	s_delay_alu instid0(VALU_DEP_1)
	v_mov_b32_e32 v11, v10
	global_store_b128 v[2:3], v[8:11], off
.LBB8_1980:
	s_and_not1_b32 vcc_lo, exec_lo, s3
	s_cbranch_vccnz .LBB8_1982
; %bb.1981:
	s_wait_xcnt 0x0
	v_cvt_f32_f64_e32 v4, v[8:9]
	v_mov_b32_e32 v5, 0
	global_store_b64 v[2:3], v[4:5], off
.LBB8_1982:
	s_mov_b32 s3, 0
.LBB8_1983:
	s_delay_alu instid0(SALU_CYCLE_1)
	s_and_not1_b32 vcc_lo, exec_lo, s3
	s_cbranch_vccnz .LBB8_1985
; %bb.1984:
	s_wait_xcnt 0x0
	v_and_or_b32 v1, 0x1ff, v9, v8
	v_lshrrev_b32_e32 v4, 8, v9
	v_bfe_u32 v5, v9, 20, 11
	s_delay_alu instid0(VALU_DEP_3) | instskip(NEXT) | instid1(VALU_DEP_2)
	v_cmp_ne_u32_e32 vcc_lo, 0, v1
	v_sub_nc_u32_e32 v6, 0x3f1, v5
	v_add_nc_u32_e32 v5, 0xfffffc10, v5
	v_cndmask_b32_e64 v1, 0, 1, vcc_lo
	s_delay_alu instid0(VALU_DEP_1) | instskip(NEXT) | instid1(VALU_DEP_4)
	v_and_or_b32 v1, 0xffe, v4, v1
	v_med3_i32 v4, v6, 0, 13
	s_delay_alu instid0(VALU_DEP_2) | instskip(NEXT) | instid1(VALU_DEP_1)
	v_or_b32_e32 v6, 0x1000, v1
	v_lshrrev_b32_e32 v7, v4, v6
	s_delay_alu instid0(VALU_DEP_1) | instskip(NEXT) | instid1(VALU_DEP_1)
	v_lshlrev_b32_e32 v4, v4, v7
	v_cmp_ne_u32_e32 vcc_lo, v4, v6
	v_lshl_or_b32 v6, v5, 12, v1
	v_cndmask_b32_e64 v4, 0, 1, vcc_lo
	v_cmp_gt_i32_e32 vcc_lo, 1, v5
	s_delay_alu instid0(VALU_DEP_2) | instskip(NEXT) | instid1(VALU_DEP_1)
	v_or_b32_e32 v4, v7, v4
	v_cndmask_b32_e32 v4, v6, v4, vcc_lo
	s_delay_alu instid0(VALU_DEP_1) | instskip(NEXT) | instid1(VALU_DEP_1)
	v_dual_lshrrev_b32 v4, 2, v4 :: v_dual_bitop2_b32 v6, 7, v4 bitop3:0x40
	v_cmp_lt_i32_e32 vcc_lo, 5, v6
	v_cndmask_b32_e64 v7, 0, 1, vcc_lo
	v_cmp_eq_u32_e32 vcc_lo, 3, v6
	v_cndmask_b32_e64 v6, 0, 1, vcc_lo
	v_cmp_ne_u32_e32 vcc_lo, 0, v1
	s_delay_alu instid0(VALU_DEP_2) | instskip(NEXT) | instid1(VALU_DEP_1)
	v_or_b32_e32 v6, v6, v7
	v_dual_mov_b32 v7, 0x7e00 :: v_dual_add_nc_u32 v4, v4, v6
	s_delay_alu instid0(VALU_DEP_1) | instskip(SKIP_2) | instid1(VALU_DEP_4)
	v_cndmask_b32_e32 v1, 0x7c00, v7, vcc_lo
	v_cmp_gt_i32_e32 vcc_lo, 31, v5
	v_lshrrev_b32_e32 v6, 16, v9
	v_cndmask_b32_e32 v4, 0x7c00, v4, vcc_lo
	v_cmp_eq_u32_e32 vcc_lo, 0x40f, v5
	s_delay_alu instid0(VALU_DEP_2) | instskip(NEXT) | instid1(VALU_DEP_4)
	v_cndmask_b32_e32 v1, v4, v1, vcc_lo
	v_and_b32_e32 v4, 0x8000, v6
	s_delay_alu instid0(VALU_DEP_1)
	v_bitop3_b32 v1, v4, 0xffff, v1 bitop3:0xc8
	global_store_b32 v[2:3], v1, off
.LBB8_1985:
	s_mov_b32 s3, 0
.LBB8_1986:
	s_delay_alu instid0(SALU_CYCLE_1)
	s_and_not1_b32 vcc_lo, exec_lo, s3
	s_cbranch_vccnz .LBB8_1995
; %bb.1987:
	s_cmp_lt_i32 s0, 6
	s_mov_b32 s3, -1
	s_cbranch_scc1 .LBB8_1993
; %bb.1988:
	s_cmp_gt_i32 s0, 6
	s_cbranch_scc0 .LBB8_1990
; %bb.1989:
	s_mov_b32 s3, 0
	global_store_b64 v[2:3], v[8:9], off
.LBB8_1990:
	s_and_not1_b32 vcc_lo, exec_lo, s3
	s_cbranch_vccnz .LBB8_1992
; %bb.1991:
	s_wait_xcnt 0x0
	v_cvt_f32_f64_e32 v1, v[8:9]
	global_store_b32 v[2:3], v1, off
.LBB8_1992:
	s_mov_b32 s3, 0
.LBB8_1993:
	s_delay_alu instid0(SALU_CYCLE_1)
	s_and_not1_b32 vcc_lo, exec_lo, s3
	s_cbranch_vccnz .LBB8_1995
; %bb.1994:
	s_wait_xcnt 0x0
	v_and_or_b32 v1, 0x1ff, v9, v8
	v_lshrrev_b32_e32 v4, 8, v9
	v_bfe_u32 v5, v9, 20, 11
	s_delay_alu instid0(VALU_DEP_3) | instskip(NEXT) | instid1(VALU_DEP_2)
	v_cmp_ne_u32_e32 vcc_lo, 0, v1
	v_sub_nc_u32_e32 v6, 0x3f1, v5
	v_add_nc_u32_e32 v5, 0xfffffc10, v5
	v_cndmask_b32_e64 v1, 0, 1, vcc_lo
	s_delay_alu instid0(VALU_DEP_1) | instskip(NEXT) | instid1(VALU_DEP_4)
	v_and_or_b32 v1, 0xffe, v4, v1
	v_med3_i32 v4, v6, 0, 13
	s_delay_alu instid0(VALU_DEP_2) | instskip(NEXT) | instid1(VALU_DEP_1)
	v_or_b32_e32 v6, 0x1000, v1
	v_lshrrev_b32_e32 v7, v4, v6
	s_delay_alu instid0(VALU_DEP_1) | instskip(NEXT) | instid1(VALU_DEP_1)
	v_lshlrev_b32_e32 v4, v4, v7
	v_cmp_ne_u32_e32 vcc_lo, v4, v6
	v_lshl_or_b32 v6, v5, 12, v1
	v_cndmask_b32_e64 v4, 0, 1, vcc_lo
	v_cmp_gt_i32_e32 vcc_lo, 1, v5
	s_delay_alu instid0(VALU_DEP_2) | instskip(NEXT) | instid1(VALU_DEP_1)
	v_or_b32_e32 v4, v7, v4
	v_cndmask_b32_e32 v4, v6, v4, vcc_lo
	s_delay_alu instid0(VALU_DEP_1) | instskip(NEXT) | instid1(VALU_DEP_1)
	v_dual_lshrrev_b32 v4, 2, v4 :: v_dual_bitop2_b32 v6, 7, v4 bitop3:0x40
	v_cmp_lt_i32_e32 vcc_lo, 5, v6
	v_cndmask_b32_e64 v7, 0, 1, vcc_lo
	v_cmp_eq_u32_e32 vcc_lo, 3, v6
	v_cndmask_b32_e64 v6, 0, 1, vcc_lo
	v_cmp_ne_u32_e32 vcc_lo, 0, v1
	s_delay_alu instid0(VALU_DEP_2) | instskip(NEXT) | instid1(VALU_DEP_1)
	v_or_b32_e32 v6, v6, v7
	v_dual_mov_b32 v7, 0x7e00 :: v_dual_add_nc_u32 v4, v4, v6
	s_delay_alu instid0(VALU_DEP_1) | instskip(SKIP_1) | instid1(VALU_DEP_3)
	v_cndmask_b32_e32 v1, 0x7c00, v7, vcc_lo
	v_cmp_gt_i32_e32 vcc_lo, 31, v5
	v_cndmask_b32_e32 v4, 0x7c00, v4, vcc_lo
	v_cmp_eq_u32_e32 vcc_lo, 0x40f, v5
	s_delay_alu instid0(VALU_DEP_2) | instskip(SKIP_1) | instid1(VALU_DEP_1)
	v_cndmask_b32_e32 v1, v4, v1, vcc_lo
	v_lshrrev_b32_e32 v4, 16, v9
	v_and_or_b32 v1, 0x8000, v4, v1
	global_store_b16 v[2:3], v1, off
.LBB8_1995:
	s_mov_b32 s3, 0
.LBB8_1996:
	s_delay_alu instid0(SALU_CYCLE_1)
	s_and_not1_b32 vcc_lo, exec_lo, s3
	s_cbranch_vccnz .LBB8_2012
; %bb.1997:
	s_cmp_lt_i32 s0, 2
	s_mov_b32 s3, -1
	s_cbranch_scc1 .LBB8_2007
; %bb.1998:
	s_cmp_lt_i32 s0, 3
	s_cbranch_scc1 .LBB8_2004
; %bb.1999:
	s_cmp_gt_i32 s0, 3
	s_cbranch_scc0 .LBB8_2001
; %bb.2000:
	s_wait_xcnt 0x0
	v_trunc_f64_e32 v[4:5], v[8:9]
	s_mov_b32 s3, 0
	s_delay_alu instid0(VALU_DEP_1) | instskip(NEXT) | instid1(VALU_DEP_1)
	v_ldexp_f64 v[6:7], v[4:5], 0xffffffe0
	v_floor_f64_e32 v[6:7], v[6:7]
	s_delay_alu instid0(VALU_DEP_1) | instskip(SKIP_1) | instid1(VALU_DEP_2)
	v_fmamk_f64 v[4:5], v[6:7], 0xc1f00000, v[4:5]
	v_cvt_i32_f64_e32 v7, v[6:7]
	v_cvt_u32_f64_e32 v6, v[4:5]
	global_store_b64 v[2:3], v[6:7], off
.LBB8_2001:
	s_and_not1_b32 vcc_lo, exec_lo, s3
	s_cbranch_vccnz .LBB8_2003
; %bb.2002:
	s_wait_xcnt 0x0
	v_cvt_i32_f64_e32 v1, v[8:9]
	global_store_b32 v[2:3], v1, off
.LBB8_2003:
	s_mov_b32 s3, 0
.LBB8_2004:
	s_delay_alu instid0(SALU_CYCLE_1)
	s_and_not1_b32 vcc_lo, exec_lo, s3
	s_cbranch_vccnz .LBB8_2006
; %bb.2005:
	s_wait_xcnt 0x0
	v_cvt_i32_f64_e32 v1, v[8:9]
	global_store_b16 v[2:3], v1, off
.LBB8_2006:
	s_mov_b32 s3, 0
.LBB8_2007:
	s_delay_alu instid0(SALU_CYCLE_1)
	s_and_not1_b32 vcc_lo, exec_lo, s3
	s_cbranch_vccnz .LBB8_2012
; %bb.2008:
	s_cmp_gt_i32 s0, 0
	s_mov_b32 s0, -1
	s_cbranch_scc0 .LBB8_2010
; %bb.2009:
	s_wait_xcnt 0x0
	v_cvt_i32_f64_e32 v1, v[8:9]
	s_mov_b32 s0, 0
	global_store_b8 v[2:3], v1, off
.LBB8_2010:
	s_and_not1_b32 vcc_lo, exec_lo, s0
	s_cbranch_vccnz .LBB8_2012
; %bb.2011:
	s_wait_xcnt 0x0
	v_trunc_f64_e32 v[4:5], v[8:9]
	s_delay_alu instid0(VALU_DEP_1) | instskip(NEXT) | instid1(VALU_DEP_1)
	v_ldexp_f64 v[6:7], v[4:5], 0xffffffe0
	v_floor_f64_e32 v[6:7], v[6:7]
	s_delay_alu instid0(VALU_DEP_1) | instskip(NEXT) | instid1(VALU_DEP_1)
	v_fmamk_f64 v[4:5], v[6:7], 0xc1f00000, v[4:5]
	v_cvt_u32_f64_e32 v1, v[4:5]
	global_store_b8 v[2:3], v1, off
.LBB8_2012:
	s_mov_b32 s7, -1
.LBB8_2013:
	s_delay_alu instid0(SALU_CYCLE_1)
	s_and_not1_b32 vcc_lo, exec_lo, s7
	s_cbranch_vccnz .LBB8_2090
; %bb.2014:
	v_add_nc_u32_e32 v0, s2, v0
	s_cmp_lt_i32 s12, 11
	s_wait_xcnt 0x0
	s_delay_alu instid0(VALU_DEP_1) | instskip(NEXT) | instid1(VALU_DEP_1)
	v_ashrrev_i32_e32 v1, 31, v0
	v_add_nc_u64_e32 v[0:1], s[4:5], v[0:1]
	s_cbranch_scc1 .LBB8_2091
; %bb.2015:
	s_and_b32 s2, 0xffff, s12
	s_mov_b32 s4, -1
	s_mov_b32 s3, 0
	s_cmp_gt_i32 s2, 25
	s_mov_b32 s0, 0
	s_cbranch_scc0 .LBB8_2048
; %bb.2016:
	s_cmp_gt_i32 s2, 28
	s_cbranch_scc0 .LBB8_2032
; %bb.2017:
	s_cmp_gt_i32 s2, 43
	;; [unrolled: 3-line block ×3, first 2 shown]
	s_cbranch_scc0 .LBB8_2022
; %bb.2019:
	s_cmp_eq_u32 s2, 46
	s_mov_b32 s0, -1
	s_cbranch_scc0 .LBB8_2021
; %bb.2020:
	v_cvt_f32_f64_e32 v2, v[12:13]
	s_mov_b32 s0, 0
	s_delay_alu instid0(VALU_DEP_1) | instskip(SKIP_1) | instid1(VALU_DEP_2)
	v_bfe_u32 v3, v2, 16, 1
	v_cmp_o_f32_e32 vcc_lo, v2, v2
	v_add3_u32 v3, v2, v3, 0x7fff
	s_delay_alu instid0(VALU_DEP_1) | instskip(NEXT) | instid1(VALU_DEP_1)
	v_lshrrev_b32_e32 v3, 16, v3
	v_cndmask_b32_e32 v2, 0x7fc0, v3, vcc_lo
	global_store_b32 v[0:1], v2, off
.LBB8_2021:
	s_mov_b32 s4, 0
.LBB8_2022:
	s_delay_alu instid0(SALU_CYCLE_1)
	s_and_b32 vcc_lo, exec_lo, s4
	s_cbranch_vccz .LBB8_2027
; %bb.2023:
	s_cmp_eq_u32 s2, 44
	s_mov_b32 s0, -1
	s_cbranch_scc0 .LBB8_2027
; %bb.2024:
	s_wait_xcnt 0x0
	v_cvt_f32_f64_e32 v2, v[12:13]
	v_mov_b32_e32 v3, 0xff
	s_mov_b32 s4, exec_lo
	s_delay_alu instid0(VALU_DEP_2) | instskip(NEXT) | instid1(VALU_DEP_1)
	v_bfe_u32 v4, v2, 23, 8
	v_cmpx_ne_u32_e32 0xff, v4
	s_cbranch_execz .LBB8_2026
; %bb.2025:
	v_and_b32_e32 v3, 0x400000, v2
	v_and_or_b32 v4, 0x3fffff, v2, v4
	v_lshrrev_b32_e32 v2, 23, v2
	s_delay_alu instid0(VALU_DEP_3) | instskip(NEXT) | instid1(VALU_DEP_3)
	v_cmp_ne_u32_e32 vcc_lo, 0, v3
	v_cmp_ne_u32_e64 s0, 0, v4
	s_and_b32 s0, vcc_lo, s0
	s_delay_alu instid0(SALU_CYCLE_1) | instskip(NEXT) | instid1(VALU_DEP_1)
	v_cndmask_b32_e64 v3, 0, 1, s0
	v_add_nc_u32_e32 v3, v2, v3
.LBB8_2026:
	s_or_b32 exec_lo, exec_lo, s4
	s_mov_b32 s0, 0
	global_store_b8 v[0:1], v3, off
.LBB8_2027:
	s_mov_b32 s4, 0
.LBB8_2028:
	s_delay_alu instid0(SALU_CYCLE_1)
	s_and_b32 vcc_lo, exec_lo, s4
	s_cbranch_vccz .LBB8_2031
; %bb.2029:
	s_cmp_eq_u32 s2, 29
	s_mov_b32 s0, -1
	s_cbranch_scc0 .LBB8_2031
; %bb.2030:
	s_wait_xcnt 0x0
	v_trunc_f64_e32 v[2:3], v[12:13]
	s_mov_b32 s0, 0
	s_delay_alu instid0(VALU_DEP_1) | instskip(NEXT) | instid1(VALU_DEP_1)
	v_ldexp_f64 v[4:5], v[2:3], 0xffffffe0
	v_floor_f64_e32 v[4:5], v[4:5]
	s_delay_alu instid0(VALU_DEP_1) | instskip(SKIP_1) | instid1(VALU_DEP_2)
	v_fmamk_f64 v[2:3], v[4:5], 0xc1f00000, v[2:3]
	v_cvt_u32_f64_e32 v5, v[4:5]
	v_cvt_u32_f64_e32 v4, v[2:3]
	global_store_b64 v[0:1], v[4:5], off
.LBB8_2031:
	s_mov_b32 s4, 0
.LBB8_2032:
	s_delay_alu instid0(SALU_CYCLE_1)
	s_and_b32 vcc_lo, exec_lo, s4
	s_cbranch_vccz .LBB8_2047
; %bb.2033:
	s_cmp_lt_i32 s2, 27
	s_mov_b32 s4, -1
	s_cbranch_scc1 .LBB8_2039
; %bb.2034:
	s_wait_xcnt 0x0
	v_cvt_u32_f64_e32 v2, v[12:13]
	s_cmp_gt_i32 s2, 27
	s_cbranch_scc0 .LBB8_2036
; %bb.2035:
	s_mov_b32 s4, 0
	global_store_b32 v[0:1], v2, off
.LBB8_2036:
	s_and_not1_b32 vcc_lo, exec_lo, s4
	s_cbranch_vccnz .LBB8_2038
; %bb.2037:
	global_store_b16 v[0:1], v2, off
.LBB8_2038:
	s_mov_b32 s4, 0
.LBB8_2039:
	s_delay_alu instid0(SALU_CYCLE_1)
	s_and_not1_b32 vcc_lo, exec_lo, s4
	s_cbranch_vccnz .LBB8_2047
; %bb.2040:
	s_wait_xcnt 0x0
	v_cvt_f32_f64_e32 v2, v[12:13]
	v_mov_b32_e32 v4, 0x80
	s_mov_b32 s4, exec_lo
	s_delay_alu instid0(VALU_DEP_2) | instskip(NEXT) | instid1(VALU_DEP_1)
	v_and_b32_e32 v3, 0x7fffffff, v2
	v_cmpx_gt_u32_e32 0x43800000, v3
	s_cbranch_execz .LBB8_2046
; %bb.2041:
	v_cmp_lt_u32_e32 vcc_lo, 0x3bffffff, v3
	s_mov_b32 s5, 0
                                        ; implicit-def: $vgpr3
	s_and_saveexec_b32 s6, vcc_lo
	s_delay_alu instid0(SALU_CYCLE_1)
	s_xor_b32 s6, exec_lo, s6
	s_cbranch_execz .LBB8_2108
; %bb.2042:
	v_bfe_u32 v3, v2, 20, 1
	s_mov_b32 s5, exec_lo
	s_delay_alu instid0(VALU_DEP_1) | instskip(NEXT) | instid1(VALU_DEP_1)
	v_add3_u32 v3, v2, v3, 0x487ffff
	v_lshrrev_b32_e32 v3, 20, v3
	s_and_not1_saveexec_b32 s6, s6
	s_cbranch_execnz .LBB8_2109
.LBB8_2043:
	s_or_b32 exec_lo, exec_lo, s6
	v_mov_b32_e32 v4, 0
	s_and_saveexec_b32 s6, s5
.LBB8_2044:
	v_lshrrev_b32_e32 v2, 24, v2
	s_delay_alu instid0(VALU_DEP_1)
	v_and_or_b32 v4, 0x80, v2, v3
.LBB8_2045:
	s_or_b32 exec_lo, exec_lo, s6
.LBB8_2046:
	s_delay_alu instid0(SALU_CYCLE_1)
	s_or_b32 exec_lo, exec_lo, s4
	global_store_b8 v[0:1], v4, off
.LBB8_2047:
	s_mov_b32 s4, 0
.LBB8_2048:
	s_delay_alu instid0(SALU_CYCLE_1)
	s_and_b32 vcc_lo, exec_lo, s4
	s_cbranch_vccz .LBB8_2088
; %bb.2049:
	s_cmp_gt_i32 s2, 22
	s_mov_b32 s3, -1
	s_cbranch_scc0 .LBB8_2081
; %bb.2050:
	s_cmp_lt_i32 s2, 24
	s_cbranch_scc1 .LBB8_2070
; %bb.2051:
	s_cmp_gt_i32 s2, 24
	s_cbranch_scc0 .LBB8_2059
; %bb.2052:
	s_wait_xcnt 0x0
	v_cvt_f32_f64_e32 v2, v[12:13]
	v_mov_b32_e32 v4, 0x80
	s_mov_b32 s3, exec_lo
	s_delay_alu instid0(VALU_DEP_2) | instskip(NEXT) | instid1(VALU_DEP_1)
	v_and_b32_e32 v3, 0x7fffffff, v2
	v_cmpx_gt_u32_e32 0x47800000, v3
	s_cbranch_execz .LBB8_2058
; %bb.2053:
	v_cmp_lt_u32_e32 vcc_lo, 0x37ffffff, v3
	s_mov_b32 s4, 0
                                        ; implicit-def: $vgpr3
	s_and_saveexec_b32 s5, vcc_lo
	s_delay_alu instid0(SALU_CYCLE_1)
	s_xor_b32 s5, exec_lo, s5
	s_cbranch_execz .LBB8_2111
; %bb.2054:
	v_bfe_u32 v3, v2, 21, 1
	s_mov_b32 s4, exec_lo
	s_delay_alu instid0(VALU_DEP_1) | instskip(NEXT) | instid1(VALU_DEP_1)
	v_add3_u32 v3, v2, v3, 0x88fffff
	v_lshrrev_b32_e32 v3, 21, v3
	s_and_not1_saveexec_b32 s5, s5
	s_cbranch_execnz .LBB8_2112
.LBB8_2055:
	s_or_b32 exec_lo, exec_lo, s5
	v_mov_b32_e32 v4, 0
	s_and_saveexec_b32 s5, s4
.LBB8_2056:
	v_lshrrev_b32_e32 v2, 24, v2
	s_delay_alu instid0(VALU_DEP_1)
	v_and_or_b32 v4, 0x80, v2, v3
.LBB8_2057:
	s_or_b32 exec_lo, exec_lo, s5
.LBB8_2058:
	s_delay_alu instid0(SALU_CYCLE_1)
	s_or_b32 exec_lo, exec_lo, s3
	s_mov_b32 s3, 0
	global_store_b8 v[0:1], v4, off
.LBB8_2059:
	s_and_b32 vcc_lo, exec_lo, s3
	s_cbranch_vccz .LBB8_2069
; %bb.2060:
	s_wait_xcnt 0x0
	v_cvt_f32_f64_e32 v2, v[12:13]
	s_mov_b32 s3, exec_lo
                                        ; implicit-def: $vgpr3
	s_delay_alu instid0(VALU_DEP_1) | instskip(NEXT) | instid1(VALU_DEP_1)
	v_and_b32_e32 v4, 0x7fffffff, v2
	v_cmpx_gt_u32_e32 0x43f00000, v4
	s_xor_b32 s3, exec_lo, s3
	s_cbranch_execz .LBB8_2066
; %bb.2061:
	s_mov_b32 s4, exec_lo
                                        ; implicit-def: $vgpr3
	v_cmpx_lt_u32_e32 0x3c7fffff, v4
	s_xor_b32 s4, exec_lo, s4
; %bb.2062:
	v_bfe_u32 v3, v2, 20, 1
	s_delay_alu instid0(VALU_DEP_1) | instskip(NEXT) | instid1(VALU_DEP_1)
	v_add3_u32 v3, v2, v3, 0x407ffff
	v_and_b32_e32 v4, 0xff00000, v3
	v_lshrrev_b32_e32 v3, 20, v3
	s_delay_alu instid0(VALU_DEP_2) | instskip(NEXT) | instid1(VALU_DEP_2)
	v_cmp_ne_u32_e32 vcc_lo, 0x7f00000, v4
	v_cndmask_b32_e32 v3, 0x7e, v3, vcc_lo
; %bb.2063:
	s_and_not1_saveexec_b32 s4, s4
; %bb.2064:
	v_add_f32_e64 v3, 0x46800000, |v2|
; %bb.2065:
	s_or_b32 exec_lo, exec_lo, s4
                                        ; implicit-def: $vgpr4
.LBB8_2066:
	s_and_not1_saveexec_b32 s3, s3
; %bb.2067:
	v_mov_b32_e32 v3, 0x7f
	v_cmp_lt_u32_e32 vcc_lo, 0x7f800000, v4
	s_delay_alu instid0(VALU_DEP_2)
	v_cndmask_b32_e32 v3, 0x7e, v3, vcc_lo
; %bb.2068:
	s_or_b32 exec_lo, exec_lo, s3
	v_lshrrev_b32_e32 v2, 24, v2
	s_delay_alu instid0(VALU_DEP_1)
	v_and_or_b32 v2, 0x80, v2, v3
	global_store_b8 v[0:1], v2, off
.LBB8_2069:
	s_mov_b32 s3, 0
.LBB8_2070:
	s_delay_alu instid0(SALU_CYCLE_1)
	s_and_not1_b32 vcc_lo, exec_lo, s3
	s_cbranch_vccnz .LBB8_2080
; %bb.2071:
	s_wait_xcnt 0x0
	v_cvt_f32_f64_e32 v2, v[12:13]
	s_mov_b32 s3, exec_lo
                                        ; implicit-def: $vgpr3
	s_delay_alu instid0(VALU_DEP_1) | instskip(NEXT) | instid1(VALU_DEP_1)
	v_and_b32_e32 v4, 0x7fffffff, v2
	v_cmpx_gt_u32_e32 0x47800000, v4
	s_xor_b32 s3, exec_lo, s3
	s_cbranch_execz .LBB8_2077
; %bb.2072:
	s_mov_b32 s4, exec_lo
                                        ; implicit-def: $vgpr3
	v_cmpx_lt_u32_e32 0x387fffff, v4
	s_xor_b32 s4, exec_lo, s4
; %bb.2073:
	v_bfe_u32 v3, v2, 21, 1
	s_delay_alu instid0(VALU_DEP_1) | instskip(NEXT) | instid1(VALU_DEP_1)
	v_add3_u32 v3, v2, v3, 0x80fffff
	v_lshrrev_b32_e32 v3, 21, v3
; %bb.2074:
	s_and_not1_saveexec_b32 s4, s4
; %bb.2075:
	v_add_f32_e64 v3, 0x43000000, |v2|
; %bb.2076:
	s_or_b32 exec_lo, exec_lo, s4
                                        ; implicit-def: $vgpr4
.LBB8_2077:
	s_and_not1_saveexec_b32 s3, s3
; %bb.2078:
	v_mov_b32_e32 v3, 0x7f
	v_cmp_lt_u32_e32 vcc_lo, 0x7f800000, v4
	s_delay_alu instid0(VALU_DEP_2)
	v_cndmask_b32_e32 v3, 0x7c, v3, vcc_lo
; %bb.2079:
	s_or_b32 exec_lo, exec_lo, s3
	v_lshrrev_b32_e32 v2, 24, v2
	s_delay_alu instid0(VALU_DEP_1)
	v_and_or_b32 v2, 0x80, v2, v3
	global_store_b8 v[0:1], v2, off
.LBB8_2080:
	s_mov_b32 s3, 0
.LBB8_2081:
	s_delay_alu instid0(SALU_CYCLE_1)
	s_and_not1_b32 vcc_lo, exec_lo, s3
	s_mov_b32 s3, 0
	s_cbranch_vccnz .LBB8_2088
; %bb.2082:
	s_cmp_gt_i32 s2, 14
	s_mov_b32 s3, -1
	s_cbranch_scc0 .LBB8_2086
; %bb.2083:
	s_cmp_eq_u32 s2, 15
	s_mov_b32 s0, -1
	s_cbranch_scc0 .LBB8_2085
; %bb.2084:
	s_wait_xcnt 0x0
	v_cvt_f32_f64_e32 v2, v[12:13]
	s_mov_b32 s0, 0
	s_delay_alu instid0(VALU_DEP_1) | instskip(SKIP_1) | instid1(VALU_DEP_2)
	v_bfe_u32 v3, v2, 16, 1
	v_cmp_o_f32_e32 vcc_lo, v2, v2
	v_add3_u32 v3, v2, v3, 0x7fff
	s_delay_alu instid0(VALU_DEP_1) | instskip(NEXT) | instid1(VALU_DEP_1)
	v_lshrrev_b32_e32 v3, 16, v3
	v_cndmask_b32_e32 v2, 0x7fc0, v3, vcc_lo
	global_store_b16 v[0:1], v2, off
.LBB8_2085:
	s_mov_b32 s3, 0
.LBB8_2086:
	s_delay_alu instid0(SALU_CYCLE_1)
	s_and_b32 vcc_lo, exec_lo, s3
	s_mov_b32 s3, 0
	s_cbranch_vccz .LBB8_2088
; %bb.2087:
	s_cmp_lg_u32 s2, 11
	s_mov_b32 s3, -1
	s_cselect_b32 s0, -1, 0
.LBB8_2088:
	s_delay_alu instid0(SALU_CYCLE_1)
	s_and_b32 vcc_lo, exec_lo, s0
	s_cbranch_vccnz .LBB8_2110
.LBB8_2089:
	s_mov_b32 s0, 0
	s_branch .LBB8_1691
.LBB8_2090:
	s_mov_b32 s0, 0
	s_mov_b32 s3, 0
                                        ; implicit-def: $sgpr12
                                        ; implicit-def: $vgpr0_vgpr1
	s_branch .LBB8_1691
.LBB8_2091:
	s_mov_b32 s3, 0
	s_mov_b32 s0, -1
	s_branch .LBB8_1691
.LBB8_2092:
	s_or_b32 s1, s1, exec_lo
	s_trap 2
	s_cbranch_execz .LBB8_1552
	s_branch .LBB8_1553
.LBB8_2093:
	s_and_not1_saveexec_b32 s9, s9
	s_cbranch_execz .LBB8_1640
.LBB8_2094:
	v_add_f32_e64 v3, 0x46000000, |v2|
	s_and_not1_b32 s8, s8, exec_lo
	s_delay_alu instid0(VALU_DEP_1) | instskip(NEXT) | instid1(VALU_DEP_1)
	v_and_b32_e32 v3, 0xff, v3
	v_cmp_ne_u32_e32 vcc_lo, 0, v3
	s_and_b32 s13, vcc_lo, exec_lo
	s_delay_alu instid0(SALU_CYCLE_1)
	s_or_b32 s8, s8, s13
	s_or_b32 exec_lo, exec_lo, s9
	v_mov_b32_e32 v7, 0
	s_and_saveexec_b32 s9, s8
	s_cbranch_execnz .LBB8_1641
	s_branch .LBB8_1642
.LBB8_2095:
	s_or_b32 s1, s1, exec_lo
	s_trap 2
	s_cbranch_execz .LBB8_1688
	s_branch .LBB8_1689
.LBB8_2096:
	s_and_not1_saveexec_b32 s8, s8
	s_cbranch_execz .LBB8_1653
.LBB8_2097:
	v_add_f32_e64 v3, 0x42800000, |v2|
	s_and_not1_b32 s7, s7, exec_lo
	s_delay_alu instid0(VALU_DEP_1) | instskip(NEXT) | instid1(VALU_DEP_1)
	v_and_b32_e32 v3, 0xff, v3
	v_cmp_ne_u32_e32 vcc_lo, 0, v3
	s_and_b32 s9, vcc_lo, exec_lo
	s_delay_alu instid0(SALU_CYCLE_1)
	s_or_b32 s7, s7, s9
	s_or_b32 exec_lo, exec_lo, s8
	v_mov_b32_e32 v7, 0
	s_and_saveexec_b32 s8, s7
	s_cbranch_execnz .LBB8_1654
	s_branch .LBB8_1655
.LBB8_2098:
	s_and_not1_saveexec_b32 s9, s9
	s_cbranch_execz .LBB8_1804
.LBB8_2099:
	v_add_f32_e64 v6, 0x46000000, |v1|
	s_and_not1_b32 s8, s8, exec_lo
	s_delay_alu instid0(VALU_DEP_1) | instskip(NEXT) | instid1(VALU_DEP_1)
	v_and_b32_e32 v6, 0xff, v6
	v_cmp_ne_u32_e32 vcc_lo, 0, v6
	s_and_b32 s13, vcc_lo, exec_lo
	s_delay_alu instid0(SALU_CYCLE_1)
	s_or_b32 s8, s8, s13
	s_or_b32 exec_lo, exec_lo, s9
	v_mov_b32_e32 v7, 0
	s_and_saveexec_b32 s9, s8
	s_cbranch_execnz .LBB8_1805
	s_branch .LBB8_1806
.LBB8_2100:
	s_or_b32 s1, s1, exec_lo
	s_trap 2
	s_cbranch_execz .LBB8_1852
	s_branch .LBB8_1853
.LBB8_2101:
	s_and_not1_saveexec_b32 s8, s8
	s_cbranch_execz .LBB8_1817
.LBB8_2102:
	v_add_f32_e64 v6, 0x42800000, |v1|
	s_and_not1_b32 s7, s7, exec_lo
	s_delay_alu instid0(VALU_DEP_1) | instskip(NEXT) | instid1(VALU_DEP_1)
	v_and_b32_e32 v6, 0xff, v6
	v_cmp_ne_u32_e32 vcc_lo, 0, v6
	s_and_b32 s9, vcc_lo, exec_lo
	s_delay_alu instid0(SALU_CYCLE_1)
	s_or_b32 s7, s7, s9
	s_or_b32 exec_lo, exec_lo, s8
	v_mov_b32_e32 v7, 0
	s_and_saveexec_b32 s8, s7
	s_cbranch_execnz .LBB8_1818
	s_branch .LBB8_1819
.LBB8_2103:
	s_and_not1_saveexec_b32 s9, s9
	s_cbranch_execz .LBB8_1923
.LBB8_2104:
	v_add_f32_e64 v4, 0x46000000, |v1|
	s_and_not1_b32 s8, s8, exec_lo
	s_delay_alu instid0(VALU_DEP_1) | instskip(NEXT) | instid1(VALU_DEP_1)
	v_and_b32_e32 v4, 0xff, v4
	v_cmp_ne_u32_e32 vcc_lo, 0, v4
	s_and_b32 s13, vcc_lo, exec_lo
	s_delay_alu instid0(SALU_CYCLE_1)
	s_or_b32 s8, s8, s13
	s_or_b32 exec_lo, exec_lo, s9
	v_mov_b32_e32 v5, 0
	s_and_saveexec_b32 s9, s8
	s_cbranch_execnz .LBB8_1924
	s_branch .LBB8_1925
.LBB8_2105:
	s_or_b32 s1, s1, exec_lo
	s_trap 2
	s_cbranch_execz .LBB8_1971
	s_branch .LBB8_1972
.LBB8_2106:
	s_and_not1_saveexec_b32 s8, s8
	s_cbranch_execz .LBB8_1936
.LBB8_2107:
	v_add_f32_e64 v4, 0x42800000, |v1|
	s_and_not1_b32 s7, s7, exec_lo
	s_delay_alu instid0(VALU_DEP_1) | instskip(NEXT) | instid1(VALU_DEP_1)
	v_and_b32_e32 v4, 0xff, v4
	v_cmp_ne_u32_e32 vcc_lo, 0, v4
	s_and_b32 s9, vcc_lo, exec_lo
	s_delay_alu instid0(SALU_CYCLE_1)
	s_or_b32 s7, s7, s9
	s_or_b32 exec_lo, exec_lo, s8
	v_mov_b32_e32 v5, 0
	s_and_saveexec_b32 s8, s7
	s_cbranch_execnz .LBB8_1937
	s_branch .LBB8_1938
.LBB8_2108:
	s_and_not1_saveexec_b32 s6, s6
	s_cbranch_execz .LBB8_2043
.LBB8_2109:
	v_add_f32_e64 v3, 0x46000000, |v2|
	s_and_not1_b32 s5, s5, exec_lo
	s_delay_alu instid0(VALU_DEP_1) | instskip(NEXT) | instid1(VALU_DEP_1)
	v_and_b32_e32 v3, 0xff, v3
	v_cmp_ne_u32_e32 vcc_lo, 0, v3
	s_and_b32 s7, vcc_lo, exec_lo
	s_delay_alu instid0(SALU_CYCLE_1)
	s_or_b32 s5, s5, s7
	s_or_b32 exec_lo, exec_lo, s6
	v_mov_b32_e32 v4, 0
	s_and_saveexec_b32 s6, s5
	s_cbranch_execnz .LBB8_2044
	s_branch .LBB8_2045
.LBB8_2110:
	s_mov_b32 s3, 0
	s_or_b32 s1, s1, exec_lo
	s_trap 2
	s_branch .LBB8_2089
.LBB8_2111:
	s_and_not1_saveexec_b32 s5, s5
	s_cbranch_execz .LBB8_2055
.LBB8_2112:
	v_add_f32_e64 v3, 0x42800000, |v2|
	s_and_not1_b32 s4, s4, exec_lo
	s_delay_alu instid0(VALU_DEP_1) | instskip(NEXT) | instid1(VALU_DEP_1)
	v_and_b32_e32 v3, 0xff, v3
	v_cmp_ne_u32_e32 vcc_lo, 0, v3
	s_and_b32 s6, vcc_lo, exec_lo
	s_delay_alu instid0(SALU_CYCLE_1)
	s_or_b32 s4, s4, s6
	s_or_b32 exec_lo, exec_lo, s5
	v_mov_b32_e32 v4, 0
	s_and_saveexec_b32 s5, s4
	s_cbranch_execnz .LBB8_2056
	s_branch .LBB8_2057
	.section	.rodata,"a",@progbits
	.p2align	6, 0x0
	.amdhsa_kernel _ZN2at6native32elementwise_kernel_manual_unrollILi128ELi4EZNS0_15gpu_kernel_implIZZZNS0_12_GLOBAL__N_137scaled_modified_bessel_k0_kernel_cudaERNS_18TensorIteratorBaseEENKUlvE_clEvENKUlvE_clEvEUldE_EEvS5_RKT_EUlibE_EEviT1_
		.amdhsa_group_segment_fixed_size 0
		.amdhsa_private_segment_fixed_size 0
		.amdhsa_kernarg_size 40
		.amdhsa_user_sgpr_count 2
		.amdhsa_user_sgpr_dispatch_ptr 0
		.amdhsa_user_sgpr_queue_ptr 0
		.amdhsa_user_sgpr_kernarg_segment_ptr 1
		.amdhsa_user_sgpr_dispatch_id 0
		.amdhsa_user_sgpr_kernarg_preload_length 0
		.amdhsa_user_sgpr_kernarg_preload_offset 0
		.amdhsa_user_sgpr_private_segment_size 0
		.amdhsa_wavefront_size32 1
		.amdhsa_uses_dynamic_stack 0
		.amdhsa_enable_private_segment 0
		.amdhsa_system_sgpr_workgroup_id_x 1
		.amdhsa_system_sgpr_workgroup_id_y 0
		.amdhsa_system_sgpr_workgroup_id_z 0
		.amdhsa_system_sgpr_workgroup_info 0
		.amdhsa_system_vgpr_workitem_id 0
		.amdhsa_next_free_vgpr 42
		.amdhsa_next_free_sgpr 26
		.amdhsa_named_barrier_count 0
		.amdhsa_reserve_vcc 1
		.amdhsa_float_round_mode_32 0
		.amdhsa_float_round_mode_16_64 0
		.amdhsa_float_denorm_mode_32 3
		.amdhsa_float_denorm_mode_16_64 3
		.amdhsa_fp16_overflow 0
		.amdhsa_memory_ordered 1
		.amdhsa_forward_progress 1
		.amdhsa_inst_pref_size 255
		.amdhsa_round_robin_scheduling 0
		.amdhsa_exception_fp_ieee_invalid_op 0
		.amdhsa_exception_fp_denorm_src 0
		.amdhsa_exception_fp_ieee_div_zero 0
		.amdhsa_exception_fp_ieee_overflow 0
		.amdhsa_exception_fp_ieee_underflow 0
		.amdhsa_exception_fp_ieee_inexact 0
		.amdhsa_exception_int_div_zero 0
	.end_amdhsa_kernel
	.section	.text._ZN2at6native32elementwise_kernel_manual_unrollILi128ELi4EZNS0_15gpu_kernel_implIZZZNS0_12_GLOBAL__N_137scaled_modified_bessel_k0_kernel_cudaERNS_18TensorIteratorBaseEENKUlvE_clEvENKUlvE_clEvEUldE_EEvS5_RKT_EUlibE_EEviT1_,"axG",@progbits,_ZN2at6native32elementwise_kernel_manual_unrollILi128ELi4EZNS0_15gpu_kernel_implIZZZNS0_12_GLOBAL__N_137scaled_modified_bessel_k0_kernel_cudaERNS_18TensorIteratorBaseEENKUlvE_clEvENKUlvE_clEvEUldE_EEvS5_RKT_EUlibE_EEviT1_,comdat
.Lfunc_end8:
	.size	_ZN2at6native32elementwise_kernel_manual_unrollILi128ELi4EZNS0_15gpu_kernel_implIZZZNS0_12_GLOBAL__N_137scaled_modified_bessel_k0_kernel_cudaERNS_18TensorIteratorBaseEENKUlvE_clEvENKUlvE_clEvEUldE_EEvS5_RKT_EUlibE_EEviT1_, .Lfunc_end8-_ZN2at6native32elementwise_kernel_manual_unrollILi128ELi4EZNS0_15gpu_kernel_implIZZZNS0_12_GLOBAL__N_137scaled_modified_bessel_k0_kernel_cudaERNS_18TensorIteratorBaseEENKUlvE_clEvENKUlvE_clEvEUldE_EEvS5_RKT_EUlibE_EEviT1_
                                        ; -- End function
	.set _ZN2at6native32elementwise_kernel_manual_unrollILi128ELi4EZNS0_15gpu_kernel_implIZZZNS0_12_GLOBAL__N_137scaled_modified_bessel_k0_kernel_cudaERNS_18TensorIteratorBaseEENKUlvE_clEvENKUlvE_clEvEUldE_EEvS5_RKT_EUlibE_EEviT1_.num_vgpr, 42
	.set _ZN2at6native32elementwise_kernel_manual_unrollILi128ELi4EZNS0_15gpu_kernel_implIZZZNS0_12_GLOBAL__N_137scaled_modified_bessel_k0_kernel_cudaERNS_18TensorIteratorBaseEENKUlvE_clEvENKUlvE_clEvEUldE_EEvS5_RKT_EUlibE_EEviT1_.num_agpr, 0
	.set _ZN2at6native32elementwise_kernel_manual_unrollILi128ELi4EZNS0_15gpu_kernel_implIZZZNS0_12_GLOBAL__N_137scaled_modified_bessel_k0_kernel_cudaERNS_18TensorIteratorBaseEENKUlvE_clEvENKUlvE_clEvEUldE_EEvS5_RKT_EUlibE_EEviT1_.numbered_sgpr, 26
	.set _ZN2at6native32elementwise_kernel_manual_unrollILi128ELi4EZNS0_15gpu_kernel_implIZZZNS0_12_GLOBAL__N_137scaled_modified_bessel_k0_kernel_cudaERNS_18TensorIteratorBaseEENKUlvE_clEvENKUlvE_clEvEUldE_EEvS5_RKT_EUlibE_EEviT1_.num_named_barrier, 0
	.set _ZN2at6native32elementwise_kernel_manual_unrollILi128ELi4EZNS0_15gpu_kernel_implIZZZNS0_12_GLOBAL__N_137scaled_modified_bessel_k0_kernel_cudaERNS_18TensorIteratorBaseEENKUlvE_clEvENKUlvE_clEvEUldE_EEvS5_RKT_EUlibE_EEviT1_.private_seg_size, 0
	.set _ZN2at6native32elementwise_kernel_manual_unrollILi128ELi4EZNS0_15gpu_kernel_implIZZZNS0_12_GLOBAL__N_137scaled_modified_bessel_k0_kernel_cudaERNS_18TensorIteratorBaseEENKUlvE_clEvENKUlvE_clEvEUldE_EEvS5_RKT_EUlibE_EEviT1_.uses_vcc, 1
	.set _ZN2at6native32elementwise_kernel_manual_unrollILi128ELi4EZNS0_15gpu_kernel_implIZZZNS0_12_GLOBAL__N_137scaled_modified_bessel_k0_kernel_cudaERNS_18TensorIteratorBaseEENKUlvE_clEvENKUlvE_clEvEUldE_EEvS5_RKT_EUlibE_EEviT1_.uses_flat_scratch, 0
	.set _ZN2at6native32elementwise_kernel_manual_unrollILi128ELi4EZNS0_15gpu_kernel_implIZZZNS0_12_GLOBAL__N_137scaled_modified_bessel_k0_kernel_cudaERNS_18TensorIteratorBaseEENKUlvE_clEvENKUlvE_clEvEUldE_EEvS5_RKT_EUlibE_EEviT1_.has_dyn_sized_stack, 0
	.set _ZN2at6native32elementwise_kernel_manual_unrollILi128ELi4EZNS0_15gpu_kernel_implIZZZNS0_12_GLOBAL__N_137scaled_modified_bessel_k0_kernel_cudaERNS_18TensorIteratorBaseEENKUlvE_clEvENKUlvE_clEvEUldE_EEvS5_RKT_EUlibE_EEviT1_.has_recursion, 0
	.set _ZN2at6native32elementwise_kernel_manual_unrollILi128ELi4EZNS0_15gpu_kernel_implIZZZNS0_12_GLOBAL__N_137scaled_modified_bessel_k0_kernel_cudaERNS_18TensorIteratorBaseEENKUlvE_clEvENKUlvE_clEvEUldE_EEvS5_RKT_EUlibE_EEviT1_.has_indirect_call, 0
	.section	.AMDGPU.csdata,"",@progbits
; Kernel info:
; codeLenInByte = 64876
; TotalNumSgprs: 28
; NumVgprs: 42
; ScratchSize: 0
; MemoryBound: 1
; FloatMode: 240
; IeeeMode: 1
; LDSByteSize: 0 bytes/workgroup (compile time only)
; SGPRBlocks: 0
; VGPRBlocks: 2
; NumSGPRsForWavesPerEU: 28
; NumVGPRsForWavesPerEU: 42
; NamedBarCnt: 0
; Occupancy: 16
; WaveLimiterHint : 0
; COMPUTE_PGM_RSRC2:SCRATCH_EN: 0
; COMPUTE_PGM_RSRC2:USER_SGPR: 2
; COMPUTE_PGM_RSRC2:TRAP_HANDLER: 0
; COMPUTE_PGM_RSRC2:TGID_X_EN: 1
; COMPUTE_PGM_RSRC2:TGID_Y_EN: 0
; COMPUTE_PGM_RSRC2:TGID_Z_EN: 0
; COMPUTE_PGM_RSRC2:TIDIG_COMP_CNT: 0
	.section	.text._ZN2at6native32elementwise_kernel_manual_unrollILi128ELi4EZNS0_15gpu_kernel_implIZZZNS0_12_GLOBAL__N_137scaled_modified_bessel_k0_kernel_cudaERNS_18TensorIteratorBaseEENKUlvE_clEvENKUlvE_clEvEUldE_EEvS5_RKT_EUlibE0_EEviT1_,"axG",@progbits,_ZN2at6native32elementwise_kernel_manual_unrollILi128ELi4EZNS0_15gpu_kernel_implIZZZNS0_12_GLOBAL__N_137scaled_modified_bessel_k0_kernel_cudaERNS_18TensorIteratorBaseEENKUlvE_clEvENKUlvE_clEvEUldE_EEvS5_RKT_EUlibE0_EEviT1_,comdat
	.globl	_ZN2at6native32elementwise_kernel_manual_unrollILi128ELi4EZNS0_15gpu_kernel_implIZZZNS0_12_GLOBAL__N_137scaled_modified_bessel_k0_kernel_cudaERNS_18TensorIteratorBaseEENKUlvE_clEvENKUlvE_clEvEUldE_EEvS5_RKT_EUlibE0_EEviT1_ ; -- Begin function _ZN2at6native32elementwise_kernel_manual_unrollILi128ELi4EZNS0_15gpu_kernel_implIZZZNS0_12_GLOBAL__N_137scaled_modified_bessel_k0_kernel_cudaERNS_18TensorIteratorBaseEENKUlvE_clEvENKUlvE_clEvEUldE_EEvS5_RKT_EUlibE0_EEviT1_
	.p2align	8
	.type	_ZN2at6native32elementwise_kernel_manual_unrollILi128ELi4EZNS0_15gpu_kernel_implIZZZNS0_12_GLOBAL__N_137scaled_modified_bessel_k0_kernel_cudaERNS_18TensorIteratorBaseEENKUlvE_clEvENKUlvE_clEvEUldE_EEvS5_RKT_EUlibE0_EEviT1_,@function
_ZN2at6native32elementwise_kernel_manual_unrollILi128ELi4EZNS0_15gpu_kernel_implIZZZNS0_12_GLOBAL__N_137scaled_modified_bessel_k0_kernel_cudaERNS_18TensorIteratorBaseEENKUlvE_clEvENKUlvE_clEvEUldE_EEvS5_RKT_EUlibE0_EEviT1_: ; @_ZN2at6native32elementwise_kernel_manual_unrollILi128ELi4EZNS0_15gpu_kernel_implIZZZNS0_12_GLOBAL__N_137scaled_modified_bessel_k0_kernel_cudaERNS_18TensorIteratorBaseEENKUlvE_clEvENKUlvE_clEvEUldE_EEvS5_RKT_EUlibE0_EEviT1_
; %bb.0:
	s_clause 0x1
	s_load_b32 s28, s[0:1], 0x8
	s_load_b32 s36, s[0:1], 0x0
	s_bfe_u32 s2, ttmp6, 0x4000c
	s_and_b32 s3, ttmp6, 15
	s_add_co_i32 s2, s2, 1
	s_getreg_b32 s4, hwreg(HW_REG_IB_STS2, 6, 4)
	s_mul_i32 s2, ttmp9, s2
	s_mov_b32 s30, 0
	s_add_co_i32 s3, s3, s2
	s_cmp_eq_u32 s4, 0
	s_mov_b32 s23, -1
	s_cselect_b32 s2, ttmp9, s3
	s_mov_b32 s8, 0
	v_lshl_or_b32 v4, s2, 9, v0
	s_add_nc_u64 s[2:3], s[0:1], 8
	s_wait_xcnt 0x0
	s_mov_b32 s0, exec_lo
	s_delay_alu instid0(VALU_DEP_1) | instskip(SKIP_2) | instid1(SALU_CYCLE_1)
	v_or_b32_e32 v5, 0x180, v4
	s_wait_kmcnt 0x0
	s_add_co_i32 s29, s28, -1
	s_cmp_gt_u32 s29, 1
	s_cselect_b32 s31, -1, 0
	v_cmpx_le_i32_e64 s36, v5
	s_xor_b32 s33, exec_lo, s0
	s_cbranch_execz .LBB9_1128
; %bb.1:
	v_mov_b32_e32 v0, 0
	s_clause 0x3
	s_load_b128 s[12:15], s[2:3], 0x4
	s_load_b64 s[0:1], s[2:3], 0x14
	s_load_b128 s[8:11], s[2:3], 0xc4
	s_load_b128 s[4:7], s[2:3], 0x148
	s_cmp_lg_u32 s28, 0
	s_mov_b32 s17, 0
	s_cselect_b32 s38, -1, 0
	global_load_u16 v0, v0, s[2:3] offset:345
	s_min_u32 s37, s29, 15
	s_cmp_gt_u32 s28, 1
	s_add_nc_u64 s[20:21], s[2:3], 0xc4
	s_cselect_b32 s35, -1, 0
	s_mov_b32 s19, s17
	s_mov_b32 s40, s17
	;; [unrolled: 1-line block ×3, first 2 shown]
	s_mov_b32 s41, exec_lo
	s_wait_kmcnt 0x0
	s_mov_b32 s16, s13
	s_mov_b32 s18, s0
	s_wait_loadcnt 0x0
	v_readfirstlane_b32 s34, v0
	s_and_b32 s13, 0xffff, s34
	s_delay_alu instid0(SALU_CYCLE_1)
	s_lshr_b32 s13, s13, 8
	v_cmpx_gt_i32_e64 s36, v4
	s_cbranch_execz .LBB9_275
; %bb.2:
	s_and_not1_b32 vcc_lo, exec_lo, s31
	s_cbranch_vccnz .LBB9_8
; %bb.3:
	s_and_not1_b32 vcc_lo, exec_lo, s38
	s_cbranch_vccnz .LBB9_9
; %bb.4:
	s_add_co_i32 s0, s37, 1
	s_cmp_eq_u32 s29, 2
	s_cbranch_scc1 .LBB9_10
; %bb.5:
	v_dual_mov_b32 v2, 0 :: v_dual_mov_b32 v0, 0
	v_mov_b32_e32 v1, v4
	s_and_b32 s22, s0, 28
	s_mov_b32 s23, 0
	s_mov_b64 s[24:25], s[2:3]
	s_mov_b64 s[26:27], s[20:21]
.LBB9_6:                                ; =>This Inner Loop Header: Depth=1
	s_clause 0x1
	s_load_b256 s[44:51], s[24:25], 0x4
	s_load_b128 s[60:63], s[24:25], 0x24
	s_load_b256 s[52:59], s[26:27], 0x0
	s_add_co_i32 s23, s23, 4
	s_wait_xcnt 0x0
	s_add_nc_u64 s[24:25], s[24:25], 48
	s_cmp_lg_u32 s22, s23
	s_add_nc_u64 s[26:27], s[26:27], 32
	s_wait_kmcnt 0x0
	v_mul_hi_u32 v3, s45, v1
	s_delay_alu instid0(VALU_DEP_1) | instskip(NEXT) | instid1(VALU_DEP_1)
	v_add_nc_u32_e32 v3, v1, v3
	v_lshrrev_b32_e32 v3, s46, v3
	s_delay_alu instid0(VALU_DEP_1) | instskip(NEXT) | instid1(VALU_DEP_1)
	v_mul_hi_u32 v5, s48, v3
	v_add_nc_u32_e32 v5, v3, v5
	s_delay_alu instid0(VALU_DEP_1) | instskip(NEXT) | instid1(VALU_DEP_1)
	v_lshrrev_b32_e32 v5, s49, v5
	v_mul_hi_u32 v6, s51, v5
	s_delay_alu instid0(VALU_DEP_1) | instskip(SKIP_1) | instid1(VALU_DEP_1)
	v_add_nc_u32_e32 v6, v5, v6
	v_mul_lo_u32 v7, v3, s44
	v_sub_nc_u32_e32 v1, v1, v7
	v_mul_lo_u32 v7, v5, s47
	s_delay_alu instid0(VALU_DEP_4) | instskip(NEXT) | instid1(VALU_DEP_3)
	v_lshrrev_b32_e32 v6, s60, v6
	v_mad_u32 v0, v1, s53, v0
	v_mad_u32 v1, v1, s52, v2
	s_delay_alu instid0(VALU_DEP_4) | instskip(NEXT) | instid1(VALU_DEP_4)
	v_sub_nc_u32_e32 v2, v3, v7
	v_mul_hi_u32 v8, s62, v6
	v_mul_lo_u32 v3, v6, s50
	s_delay_alu instid0(VALU_DEP_3) | instskip(SKIP_1) | instid1(VALU_DEP_3)
	v_mad_u32 v0, v2, s55, v0
	v_mad_u32 v2, v2, s54, v1
	v_dual_add_nc_u32 v7, v6, v8 :: v_dual_sub_nc_u32 v3, v5, v3
	s_delay_alu instid0(VALU_DEP_1) | instskip(NEXT) | instid1(VALU_DEP_2)
	v_lshrrev_b32_e32 v1, s63, v7
	v_mad_u32 v0, v3, s57, v0
	s_delay_alu instid0(VALU_DEP_4) | instskip(NEXT) | instid1(VALU_DEP_3)
	v_mad_u32 v2, v3, s56, v2
	v_mul_lo_u32 v5, v1, s61
	s_delay_alu instid0(VALU_DEP_1) | instskip(NEXT) | instid1(VALU_DEP_1)
	v_sub_nc_u32_e32 v3, v6, v5
	v_mad_u32 v0, v3, s59, v0
	s_delay_alu instid0(VALU_DEP_4)
	v_mad_u32 v2, v3, s58, v2
	s_cbranch_scc1 .LBB9_6
; %bb.7:
	s_delay_alu instid0(VALU_DEP_2)
	v_mov_b32_e32 v3, v0
	s_and_b32 s0, s0, 3
	s_mov_b32 s23, 0
	s_cmp_eq_u32 s0, 0
	s_cbranch_scc0 .LBB9_11
	s_branch .LBB9_14
.LBB9_8:
                                        ; implicit-def: $vgpr0
                                        ; implicit-def: $vgpr2
	s_branch .LBB9_15
.LBB9_9:
	v_dual_mov_b32 v0, 0 :: v_dual_mov_b32 v2, 0
	s_branch .LBB9_14
.LBB9_10:
	v_mov_b64_e32 v[2:3], 0
	v_mov_b32_e32 v1, v4
	s_mov_b32 s22, 0
                                        ; implicit-def: $vgpr0
	s_and_b32 s0, s0, 3
	s_mov_b32 s23, 0
	s_cmp_eq_u32 s0, 0
	s_cbranch_scc1 .LBB9_14
.LBB9_11:
	s_lshl_b32 s24, s22, 3
	s_mov_b32 s25, s23
	s_mul_u64 s[26:27], s[22:23], 12
	s_add_nc_u64 s[24:25], s[2:3], s[24:25]
	s_delay_alu instid0(SALU_CYCLE_1)
	s_add_nc_u64 s[22:23], s[24:25], 0xc4
	s_add_nc_u64 s[24:25], s[2:3], s[26:27]
.LBB9_12:                               ; =>This Inner Loop Header: Depth=1
	s_load_b96 s[44:46], s[24:25], 0x4
	s_load_b64 s[26:27], s[22:23], 0x0
	s_add_co_i32 s0, s0, -1
	s_wait_xcnt 0x0
	s_add_nc_u64 s[24:25], s[24:25], 12
	s_cmp_lg_u32 s0, 0
	s_add_nc_u64 s[22:23], s[22:23], 8
	s_wait_kmcnt 0x0
	v_mul_hi_u32 v0, s45, v1
	s_delay_alu instid0(VALU_DEP_1) | instskip(NEXT) | instid1(VALU_DEP_1)
	v_add_nc_u32_e32 v0, v1, v0
	v_lshrrev_b32_e32 v0, s46, v0
	s_delay_alu instid0(VALU_DEP_1) | instskip(NEXT) | instid1(VALU_DEP_1)
	v_mul_lo_u32 v5, v0, s44
	v_sub_nc_u32_e32 v1, v1, v5
	s_delay_alu instid0(VALU_DEP_1)
	v_mad_u32 v3, v1, s27, v3
	v_mad_u32 v2, v1, s26, v2
	v_mov_b32_e32 v1, v0
	s_cbranch_scc1 .LBB9_12
; %bb.13:
	s_delay_alu instid0(VALU_DEP_3)
	v_mov_b32_e32 v0, v3
.LBB9_14:
	s_cbranch_execnz .LBB9_17
.LBB9_15:
	v_mov_b32_e32 v5, 0
	s_and_not1_b32 vcc_lo, exec_lo, s35
	s_delay_alu instid0(VALU_DEP_1) | instskip(NEXT) | instid1(VALU_DEP_1)
	v_mul_u64_e32 v[0:1], s[16:17], v[4:5]
	v_add_nc_u32_e32 v0, v4, v1
	s_delay_alu instid0(VALU_DEP_1) | instskip(NEXT) | instid1(VALU_DEP_1)
	v_lshrrev_b32_e32 v6, s14, v0
	v_mul_lo_u32 v0, v6, s12
	s_delay_alu instid0(VALU_DEP_1) | instskip(NEXT) | instid1(VALU_DEP_1)
	v_sub_nc_u32_e32 v1, v4, v0
	v_mul_lo_u32 v0, v1, s9
	v_mul_lo_u32 v2, v1, s8
	s_cbranch_vccnz .LBB9_17
; %bb.16:
	v_mov_b32_e32 v7, v5
	s_delay_alu instid0(VALU_DEP_1) | instskip(NEXT) | instid1(VALU_DEP_1)
	v_mul_u64_e32 v[8:9], s[18:19], v[6:7]
	v_add_nc_u32_e32 v1, v6, v9
	s_delay_alu instid0(VALU_DEP_1) | instskip(NEXT) | instid1(VALU_DEP_1)
	v_lshrrev_b32_e32 v1, s1, v1
	v_mul_lo_u32 v1, v1, s15
	s_delay_alu instid0(VALU_DEP_1) | instskip(NEXT) | instid1(VALU_DEP_1)
	v_sub_nc_u32_e32 v1, v6, v1
	v_mad_u32 v2, v1, s10, v2
	v_mad_u32 v0, v1, s11, v0
.LBB9_17:
	v_mov_b32_e32 v1, 0
	s_and_b32 s0, 0xffff, s13
	s_delay_alu instid0(SALU_CYCLE_1) | instskip(NEXT) | instid1(VALU_DEP_1)
	s_cmp_lt_i32 s0, 11
	v_add_nc_u64_e32 v[0:1], s[6:7], v[0:1]
	s_cbranch_scc1 .LBB9_24
; %bb.18:
	s_cmp_gt_i32 s0, 25
	s_cbranch_scc0 .LBB9_41
; %bb.19:
	s_cmp_gt_i32 s0, 28
	s_cbranch_scc0 .LBB9_44
	;; [unrolled: 3-line block ×4, first 2 shown]
; %bb.22:
	s_cmp_eq_u32 s0, 46
	s_mov_b32 s24, 0
	s_cbranch_scc0 .LBB9_50
; %bb.23:
	global_load_b32 v3, v[0:1], off
	s_mov_b32 s23, -1
	s_mov_b32 s22, 0
	s_wait_loadcnt 0x0
	v_lshlrev_b32_e32 v3, 16, v3
	s_delay_alu instid0(VALU_DEP_1)
	v_cvt_f64_f32_e32 v[6:7], v3
	s_branch .LBB9_52
.LBB9_24:
	s_mov_b32 s22, 0
	s_mov_b32 s23, 0
                                        ; implicit-def: $vgpr6_vgpr7
	s_cbranch_execnz .LBB9_225
.LBB9_25:
	s_and_not1_b32 vcc_lo, exec_lo, s23
	s_cbranch_vccnz .LBB9_272
.LBB9_26:
	s_wait_xcnt 0x0
	v_mov_b64_e32 v[0:1], 0x7ff0000000000000
	s_mov_b32 s23, exec_lo
	s_wait_loadcnt 0x0
	s_delay_alu instid0(VALU_DEP_2)
	v_cmpx_neq_f64_e32 0, v[6:7]
	s_cbranch_execz .LBB9_34
; %bb.27:
	v_mov_b64_e32 v[0:1], 0x7ff8000000000000
	s_mov_b32 s24, exec_lo
	v_cmpx_ngt_f64_e32 0, v[6:7]
	s_cbranch_execz .LBB9_33
; %bb.28:
                                        ; implicit-def: $vgpr0_vgpr1
	s_mov_b32 s0, exec_lo
	v_cmpx_ge_f64_e32 2.0, v[6:7]
	s_xor_b32 s25, exec_lo, s0
	s_cbranch_execz .LBB9_30
; %bb.29:
	v_fma_f64 v[0:1], v[6:7], 0.5, -2.0
	s_mov_b64 s[26:27], 0xbc545cb72134d0ef
	v_mul_f64_e32 v[12:13], 0.5, v[6:7]
	s_delay_alu instid0(VALU_DEP_2) | instskip(SKIP_1) | instid1(VALU_DEP_2)
	v_fmaak_f64 v[8:9], s[26:27], v[0:1], 0x3c833362977da589
	s_mov_b64 s[26:27], 0x3fe5555555555555
	v_frexp_mant_f64_e32 v[14:15], v[12:13]
	v_cmp_neq_f64_e64 s0, 0, v[12:13]
	s_delay_alu instid0(VALU_DEP_3) | instskip(NEXT) | instid1(VALU_DEP_1)
	v_fmaak_f64 v[10:11], v[0:1], v[8:9], 0x3c545cb72134d0ef
	v_add_f64_e32 v[10:11], 0xbcb184eb721ebbb4, v[10:11]
	s_delay_alu instid0(VALU_DEP_4) | instskip(SKIP_1) | instid1(VALU_DEP_2)
	v_cmp_gt_f64_e32 vcc_lo, s[26:27], v[14:15]
	s_mov_b64 s[26:27], 0x3fc3ab76bf559e2b
	v_fma_f64 v[8:9], v[0:1], v[10:11], -v[8:9]
	v_cndmask_b32_e64 v3, 0, 1, vcc_lo
	s_delay_alu instid0(VALU_DEP_1) | instskip(SKIP_1) | instid1(VALU_DEP_4)
	v_ldexp_f64 v[14:15], v[14:15], v3
	v_frexp_exp_i32_f64_e32 v3, v[12:13]
	v_add_f64_e32 v[8:9], 0x3cdee6d893f65eba, v[8:9]
	s_delay_alu instid0(VALU_DEP_3) | instskip(SKIP_1) | instid1(VALU_DEP_4)
	v_add_f64_e32 v[16:17], 1.0, v[14:15]
	v_add_f64_e32 v[22:23], -1.0, v[14:15]
	v_subrev_co_ci_u32_e64 v3, null, 0, v3, vcc_lo
	v_cmp_neq_f64_e32 vcc_lo, 0x7ff00000, v[12:13]
	v_fma_f64 v[10:11], v[0:1], v[8:9], -v[10:11]
	v_rcp_f64_e32 v[18:19], v[16:17]
	v_add_f64_e32 v[24:25], -1.0, v[16:17]
	s_delay_alu instid0(VALU_DEP_2) | instskip(NEXT) | instid1(VALU_DEP_2)
	v_add_f64_e32 v[10:11], 0xbd0a5022c297fbeb, v[10:11]
	v_add_f64_e64 v[14:15], v[14:15], -v[24:25]
	s_delay_alu instid0(TRANS32_DEP_1) | instskip(NEXT) | instid1(VALU_DEP_3)
	v_fma_f64 v[20:21], -v[16:17], v[18:19], 1.0
	v_fma_f64 v[8:9], v[0:1], v[10:11], -v[8:9]
	s_delay_alu instid0(VALU_DEP_2) | instskip(NEXT) | instid1(VALU_DEP_2)
	v_fmac_f64_e32 v[18:19], v[20:21], v[18:19]
	v_add_f64_e32 v[8:9], 0x3d359b464b262627, v[8:9]
	s_delay_alu instid0(VALU_DEP_2) | instskip(NEXT) | instid1(VALU_DEP_2)
	v_fma_f64 v[20:21], -v[16:17], v[18:19], 1.0
	v_fma_f64 v[10:11], v[0:1], v[8:9], -v[10:11]
	s_delay_alu instid0(VALU_DEP_2) | instskip(NEXT) | instid1(VALU_DEP_2)
	v_fmac_f64_e32 v[18:19], v[20:21], v[18:19]
	v_add_f64_e32 v[10:11], 0xbd61164c62ee1af0, v[10:11]
	s_delay_alu instid0(VALU_DEP_2) | instskip(NEXT) | instid1(VALU_DEP_2)
	v_mul_f64_e32 v[20:21], v[22:23], v[18:19]
	v_fma_f64 v[8:9], v[0:1], v[10:11], -v[8:9]
	s_delay_alu instid0(VALU_DEP_2) | instskip(NEXT) | instid1(VALU_DEP_2)
	v_mul_f64_e32 v[26:27], v[16:17], v[20:21]
	v_add_f64_e32 v[8:9], 0x3d89fe2fe19bd324, v[8:9]
	s_delay_alu instid0(VALU_DEP_2) | instskip(NEXT) | instid1(VALU_DEP_2)
	v_fma_f64 v[16:17], v[20:21], v[16:17], -v[26:27]
	v_fma_f64 v[10:11], v[0:1], v[8:9], -v[10:11]
	s_delay_alu instid0(VALU_DEP_2) | instskip(NEXT) | instid1(VALU_DEP_2)
	v_fmac_f64_e32 v[16:17], v[20:21], v[14:15]
	v_add_f64_e32 v[10:11], 0xbdb2fc957a946abc, v[10:11]
	s_delay_alu instid0(VALU_DEP_2) | instskip(NEXT) | instid1(VALU_DEP_2)
	v_add_f64_e32 v[14:15], v[26:27], v[16:17]
	v_fma_f64 v[8:9], v[0:1], v[10:11], -v[8:9]
	s_delay_alu instid0(VALU_DEP_2) | instskip(NEXT) | instid1(VALU_DEP_2)
	v_add_f64_e64 v[24:25], v[22:23], -v[14:15]
	v_add_f64_e32 v[8:9], 0x3dda98becc743c10, v[8:9]
	v_add_f64_e64 v[26:27], v[14:15], -v[26:27]
	s_delay_alu instid0(VALU_DEP_3) | instskip(NEXT) | instid1(VALU_DEP_3)
	v_add_f64_e64 v[22:23], v[22:23], -v[24:25]
	v_fma_f64 v[10:11], v[0:1], v[8:9], -v[10:11]
	s_delay_alu instid0(VALU_DEP_3) | instskip(SKIP_1) | instid1(VALU_DEP_4)
	v_add_f64_e64 v[16:17], v[26:27], -v[16:17]
	v_cvt_f64_i32_e32 v[26:27], v3
	v_add_f64_e64 v[14:15], v[22:23], -v[14:15]
	s_delay_alu instid0(VALU_DEP_4) | instskip(NEXT) | instid1(VALU_DEP_3)
	v_add_f64_e32 v[10:11], 0xbe01d4fe13ae9556, v[10:11]
	v_mul_f64_e32 v[28:29], 0x3fe62e42fefa39ef, v[26:27]
	s_delay_alu instid0(VALU_DEP_3) | instskip(NEXT) | instid1(VALU_DEP_3)
	v_add_f64_e32 v[14:15], v[16:17], v[14:15]
	v_fma_f64 v[8:9], v[0:1], v[10:11], -v[8:9]
	s_delay_alu instid0(VALU_DEP_2) | instskip(NEXT) | instid1(VALU_DEP_2)
	v_add_f64_e32 v[14:15], v[24:25], v[14:15]
	v_add_f64_e32 v[8:9], 0x3e26d903a454cb34, v[8:9]
	s_delay_alu instid0(VALU_DEP_2) | instskip(NEXT) | instid1(VALU_DEP_2)
	v_mul_f64_e32 v[14:15], v[18:19], v[14:15]
	v_fma_f64 v[10:11], v[0:1], v[8:9], -v[10:11]
	s_delay_alu instid0(VALU_DEP_2) | instskip(NEXT) | instid1(VALU_DEP_2)
	v_add_f64_e32 v[16:17], v[20:21], v[14:15]
	v_add_f64_e32 v[10:11], 0xbe4beaf68c0b30ab, v[10:11]
	s_delay_alu instid0(VALU_DEP_2) | instskip(NEXT) | instid1(VALU_DEP_2)
	v_mul_f64_e32 v[18:19], v[16:17], v[16:17]
	v_fma_f64 v[8:9], v[0:1], v[10:11], -v[8:9]
	s_delay_alu instid0(VALU_DEP_2) | instskip(NEXT) | instid1(VALU_DEP_2)
	v_fmaak_f64 v[22:23], s[26:27], v[18:19], 0x3fc385386b47b09a
	v_add_f64_e32 v[8:9], 0x3e703b769d4d6435, v[8:9]
	v_mul_f64_e32 v[24:25], v[16:17], v[18:19]
	s_mov_b64 s[26:27], 0x3ca3cee1e6a7fd77
	s_delay_alu instid0(VALU_DEP_3) | instskip(NEXT) | instid1(VALU_DEP_1)
	v_fmaak_f64 v[22:23], v[18:19], v[22:23], 0x3fc7474dd7f4df2e
	v_fmaak_f64 v[22:23], v[18:19], v[22:23], 0x3fcc71c016291751
	s_delay_alu instid0(VALU_DEP_1) | instskip(NEXT) | instid1(VALU_DEP_1)
	v_fmaak_f64 v[22:23], v[18:19], v[22:23], 0x3fd249249b27acf1
	v_fmaak_f64 v[22:23], v[18:19], v[22:23], 0x3fd99999998ef7b6
	v_fma_f64 v[10:11], v[0:1], v[8:9], -v[10:11]
	s_delay_alu instid0(VALU_DEP_2) | instskip(SKIP_2) | instid1(VALU_DEP_3)
	v_fmaak_f64 v[18:19], v[18:19], v[22:23], 0x3fe5555555555780
	v_ldexp_f64 v[22:23], v[16:17], 1
	v_add_f64_e64 v[16:17], v[16:17], -v[20:21]
	v_mul_f64_e32 v[18:19], v[24:25], v[18:19]
	v_fma_f64 v[24:25], v[6:7], v[6:7], -2.0
	v_add_f64_e32 v[10:11], 0xbe91ec638f227f8d, v[10:11]
	s_delay_alu instid0(VALU_DEP_4) | instskip(NEXT) | instid1(VALU_DEP_4)
	v_add_f64_e64 v[14:15], v[14:15], -v[16:17]
	v_add_f64_e32 v[20:21], v[22:23], v[18:19]
	s_delay_alu instid0(VALU_DEP_3) | instskip(NEXT) | instid1(VALU_DEP_3)
	v_fma_f64 v[8:9], v[0:1], v[10:11], -v[8:9]
	v_ldexp_f64 v[14:15], v[14:15], 1
	s_delay_alu instid0(VALU_DEP_3) | instskip(SKIP_2) | instid1(VALU_DEP_1)
	v_add_f64_e64 v[16:17], v[20:21], -v[22:23]
	v_fmaak_f64 v[22:23], s[26:27], v[24:25], 0x3d27fb0ac384c2aa
	s_mov_b64 s[26:27], 0x3fe62e42fefa39ef
	v_fmaak_f64 v[30:31], v[24:25], v[22:23], 0xbca3cee1e6a7fd77
	v_add_f64_e32 v[8:9], 0x3eb2bf24978cf4ac, v[8:9]
	s_delay_alu instid0(VALU_DEP_4) | instskip(NEXT) | instid1(VALU_DEP_3)
	v_add_f64_e64 v[16:17], v[18:19], -v[16:17]
	v_add_f64_e32 v[18:19], 0x3da6c25c47512144, v[30:31]
	v_fma_f64 v[30:31], v[26:27], s[26:27], -v[28:29]
	s_mov_b64 s[26:27], 0x3e5ade156a5dcb37
	s_delay_alu instid0(VALU_DEP_4) | instskip(NEXT) | instid1(VALU_DEP_4)
	v_fma_f64 v[10:11], v[0:1], v[8:9], -v[10:11]
	v_add_f64_e32 v[14:15], v[14:15], v[16:17]
	s_delay_alu instid0(VALU_DEP_4) | instskip(NEXT) | instid1(VALU_DEP_4)
	v_fma_f64 v[16:17], v[24:25], v[18:19], -v[22:23]
	v_fmamk_f64 v[22:23], v[26:27], 0x3c7abc9e3b39803f, v[30:31]
	s_delay_alu instid0(VALU_DEP_1) | instskip(SKIP_3) | instid1(VALU_DEP_4)
	v_add_f64_e32 v[30:31], v[28:29], v[22:23]
	v_add_f64_e32 v[10:11], 0xbed2866fcba56427, v[10:11]
	;; [unrolled: 1-line block ×4, first 2 shown]
	v_add_f64_e64 v[28:29], v[30:31], -v[28:29]
	s_delay_alu instid0(VALU_DEP_4) | instskip(NEXT) | instid1(VALU_DEP_4)
	v_fma_f64 v[8:9], v[0:1], v[10:11], -v[8:9]
	v_add_f64_e32 v[32:33], v[30:31], v[26:27]
	s_delay_alu instid0(VALU_DEP_4) | instskip(SKIP_1) | instid1(VALU_DEP_4)
	v_fma_f64 v[18:19], v[24:25], v[16:17], -v[18:19]
	v_add_f64_e64 v[20:21], v[26:27], -v[20:21]
	v_add_f64_e32 v[8:9], 0x3ef13f58be9a2859, v[8:9]
	s_delay_alu instid0(VALU_DEP_4) | instskip(NEXT) | instid1(VALU_DEP_4)
	v_add_f64_e64 v[34:35], v[32:33], -v[30:31]
	v_add_f64_e32 v[18:19], 0x3e9102bce7f95efc, v[18:19]
	s_delay_alu instid0(VALU_DEP_4)
	v_add_f64_e64 v[14:15], v[14:15], -v[20:21]
	v_add_f64_e64 v[20:21], v[22:23], -v[28:29]
	v_mul_f64_e32 v[28:29], 0x3ff71547652b82fe, v[6:7]
	v_fma_f64 v[10:11], v[0:1], v[8:9], -v[10:11]
	v_add_f64_e64 v[36:37], v[32:33], -v[34:35]
	v_fma_f64 v[16:17], v[24:25], v[18:19], -v[16:17]
	v_add_f64_e64 v[26:27], v[26:27], -v[34:35]
	s_delay_alu instid0(VALU_DEP_4) | instskip(NEXT) | instid1(VALU_DEP_4)
	v_add_f64_e32 v[10:11], 0xbf0e2b2659c41d5a, v[10:11]
	v_add_f64_e64 v[22:23], v[30:31], -v[36:37]
	s_delay_alu instid0(VALU_DEP_4) | instskip(SKIP_1) | instid1(VALU_DEP_4)
	v_add_f64_e32 v[16:17], 0x3ef7f900fe8cfca0, v[16:17]
	v_add_f64_e32 v[30:31], v[20:21], v[14:15]
	v_fma_f64 v[8:9], v[0:1], v[10:11], -v[8:9]
	s_delay_alu instid0(VALU_DEP_4) | instskip(NEXT) | instid1(VALU_DEP_4)
	v_add_f64_e32 v[22:23], v[26:27], v[22:23]
	v_fma_f64 v[18:19], v[24:25], v[16:17], -v[18:19]
	v_rndne_f64_e32 v[26:27], v[28:29]
	v_add_f64_e64 v[28:29], v[30:31], -v[20:21]
	v_add_f64_e32 v[8:9], 0x3f28b51b74107cab, v[8:9]
	v_add_f64_e32 v[22:23], v[30:31], v[22:23]
	;; [unrolled: 1-line block ×3, first 2 shown]
	v_fmamk_f64 v[6:7], v[26:27], 0xbfe62e42fefa39ef, v[6:7]
	v_add_f64_e64 v[30:31], v[30:31], -v[28:29]
	v_add_f64_e64 v[14:15], v[14:15], -v[28:29]
	v_cvt_i32_f64_e32 v3, v[26:27]
	s_delay_alu instid0(VALU_DEP_4) | instskip(NEXT) | instid1(VALU_DEP_1)
	v_fmamk_f64 v[6:7], v[26:27], 0xbc7abc9e3b39803f, v[6:7]
	v_fmaak_f64 v[36:37], s[26:27], v[6:7], 0x3e928af3fca7ab0c
	s_delay_alu instid0(VALU_DEP_1) | instskip(SKIP_1) | instid1(VALU_DEP_2)
	v_fmaak_f64 v[36:37], v[6:7], v[36:37], 0x3ec71dee623fde64
	v_fma_f64 v[10:11], v[0:1], v[8:9], -v[10:11]
	v_fmaak_f64 v[36:37], v[6:7], v[36:37], 0x3efa01997c89e6b0
	v_add_f64_e32 v[34:35], v[32:33], v[22:23]
	v_fma_f64 v[16:17], v[24:25], v[18:19], -v[16:17]
	v_add_f64_e64 v[20:21], v[20:21], -v[30:31]
	s_delay_alu instid0(VALU_DEP_4) | instskip(NEXT) | instid1(VALU_DEP_1)
	v_fmaak_f64 v[36:37], v[6:7], v[36:37], 0x3f2a01a014761f6e
	v_fmaak_f64 v[30:31], v[6:7], v[36:37], 0x3f56c16c1852b7b0
	v_add_f64_e32 v[10:11], 0xbf42e2fd1f15eb52, v[10:11]
	v_add_f64_e64 v[28:29], v[34:35], -v[32:33]
	v_add_f64_e32 v[16:17], 0x3fa26bf6554a9085, v[16:17]
	v_add_f64_e32 v[14:15], v[14:15], v[20:21]
	s_delay_alu instid0(VALU_DEP_4) | instskip(NEXT) | instid1(VALU_DEP_4)
	v_fma_f64 v[8:9], v[0:1], v[10:11], -v[8:9]
	v_add_f64_e64 v[20:21], v[22:23], -v[28:29]
	s_delay_alu instid0(VALU_DEP_4) | instskip(NEXT) | instid1(VALU_DEP_3)
	v_fma_f64 v[18:19], v[24:25], v[16:17], -v[18:19]
	v_add_f64_e32 v[8:9], 0x3f5adc758a12100e, v[8:9]
	s_delay_alu instid0(VALU_DEP_3) | instskip(NEXT) | instid1(VALU_DEP_3)
	v_add_f64_e32 v[14:15], v[14:15], v[20:21]
	v_add_f64_e32 v[18:19], 0x3fd608d881213db9, v[18:19]
	s_delay_alu instid0(VALU_DEP_3) | instskip(NEXT) | instid1(VALU_DEP_1)
	v_fma_f64 v[10:11], v[0:1], v[8:9], -v[10:11]
	v_add_f64_e32 v[10:11], 0xbf71b65e201aa849, v[10:11]
	s_delay_alu instid0(VALU_DEP_1) | instskip(NEXT) | instid1(VALU_DEP_1)
	v_fma_f64 v[8:9], v[0:1], v[10:11], -v[8:9]
	v_add_f64_e32 v[8:9], 0x3f859961f3dde3dd, v[8:9]
	s_delay_alu instid0(VALU_DEP_1) | instskip(NEXT) | instid1(VALU_DEP_1)
	;; [unrolled: 3-line block ×6, first 2 shown]
	v_fma_f64 v[10:11], v[0:1], v[8:9], -v[10:11]
	v_add_f64_e32 v[10:11], 0xbfd37febc057cd8d, v[10:11]
	s_delay_alu instid0(VALU_DEP_1) | instskip(SKIP_1) | instid1(VALU_DEP_1)
	v_fma_f64 v[0:1], v[0:1], v[10:11], -v[8:9]
	v_fmaak_f64 v[10:11], v[6:7], v[30:31], 0x3f81111111122322
	v_fmaak_f64 v[10:11], v[6:7], v[10:11], 0x3fa55555555502a1
	s_delay_alu instid0(VALU_DEP_1) | instskip(NEXT) | instid1(VALU_DEP_1)
	v_fmaak_f64 v[10:11], v[6:7], v[10:11], 0x3fc5555555555511
	v_fmaak_f64 v[10:11], v[6:7], v[10:11], 0x3fe000000000000b
	s_delay_alu instid0(VALU_DEP_1) | instskip(SKIP_1) | instid1(VALU_DEP_2)
	v_fma_f64 v[10:11], v[6:7], v[10:11], 1.0
	v_add_f64_e32 v[0:1], 0x3fe5a84e9035a22a, v[0:1]
	v_fma_f64 v[6:7], v[6:7], v[10:11], 1.0
	v_fma_f64 v[10:11], v[24:25], v[18:19], -v[16:17]
	s_delay_alu instid0(VALU_DEP_3) | instskip(SKIP_1) | instid1(VALU_DEP_4)
	v_add_f64_e64 v[0:1], v[0:1], -v[8:9]
	v_add_f64_e32 v[8:9], v[34:35], v[14:15]
	v_ldexp_f64 v[6:7], v[6:7], v3
	s_delay_alu instid0(VALU_DEP_4) | instskip(NEXT) | instid1(VALU_DEP_4)
	v_add_f64_e32 v[10:11], 0xbfe12166e9d2f61f, v[10:11]
	v_mul_f64_e32 v[0:1], 0.5, v[0:1]
	s_delay_alu instid0(VALU_DEP_4) | instskip(SKIP_2) | instid1(VALU_DEP_2)
	v_cndmask_b32_e32 v3, 0x7ff00000, v9, vcc_lo
	s_and_b32 vcc_lo, s0, vcc_lo
	v_cndmask_b32_e32 v8, 0, v8, vcc_lo
	v_cndmask_b32_e64 v9, 0xfff00000, v3, s0
	v_add_f64_e64 v[10:11], v[10:11], -v[16:17]
	v_mul_f64_e32 v[0:1], v[6:7], v[0:1]
	s_delay_alu instid0(VALU_DEP_1) | instskip(NEXT) | instid1(VALU_DEP_1)
	v_mul_f64_e32 v[0:1], v[8:9], v[0:1]
	v_fma_f64 v[0:1], v[10:11], 0.5, -v[0:1]
	s_delay_alu instid0(VALU_DEP_1)
	v_mul_f64_e32 v[0:1], v[6:7], v[0:1]
                                        ; implicit-def: $vgpr6_vgpr7
.LBB9_30:
	s_and_not1_saveexec_b32 s0, s25
	s_cbranch_execz .LBB9_32
; %bb.31:
	v_div_scale_f64 v[0:1], null, v[6:7], v[6:7], 0x40200000
	v_div_scale_f64 v[12:13], vcc_lo, 0x40200000, v[6:7], 0x40200000
	s_mov_b64 s[26:27], 0x3c5871a5cf8c9ee1
	v_rcp_f64_e32 v[8:9], v[0:1]
	v_nop
	s_delay_alu instid0(TRANS32_DEP_1) | instskip(NEXT) | instid1(VALU_DEP_1)
	v_fma_f64 v[10:11], -v[0:1], v[8:9], 1.0
	v_fmac_f64_e32 v[8:9], v[8:9], v[10:11]
	s_delay_alu instid0(VALU_DEP_1) | instskip(NEXT) | instid1(VALU_DEP_1)
	v_fma_f64 v[10:11], -v[0:1], v[8:9], 1.0
	v_fmac_f64_e32 v[8:9], v[8:9], v[10:11]
	s_delay_alu instid0(VALU_DEP_1) | instskip(NEXT) | instid1(VALU_DEP_1)
	v_mul_f64_e32 v[10:11], v[12:13], v[8:9]
	v_fma_f64 v[0:1], -v[0:1], v[10:11], v[12:13]
	s_delay_alu instid0(VALU_DEP_1) | instskip(SKIP_1) | instid1(VALU_DEP_2)
	v_div_fmas_f64 v[0:1], v[0:1], v[8:9], v[10:11]
	v_cmp_gt_f64_e32 vcc_lo, 0x10000000, v[6:7]
	v_div_fixup_f64 v[0:1], v[0:1], v[6:7], 0x40200000
	v_cndmask_b32_e64 v3, 0, 0x100, vcc_lo
	s_delay_alu instid0(VALU_DEP_1) | instskip(SKIP_1) | instid1(VALU_DEP_2)
	v_ldexp_f64 v[6:7], v[6:7], v3
	v_cndmask_b32_e64 v3, 0, 0xffffff80, vcc_lo
	v_cmp_class_f64_e64 vcc_lo, v[6:7], 0x260
	v_add_f64_e32 v[0:1], -2.0, v[0:1]
	v_rsq_f64_e32 v[12:13], v[6:7]
	s_delay_alu instid0(VALU_DEP_1) | instskip(NEXT) | instid1(TRANS32_DEP_1)
	v_fmaak_f64 v[8:9], s[26:27], v[0:1], 0xbc72fecc93812603
	v_mul_f64_e32 v[14:15], v[6:7], v[12:13]
	s_delay_alu instid0(VALU_DEP_2) | instskip(SKIP_1) | instid1(VALU_DEP_2)
	v_fmaak_f64 v[10:11], v[0:1], v[8:9], 0xbc5871a5cf8c9ee1
	v_mul_f64_e32 v[12:13], 0.5, v[12:13]
	v_add_f64_e32 v[10:11], 0x3c8e092e41a8cdf4, v[10:11]
	s_delay_alu instid0(VALU_DEP_2) | instskip(NEXT) | instid1(VALU_DEP_2)
	v_fma_f64 v[16:17], -v[12:13], v[14:15], 0.5
	v_fma_f64 v[8:9], v[0:1], v[10:11], -v[8:9]
	s_delay_alu instid0(VALU_DEP_2) | instskip(SKIP_1) | instid1(VALU_DEP_3)
	v_fmac_f64_e32 v[14:15], v[14:15], v[16:17]
	v_fmac_f64_e32 v[12:13], v[12:13], v[16:17]
	v_add_f64_e32 v[8:9], 0xbca82f9474d77641, v[8:9]
	s_delay_alu instid0(VALU_DEP_3) | instskip(NEXT) | instid1(VALU_DEP_2)
	v_fma_f64 v[16:17], -v[14:15], v[14:15], v[6:7]
	v_fma_f64 v[10:11], v[0:1], v[8:9], -v[10:11]
	s_delay_alu instid0(VALU_DEP_2) | instskip(NEXT) | instid1(VALU_DEP_2)
	v_fmac_f64_e32 v[14:15], v[16:17], v[12:13]
	v_add_f64_e32 v[10:11], 0x3cc3dbf96b94785b, v[10:11]
	s_delay_alu instid0(VALU_DEP_1) | instskip(NEXT) | instid1(VALU_DEP_1)
	v_fma_f64 v[8:9], v[0:1], v[10:11], -v[8:9]
	v_add_f64_e32 v[8:9], 0xbce0a690ecfadd36, v[8:9]
	s_delay_alu instid0(VALU_DEP_1) | instskip(NEXT) | instid1(VALU_DEP_1)
	v_fma_f64 v[10:11], v[0:1], v[8:9], -v[10:11]
	;; [unrolled: 3-line block ×19, first 2 shown]
	v_add_f64_e32 v[8:9], 0xbfa019f72d4ff71e, v[8:9]
	s_delay_alu instid0(VALU_DEP_1) | instskip(SKIP_1) | instid1(VALU_DEP_2)
	v_fma_f64 v[0:1], v[0:1], v[8:9], -v[10:11]
	v_fma_f64 v[8:9], -v[14:15], v[14:15], v[6:7]
	v_add_f64_e32 v[0:1], 0x400385bd9f4e6907, v[0:1]
	s_delay_alu instid0(VALU_DEP_2) | instskip(NEXT) | instid1(VALU_DEP_2)
	v_fmac_f64_e32 v[14:15], v[8:9], v[12:13]
	v_add_f64_e64 v[0:1], v[0:1], -v[10:11]
	s_delay_alu instid0(VALU_DEP_2) | instskip(NEXT) | instid1(VALU_DEP_1)
	v_ldexp_f64 v[8:9], v[14:15], v3
	v_dual_mul_f64 v[0:1], 0.5, v[0:1] :: v_dual_cndmask_b32 v7, v9, v7, vcc_lo
	s_delay_alu instid0(VALU_DEP_2) | instskip(NEXT) | instid1(VALU_DEP_1)
	v_cndmask_b32_e32 v6, v8, v6, vcc_lo
	v_div_scale_f64 v[8:9], null, v[6:7], v[6:7], v[0:1]
	s_delay_alu instid0(VALU_DEP_1) | instskip(SKIP_1) | instid1(TRANS32_DEP_1)
	v_rcp_f64_e32 v[10:11], v[8:9]
	v_nop
	v_fma_f64 v[12:13], -v[8:9], v[10:11], 1.0
	s_delay_alu instid0(VALU_DEP_1) | instskip(NEXT) | instid1(VALU_DEP_1)
	v_fmac_f64_e32 v[10:11], v[10:11], v[12:13]
	v_fma_f64 v[12:13], -v[8:9], v[10:11], 1.0
	s_delay_alu instid0(VALU_DEP_1) | instskip(SKIP_1) | instid1(VALU_DEP_1)
	v_fmac_f64_e32 v[10:11], v[10:11], v[12:13]
	v_div_scale_f64 v[12:13], vcc_lo, v[0:1], v[6:7], v[0:1]
	v_mul_f64_e32 v[14:15], v[12:13], v[10:11]
	s_delay_alu instid0(VALU_DEP_1) | instskip(NEXT) | instid1(VALU_DEP_1)
	v_fma_f64 v[8:9], -v[8:9], v[14:15], v[12:13]
	v_div_fmas_f64 v[8:9], v[8:9], v[10:11], v[14:15]
	s_delay_alu instid0(VALU_DEP_1)
	v_div_fixup_f64 v[0:1], v[8:9], v[6:7], v[0:1]
.LBB9_32:
	s_or_b32 exec_lo, exec_lo, s0
.LBB9_33:
	s_delay_alu instid0(SALU_CYCLE_1)
	s_or_b32 exec_lo, exec_lo, s24
.LBB9_34:
	s_delay_alu instid0(SALU_CYCLE_1) | instskip(SKIP_2) | instid1(SALU_CYCLE_1)
	s_or_b32 exec_lo, exec_lo, s23
	v_mov_b32_e32 v3, 0
	s_and_b32 s23, s34, 0xff
	s_cmp_lt_i32 s23, 11
	s_delay_alu instid0(VALU_DEP_1)
	v_add_nc_u64_e32 v[6:7], s[4:5], v[2:3]
	s_cbranch_scc1 .LBB9_42
; %bb.35:
	s_and_b32 s24, 0xffff, s23
	s_delay_alu instid0(SALU_CYCLE_1)
	s_cmp_gt_i32 s24, 25
	s_cbranch_scc0 .LBB9_45
; %bb.36:
	s_cmp_gt_i32 s24, 28
	s_cbranch_scc0 .LBB9_47
; %bb.37:
	;; [unrolled: 3-line block ×4, first 2 shown]
	s_mov_b32 s26, 0
	s_mov_b32 s0, -1
	s_cmp_eq_u32 s24, 46
	s_mov_b32 s25, 0
	s_cbranch_scc0 .LBB9_56
; %bb.40:
	s_delay_alu instid0(VALU_DEP_3) | instskip(SKIP_2) | instid1(VALU_DEP_1)
	v_cvt_f32_f64_e32 v2, v[0:1]
	s_mov_b32 s25, -1
	s_mov_b32 s0, 0
	v_bfe_u32 v3, v2, 16, 1
	v_cmp_o_f32_e32 vcc_lo, v2, v2
	s_delay_alu instid0(VALU_DEP_2) | instskip(NEXT) | instid1(VALU_DEP_1)
	v_add3_u32 v3, v2, v3, 0x7fff
	v_lshrrev_b32_e32 v3, 16, v3
	s_delay_alu instid0(VALU_DEP_1)
	v_cndmask_b32_e32 v2, 0x7fc0, v3, vcc_lo
	global_store_b32 v[6:7], v2, off
	s_branch .LBB9_56
.LBB9_41:
	s_mov_b32 s22, 0
	s_mov_b32 s23, 0
                                        ; implicit-def: $vgpr6_vgpr7
	s_cbranch_execnz .LBB9_190
	s_branch .LBB9_224
.LBB9_42:
	s_mov_b32 s0, 0
	s_mov_b32 s25, 0
	s_cbranch_execnz .LBB9_125
.LBB9_43:
	s_and_not1_b32 vcc_lo, exec_lo, s25
	s_cbranch_vccz .LBB9_163
	s_branch .LBB9_273
.LBB9_44:
	s_mov_b32 s24, -1
	s_mov_b32 s22, 0
	s_mov_b32 s23, 0
                                        ; implicit-def: $vgpr6_vgpr7
	s_branch .LBB9_171
.LBB9_45:
	s_mov_b32 s26, -1
	s_mov_b32 s0, 0
	s_mov_b32 s25, 0
	s_branch .LBB9_83
.LBB9_46:
	s_mov_b32 s24, -1
	s_mov_b32 s22, 0
	s_mov_b32 s23, 0
                                        ; implicit-def: $vgpr6_vgpr7
	s_branch .LBB9_166
.LBB9_47:
	s_mov_b32 s26, -1
	s_mov_b32 s0, 0
	s_mov_b32 s25, 0
	s_branch .LBB9_66
.LBB9_48:
	s_mov_b32 s24, -1
	s_mov_b32 s22, 0
	s_branch .LBB9_51
.LBB9_49:
	s_mov_b32 s26, -1
	s_mov_b32 s0, 0
	s_mov_b32 s25, 0
	s_branch .LBB9_62
.LBB9_50:
	s_mov_b32 s22, -1
.LBB9_51:
	s_mov_b32 s23, 0
                                        ; implicit-def: $vgpr6_vgpr7
.LBB9_52:
	s_and_b32 vcc_lo, exec_lo, s24
	s_cbranch_vccz .LBB9_165
; %bb.53:
	s_cmp_eq_u32 s0, 44
	s_cbranch_scc0 .LBB9_164
; %bb.54:
	global_load_u8 v3, v[0:1], off
	s_mov_b32 s22, 0
	s_mov_b32 s23, -1
	s_wait_loadcnt 0x0
	v_lshlrev_b32_e32 v5, 23, v3
	v_cmp_ne_u32_e32 vcc_lo, 0xff, v3
	s_delay_alu instid0(VALU_DEP_2) | instskip(NEXT) | instid1(VALU_DEP_1)
	v_cvt_f64_f32_e32 v[6:7], v5
	v_cndmask_b32_e32 v5, 0x20000000, v6, vcc_lo
	s_delay_alu instid0(VALU_DEP_2) | instskip(SKIP_1) | instid1(VALU_DEP_2)
	v_cndmask_b32_e32 v6, 0x7ff80000, v7, vcc_lo
	v_cmp_ne_u32_e32 vcc_lo, 0, v3
	v_cndmask_b32_e32 v7, 0x38000000, v6, vcc_lo
	s_delay_alu instid0(VALU_DEP_4)
	v_cndmask_b32_e32 v6, 0, v5, vcc_lo
	s_branch .LBB9_165
.LBB9_55:
	s_mov_b32 s26, -1
	s_mov_b32 s0, 0
	s_mov_b32 s25, 0
.LBB9_56:
	s_and_b32 vcc_lo, exec_lo, s26
	s_cbranch_vccz .LBB9_61
; %bb.57:
	s_cmp_eq_u32 s24, 44
	s_mov_b32 s0, -1
	s_cbranch_scc0 .LBB9_61
; %bb.58:
	s_wait_xcnt 0x0
	s_delay_alu instid0(VALU_DEP_3) | instskip(SKIP_2) | instid1(VALU_DEP_2)
	v_cvt_f32_f64_e32 v2, v[0:1]
	v_mov_b32_e32 v3, 0xff
	s_mov_b32 s25, exec_lo
	v_bfe_u32 v5, v2, 23, 8
	s_delay_alu instid0(VALU_DEP_1)
	v_cmpx_ne_u32_e32 0xff, v5
	s_cbranch_execz .LBB9_60
; %bb.59:
	v_and_b32_e32 v3, 0x400000, v2
	v_and_or_b32 v5, 0x3fffff, v2, v5
	v_lshrrev_b32_e32 v2, 23, v2
	s_delay_alu instid0(VALU_DEP_3) | instskip(NEXT) | instid1(VALU_DEP_3)
	v_cmp_ne_u32_e32 vcc_lo, 0, v3
	v_cmp_ne_u32_e64 s0, 0, v5
	s_and_b32 s0, vcc_lo, s0
	s_delay_alu instid0(SALU_CYCLE_1) | instskip(NEXT) | instid1(VALU_DEP_1)
	v_cndmask_b32_e64 v3, 0, 1, s0
	v_add_nc_u32_e32 v3, v2, v3
.LBB9_60:
	s_or_b32 exec_lo, exec_lo, s25
	s_mov_b32 s25, -1
	s_mov_b32 s0, 0
	global_store_b8 v[6:7], v3, off
.LBB9_61:
	s_mov_b32 s26, 0
.LBB9_62:
	s_delay_alu instid0(SALU_CYCLE_1)
	s_and_b32 vcc_lo, exec_lo, s26
	s_cbranch_vccz .LBB9_65
; %bb.63:
	s_cmp_eq_u32 s24, 29
	s_mov_b32 s0, -1
	s_cbranch_scc0 .LBB9_65
; %bb.64:
	s_wait_xcnt 0x0
	s_delay_alu instid0(VALU_DEP_3) | instskip(SKIP_3) | instid1(VALU_DEP_1)
	v_trunc_f64_e32 v[2:3], v[0:1]
	s_mov_b32 s25, -1
	s_mov_b32 s0, 0
	s_mov_b32 s26, 0
	v_ldexp_f64 v[8:9], v[2:3], 0xffffffe0
	s_delay_alu instid0(VALU_DEP_1) | instskip(NEXT) | instid1(VALU_DEP_1)
	v_floor_f64_e32 v[8:9], v[8:9]
	v_fmamk_f64 v[2:3], v[8:9], 0xc1f00000, v[2:3]
	v_cvt_u32_f64_e32 v9, v[8:9]
	s_delay_alu instid0(VALU_DEP_2)
	v_cvt_u32_f64_e32 v8, v[2:3]
	global_store_b64 v[6:7], v[8:9], off
	s_branch .LBB9_66
.LBB9_65:
	s_mov_b32 s26, 0
.LBB9_66:
	s_delay_alu instid0(SALU_CYCLE_1)
	s_and_b32 vcc_lo, exec_lo, s26
	s_cbranch_vccz .LBB9_82
; %bb.67:
	s_cmp_lt_i32 s24, 27
	s_mov_b32 s25, -1
	s_cbranch_scc1 .LBB9_73
; %bb.68:
	s_wait_xcnt 0x0
	s_delay_alu instid0(VALU_DEP_3)
	v_cvt_u32_f64_e32 v2, v[0:1]
	s_cmp_gt_i32 s24, 27
	s_cbranch_scc0 .LBB9_70
; %bb.69:
	s_mov_b32 s25, 0
	global_store_b32 v[6:7], v2, off
.LBB9_70:
	s_and_not1_b32 vcc_lo, exec_lo, s25
	s_cbranch_vccnz .LBB9_72
; %bb.71:
	global_store_b16 v[6:7], v2, off
.LBB9_72:
	s_mov_b32 s25, 0
.LBB9_73:
	s_delay_alu instid0(SALU_CYCLE_1)
	s_and_not1_b32 vcc_lo, exec_lo, s25
	s_cbranch_vccnz .LBB9_81
; %bb.74:
	s_wait_xcnt 0x0
	s_delay_alu instid0(VALU_DEP_3) | instskip(SKIP_2) | instid1(VALU_DEP_2)
	v_cvt_f32_f64_e32 v2, v[0:1]
	v_mov_b32_e32 v5, 0x80
	s_mov_b32 s25, exec_lo
	v_and_b32_e32 v3, 0x7fffffff, v2
	s_delay_alu instid0(VALU_DEP_1)
	v_cmpx_gt_u32_e32 0x43800000, v3
	s_cbranch_execz .LBB9_80
; %bb.75:
	v_cmp_lt_u32_e32 vcc_lo, 0x3bffffff, v3
	s_mov_b32 s26, 0
                                        ; implicit-def: $vgpr3
	s_and_saveexec_b32 s27, vcc_lo
	s_delay_alu instid0(SALU_CYCLE_1)
	s_xor_b32 s27, exec_lo, s27
	s_cbranch_execz .LBB9_326
; %bb.76:
	v_bfe_u32 v3, v2, 20, 1
	s_mov_b32 s26, exec_lo
	s_delay_alu instid0(VALU_DEP_1) | instskip(NEXT) | instid1(VALU_DEP_1)
	v_add3_u32 v3, v2, v3, 0x487ffff
	v_lshrrev_b32_e32 v3, 20, v3
	s_and_not1_saveexec_b32 s27, s27
	s_cbranch_execnz .LBB9_327
.LBB9_77:
	s_or_b32 exec_lo, exec_lo, s27
	v_mov_b32_e32 v5, 0
	s_and_saveexec_b32 s27, s26
.LBB9_78:
	v_lshrrev_b32_e32 v2, 24, v2
	s_delay_alu instid0(VALU_DEP_1)
	v_and_or_b32 v5, 0x80, v2, v3
.LBB9_79:
	s_or_b32 exec_lo, exec_lo, s27
.LBB9_80:
	s_delay_alu instid0(SALU_CYCLE_1)
	s_or_b32 exec_lo, exec_lo, s25
	global_store_b8 v[6:7], v5, off
.LBB9_81:
	s_mov_b32 s25, -1
.LBB9_82:
	s_mov_b32 s26, 0
.LBB9_83:
	s_delay_alu instid0(SALU_CYCLE_1)
	s_and_b32 vcc_lo, exec_lo, s26
	s_cbranch_vccz .LBB9_124
; %bb.84:
	s_cmp_gt_i32 s24, 22
	s_mov_b32 s26, -1
	s_cbranch_scc0 .LBB9_116
; %bb.85:
	s_cmp_lt_i32 s24, 24
	s_mov_b32 s25, -1
	s_cbranch_scc1 .LBB9_105
; %bb.86:
	s_cmp_gt_i32 s24, 24
	s_cbranch_scc0 .LBB9_94
; %bb.87:
	s_wait_xcnt 0x0
	s_delay_alu instid0(VALU_DEP_3) | instskip(SKIP_2) | instid1(VALU_DEP_2)
	v_cvt_f32_f64_e32 v2, v[0:1]
	v_mov_b32_e32 v5, 0x80
	s_mov_b32 s25, exec_lo
	v_and_b32_e32 v3, 0x7fffffff, v2
	s_delay_alu instid0(VALU_DEP_1)
	v_cmpx_gt_u32_e32 0x47800000, v3
	s_cbranch_execz .LBB9_93
; %bb.88:
	v_cmp_lt_u32_e32 vcc_lo, 0x37ffffff, v3
	s_mov_b32 s26, 0
                                        ; implicit-def: $vgpr3
	s_and_saveexec_b32 s27, vcc_lo
	s_delay_alu instid0(SALU_CYCLE_1)
	s_xor_b32 s27, exec_lo, s27
	s_cbranch_execz .LBB9_330
; %bb.89:
	v_bfe_u32 v3, v2, 21, 1
	s_mov_b32 s26, exec_lo
	s_delay_alu instid0(VALU_DEP_1) | instskip(NEXT) | instid1(VALU_DEP_1)
	v_add3_u32 v3, v2, v3, 0x88fffff
	v_lshrrev_b32_e32 v3, 21, v3
	s_and_not1_saveexec_b32 s27, s27
	s_cbranch_execnz .LBB9_331
.LBB9_90:
	s_or_b32 exec_lo, exec_lo, s27
	v_mov_b32_e32 v5, 0
	s_and_saveexec_b32 s27, s26
.LBB9_91:
	v_lshrrev_b32_e32 v2, 24, v2
	s_delay_alu instid0(VALU_DEP_1)
	v_and_or_b32 v5, 0x80, v2, v3
.LBB9_92:
	s_or_b32 exec_lo, exec_lo, s27
.LBB9_93:
	s_delay_alu instid0(SALU_CYCLE_1)
	s_or_b32 exec_lo, exec_lo, s25
	s_mov_b32 s25, 0
	global_store_b8 v[6:7], v5, off
.LBB9_94:
	s_and_b32 vcc_lo, exec_lo, s25
	s_cbranch_vccz .LBB9_104
; %bb.95:
	s_wait_xcnt 0x0
	s_delay_alu instid0(VALU_DEP_3) | instskip(SKIP_1) | instid1(VALU_DEP_1)
	v_cvt_f32_f64_e32 v2, v[0:1]
	s_mov_b32 s25, exec_lo
                                        ; implicit-def: $vgpr3
	v_and_b32_e32 v5, 0x7fffffff, v2
	s_delay_alu instid0(VALU_DEP_1)
	v_cmpx_gt_u32_e32 0x43f00000, v5
	s_xor_b32 s25, exec_lo, s25
	s_cbranch_execz .LBB9_101
; %bb.96:
	s_mov_b32 s26, exec_lo
                                        ; implicit-def: $vgpr3
	v_cmpx_lt_u32_e32 0x3c7fffff, v5
	s_xor_b32 s26, exec_lo, s26
; %bb.97:
	v_bfe_u32 v3, v2, 20, 1
	s_delay_alu instid0(VALU_DEP_1) | instskip(NEXT) | instid1(VALU_DEP_1)
	v_add3_u32 v3, v2, v3, 0x407ffff
	v_and_b32_e32 v5, 0xff00000, v3
	v_lshrrev_b32_e32 v3, 20, v3
	s_delay_alu instid0(VALU_DEP_2) | instskip(NEXT) | instid1(VALU_DEP_2)
	v_cmp_ne_u32_e32 vcc_lo, 0x7f00000, v5
	v_cndmask_b32_e32 v3, 0x7e, v3, vcc_lo
; %bb.98:
	s_and_not1_saveexec_b32 s26, s26
; %bb.99:
	v_add_f32_e64 v3, 0x46800000, |v2|
; %bb.100:
	s_or_b32 exec_lo, exec_lo, s26
                                        ; implicit-def: $vgpr5
.LBB9_101:
	s_and_not1_saveexec_b32 s25, s25
; %bb.102:
	v_mov_b32_e32 v3, 0x7f
	v_cmp_lt_u32_e32 vcc_lo, 0x7f800000, v5
	s_delay_alu instid0(VALU_DEP_2)
	v_cndmask_b32_e32 v3, 0x7e, v3, vcc_lo
; %bb.103:
	s_or_b32 exec_lo, exec_lo, s25
	v_lshrrev_b32_e32 v2, 24, v2
	s_delay_alu instid0(VALU_DEP_1)
	v_and_or_b32 v2, 0x80, v2, v3
	global_store_b8 v[6:7], v2, off
.LBB9_104:
	s_mov_b32 s25, 0
.LBB9_105:
	s_delay_alu instid0(SALU_CYCLE_1)
	s_and_not1_b32 vcc_lo, exec_lo, s25
	s_cbranch_vccnz .LBB9_115
; %bb.106:
	s_wait_xcnt 0x0
	s_delay_alu instid0(VALU_DEP_3) | instskip(SKIP_1) | instid1(VALU_DEP_1)
	v_cvt_f32_f64_e32 v2, v[0:1]
	s_mov_b32 s25, exec_lo
                                        ; implicit-def: $vgpr3
	v_and_b32_e32 v5, 0x7fffffff, v2
	s_delay_alu instid0(VALU_DEP_1)
	v_cmpx_gt_u32_e32 0x47800000, v5
	s_xor_b32 s25, exec_lo, s25
	s_cbranch_execz .LBB9_112
; %bb.107:
	s_mov_b32 s26, exec_lo
                                        ; implicit-def: $vgpr3
	v_cmpx_lt_u32_e32 0x387fffff, v5
	s_xor_b32 s26, exec_lo, s26
; %bb.108:
	v_bfe_u32 v3, v2, 21, 1
	s_delay_alu instid0(VALU_DEP_1) | instskip(NEXT) | instid1(VALU_DEP_1)
	v_add3_u32 v3, v2, v3, 0x80fffff
	v_lshrrev_b32_e32 v3, 21, v3
; %bb.109:
	s_and_not1_saveexec_b32 s26, s26
; %bb.110:
	v_add_f32_e64 v3, 0x43000000, |v2|
; %bb.111:
	s_or_b32 exec_lo, exec_lo, s26
                                        ; implicit-def: $vgpr5
.LBB9_112:
	s_and_not1_saveexec_b32 s25, s25
; %bb.113:
	v_mov_b32_e32 v3, 0x7f
	v_cmp_lt_u32_e32 vcc_lo, 0x7f800000, v5
	s_delay_alu instid0(VALU_DEP_2)
	v_cndmask_b32_e32 v3, 0x7c, v3, vcc_lo
; %bb.114:
	s_or_b32 exec_lo, exec_lo, s25
	v_lshrrev_b32_e32 v2, 24, v2
	s_delay_alu instid0(VALU_DEP_1)
	v_and_or_b32 v2, 0x80, v2, v3
	global_store_b8 v[6:7], v2, off
.LBB9_115:
	s_mov_b32 s26, 0
	s_mov_b32 s25, -1
.LBB9_116:
	s_and_not1_b32 vcc_lo, exec_lo, s26
	s_cbranch_vccnz .LBB9_124
; %bb.117:
	s_cmp_gt_i32 s24, 14
	s_mov_b32 s26, -1
	s_cbranch_scc0 .LBB9_121
; %bb.118:
	s_cmp_eq_u32 s24, 15
	s_mov_b32 s0, -1
	s_cbranch_scc0 .LBB9_120
; %bb.119:
	s_wait_xcnt 0x0
	s_delay_alu instid0(VALU_DEP_3) | instskip(SKIP_2) | instid1(VALU_DEP_1)
	v_cvt_f32_f64_e32 v2, v[0:1]
	s_mov_b32 s25, -1
	s_mov_b32 s0, 0
	v_bfe_u32 v3, v2, 16, 1
	v_cmp_o_f32_e32 vcc_lo, v2, v2
	s_delay_alu instid0(VALU_DEP_2) | instskip(NEXT) | instid1(VALU_DEP_1)
	v_add3_u32 v3, v2, v3, 0x7fff
	v_lshrrev_b32_e32 v3, 16, v3
	s_delay_alu instid0(VALU_DEP_1)
	v_cndmask_b32_e32 v2, 0x7fc0, v3, vcc_lo
	global_store_b16 v[6:7], v2, off
.LBB9_120:
	s_mov_b32 s26, 0
.LBB9_121:
	s_delay_alu instid0(SALU_CYCLE_1)
	s_and_b32 vcc_lo, exec_lo, s26
	s_cbranch_vccz .LBB9_124
; %bb.122:
	s_cmp_eq_u32 s24, 11
	s_mov_b32 s0, -1
	s_cbranch_scc0 .LBB9_124
; %bb.123:
	s_delay_alu instid0(VALU_DEP_3)
	v_cmp_neq_f64_e32 vcc_lo, 0, v[0:1]
	s_mov_b32 s25, -1
	s_mov_b32 s0, 0
	s_wait_xcnt 0x0
	v_cndmask_b32_e64 v2, 0, 1, vcc_lo
	global_store_b8 v[6:7], v2, off
.LBB9_124:
	s_branch .LBB9_43
.LBB9_125:
	s_and_b32 s23, 0xffff, s23
	s_mov_b32 s24, -1
	s_cmp_lt_i32 s23, 5
	s_cbranch_scc1 .LBB9_146
; %bb.126:
	s_cmp_lt_i32 s23, 8
	s_cbranch_scc1 .LBB9_136
; %bb.127:
	;; [unrolled: 3-line block ×3, first 2 shown]
	s_cmp_gt_i32 s23, 9
	s_cbranch_scc0 .LBB9_130
; %bb.129:
	s_wait_xcnt 0x0
	v_mov_b32_e32 v2, 0
	s_mov_b32 s24, 0
	s_delay_alu instid0(VALU_DEP_1)
	v_mov_b32_e32 v3, v2
	global_store_b128 v[6:7], v[0:3], off
.LBB9_130:
	s_and_not1_b32 vcc_lo, exec_lo, s24
	s_cbranch_vccnz .LBB9_132
; %bb.131:
	s_wait_xcnt 0x0
	s_delay_alu instid0(VALU_DEP_3)
	v_cvt_f32_f64_e32 v2, v[0:1]
	v_mov_b32_e32 v3, 0
	global_store_b64 v[6:7], v[2:3], off
.LBB9_132:
	s_mov_b32 s24, 0
.LBB9_133:
	s_delay_alu instid0(SALU_CYCLE_1)
	s_and_not1_b32 vcc_lo, exec_lo, s24
	s_cbranch_vccnz .LBB9_135
; %bb.134:
	s_wait_xcnt 0x0
	s_delay_alu instid0(VALU_DEP_3) | instskip(SKIP_2) | instid1(VALU_DEP_3)
	v_and_or_b32 v2, 0x1ff, v1, v0
	v_lshrrev_b32_e32 v3, 8, v1
	v_bfe_u32 v5, v1, 20, 11
	v_cmp_ne_u32_e32 vcc_lo, 0, v2
	s_delay_alu instid0(VALU_DEP_2) | instskip(SKIP_2) | instid1(VALU_DEP_1)
	v_sub_nc_u32_e32 v8, 0x3f1, v5
	v_add_nc_u32_e32 v5, 0xfffffc10, v5
	v_cndmask_b32_e64 v2, 0, 1, vcc_lo
	v_and_or_b32 v2, 0xffe, v3, v2
	s_delay_alu instid0(VALU_DEP_4) | instskip(NEXT) | instid1(VALU_DEP_2)
	v_med3_i32 v3, v8, 0, 13
	v_or_b32_e32 v8, 0x1000, v2
	s_delay_alu instid0(VALU_DEP_1) | instskip(NEXT) | instid1(VALU_DEP_1)
	v_lshrrev_b32_e32 v9, v3, v8
	v_lshlrev_b32_e32 v3, v3, v9
	s_delay_alu instid0(VALU_DEP_1) | instskip(SKIP_3) | instid1(VALU_DEP_2)
	v_cmp_ne_u32_e32 vcc_lo, v3, v8
	v_lshl_or_b32 v8, v5, 12, v2
	v_cndmask_b32_e64 v3, 0, 1, vcc_lo
	v_cmp_gt_i32_e32 vcc_lo, 1, v5
	v_or_b32_e32 v3, v9, v3
	s_delay_alu instid0(VALU_DEP_1) | instskip(NEXT) | instid1(VALU_DEP_1)
	v_cndmask_b32_e32 v3, v8, v3, vcc_lo
	v_dual_lshrrev_b32 v3, 2, v3 :: v_dual_bitop2_b32 v8, 7, v3 bitop3:0x40
	s_delay_alu instid0(VALU_DEP_1) | instskip(SKIP_4) | instid1(VALU_DEP_2)
	v_cmp_lt_i32_e32 vcc_lo, 5, v8
	v_cndmask_b32_e64 v9, 0, 1, vcc_lo
	v_cmp_eq_u32_e32 vcc_lo, 3, v8
	v_cndmask_b32_e64 v8, 0, 1, vcc_lo
	v_cmp_ne_u32_e32 vcc_lo, 0, v2
	v_or_b32_e32 v8, v8, v9
	v_mov_b32_e32 v9, 0x7e00
	s_delay_alu instid0(VALU_DEP_1) | instskip(SKIP_1) | instid1(VALU_DEP_2)
	v_dual_cndmask_b32 v2, 0x7c00, v9 :: v_dual_add_nc_u32 v3, v3, v8
	v_cmp_gt_i32_e32 vcc_lo, 31, v5
	v_dual_cndmask_b32 v3, 0x7c00, v3 :: v_dual_lshrrev_b32 v8, 16, v1
	v_cmp_eq_u32_e32 vcc_lo, 0x40f, v5
	s_delay_alu instid0(VALU_DEP_2) | instskip(NEXT) | instid1(VALU_DEP_3)
	v_cndmask_b32_e32 v2, v3, v2, vcc_lo
	v_and_b32_e32 v3, 0x8000, v8
	s_delay_alu instid0(VALU_DEP_1)
	v_bitop3_b32 v2, v3, 0xffff, v2 bitop3:0xc8
	global_store_b32 v[6:7], v2, off
.LBB9_135:
	s_mov_b32 s24, 0
.LBB9_136:
	s_delay_alu instid0(SALU_CYCLE_1)
	s_and_not1_b32 vcc_lo, exec_lo, s24
	s_cbranch_vccnz .LBB9_145
; %bb.137:
	s_cmp_lt_i32 s23, 6
	s_mov_b32 s24, -1
	s_cbranch_scc1 .LBB9_143
; %bb.138:
	s_cmp_gt_i32 s23, 6
	s_cbranch_scc0 .LBB9_140
; %bb.139:
	s_mov_b32 s24, 0
	global_store_b64 v[6:7], v[0:1], off
.LBB9_140:
	s_and_not1_b32 vcc_lo, exec_lo, s24
	s_cbranch_vccnz .LBB9_142
; %bb.141:
	s_wait_xcnt 0x0
	s_delay_alu instid0(VALU_DEP_3)
	v_cvt_f32_f64_e32 v2, v[0:1]
	global_store_b32 v[6:7], v2, off
.LBB9_142:
	s_mov_b32 s24, 0
.LBB9_143:
	s_delay_alu instid0(SALU_CYCLE_1)
	s_and_not1_b32 vcc_lo, exec_lo, s24
	s_cbranch_vccnz .LBB9_145
; %bb.144:
	s_wait_xcnt 0x0
	s_delay_alu instid0(VALU_DEP_3) | instskip(SKIP_2) | instid1(VALU_DEP_3)
	v_and_or_b32 v2, 0x1ff, v1, v0
	v_lshrrev_b32_e32 v3, 8, v1
	v_bfe_u32 v5, v1, 20, 11
	v_cmp_ne_u32_e32 vcc_lo, 0, v2
	s_delay_alu instid0(VALU_DEP_2) | instskip(SKIP_2) | instid1(VALU_DEP_1)
	v_sub_nc_u32_e32 v8, 0x3f1, v5
	v_add_nc_u32_e32 v5, 0xfffffc10, v5
	v_cndmask_b32_e64 v2, 0, 1, vcc_lo
	v_and_or_b32 v2, 0xffe, v3, v2
	s_delay_alu instid0(VALU_DEP_4) | instskip(NEXT) | instid1(VALU_DEP_2)
	v_med3_i32 v3, v8, 0, 13
	v_or_b32_e32 v8, 0x1000, v2
	s_delay_alu instid0(VALU_DEP_1) | instskip(NEXT) | instid1(VALU_DEP_1)
	v_lshrrev_b32_e32 v9, v3, v8
	v_lshlrev_b32_e32 v3, v3, v9
	s_delay_alu instid0(VALU_DEP_1) | instskip(SKIP_3) | instid1(VALU_DEP_2)
	v_cmp_ne_u32_e32 vcc_lo, v3, v8
	v_lshl_or_b32 v8, v5, 12, v2
	v_cndmask_b32_e64 v3, 0, 1, vcc_lo
	v_cmp_gt_i32_e32 vcc_lo, 1, v5
	v_or_b32_e32 v3, v9, v3
	s_delay_alu instid0(VALU_DEP_1) | instskip(NEXT) | instid1(VALU_DEP_1)
	v_cndmask_b32_e32 v3, v8, v3, vcc_lo
	v_dual_lshrrev_b32 v3, 2, v3 :: v_dual_bitop2_b32 v8, 7, v3 bitop3:0x40
	s_delay_alu instid0(VALU_DEP_1) | instskip(SKIP_4) | instid1(VALU_DEP_2)
	v_cmp_lt_i32_e32 vcc_lo, 5, v8
	v_cndmask_b32_e64 v9, 0, 1, vcc_lo
	v_cmp_eq_u32_e32 vcc_lo, 3, v8
	v_cndmask_b32_e64 v8, 0, 1, vcc_lo
	v_cmp_ne_u32_e32 vcc_lo, 0, v2
	v_or_b32_e32 v8, v8, v9
	v_mov_b32_e32 v9, 0x7e00
	s_delay_alu instid0(VALU_DEP_1) | instskip(SKIP_1) | instid1(VALU_DEP_2)
	v_dual_cndmask_b32 v2, 0x7c00, v9 :: v_dual_add_nc_u32 v3, v3, v8
	v_cmp_gt_i32_e32 vcc_lo, 31, v5
	v_cndmask_b32_e32 v3, 0x7c00, v3, vcc_lo
	v_cmp_eq_u32_e32 vcc_lo, 0x40f, v5
	s_delay_alu instid0(VALU_DEP_2) | instskip(NEXT) | instid1(VALU_DEP_1)
	v_dual_cndmask_b32 v2, v3, v2 :: v_dual_lshrrev_b32 v3, 16, v1
	v_and_or_b32 v2, 0x8000, v3, v2
	global_store_b16 v[6:7], v2, off
.LBB9_145:
	s_mov_b32 s24, 0
.LBB9_146:
	s_delay_alu instid0(SALU_CYCLE_1)
	s_and_not1_b32 vcc_lo, exec_lo, s24
	s_cbranch_vccnz .LBB9_162
; %bb.147:
	s_cmp_lt_i32 s23, 2
	s_mov_b32 s24, -1
	s_cbranch_scc1 .LBB9_157
; %bb.148:
	s_cmp_lt_i32 s23, 3
	s_cbranch_scc1 .LBB9_154
; %bb.149:
	s_cmp_gt_i32 s23, 3
	s_cbranch_scc0 .LBB9_151
; %bb.150:
	s_wait_xcnt 0x0
	s_delay_alu instid0(VALU_DEP_3) | instskip(SKIP_1) | instid1(VALU_DEP_1)
	v_trunc_f64_e32 v[2:3], v[0:1]
	s_mov_b32 s24, 0
	v_ldexp_f64 v[8:9], v[2:3], 0xffffffe0
	s_delay_alu instid0(VALU_DEP_1) | instskip(NEXT) | instid1(VALU_DEP_1)
	v_floor_f64_e32 v[8:9], v[8:9]
	v_fmamk_f64 v[2:3], v[8:9], 0xc1f00000, v[2:3]
	v_cvt_i32_f64_e32 v9, v[8:9]
	s_delay_alu instid0(VALU_DEP_2)
	v_cvt_u32_f64_e32 v8, v[2:3]
	global_store_b64 v[6:7], v[8:9], off
.LBB9_151:
	s_and_not1_b32 vcc_lo, exec_lo, s24
	s_cbranch_vccnz .LBB9_153
; %bb.152:
	s_wait_xcnt 0x0
	s_delay_alu instid0(VALU_DEP_3)
	v_cvt_i32_f64_e32 v2, v[0:1]
	global_store_b32 v[6:7], v2, off
.LBB9_153:
	s_mov_b32 s24, 0
.LBB9_154:
	s_delay_alu instid0(SALU_CYCLE_1)
	s_and_not1_b32 vcc_lo, exec_lo, s24
	s_cbranch_vccnz .LBB9_156
; %bb.155:
	s_wait_xcnt 0x0
	s_delay_alu instid0(VALU_DEP_3)
	v_cvt_i32_f64_e32 v2, v[0:1]
	global_store_b16 v[6:7], v2, off
.LBB9_156:
	s_mov_b32 s24, 0
.LBB9_157:
	s_delay_alu instid0(SALU_CYCLE_1)
	s_and_not1_b32 vcc_lo, exec_lo, s24
	s_cbranch_vccnz .LBB9_162
; %bb.158:
	s_cmp_gt_i32 s23, 0
	s_mov_b32 s23, -1
	s_cbranch_scc0 .LBB9_160
; %bb.159:
	s_wait_xcnt 0x0
	s_delay_alu instid0(VALU_DEP_3)
	v_cvt_i32_f64_e32 v2, v[0:1]
	s_mov_b32 s23, 0
	global_store_b8 v[6:7], v2, off
.LBB9_160:
	s_and_not1_b32 vcc_lo, exec_lo, s23
	s_cbranch_vccnz .LBB9_162
; %bb.161:
	s_wait_xcnt 0x0
	s_delay_alu instid0(VALU_DEP_3) | instskip(NEXT) | instid1(VALU_DEP_1)
	v_trunc_f64_e32 v[0:1], v[0:1]
	v_ldexp_f64 v[2:3], v[0:1], 0xffffffe0
	s_delay_alu instid0(VALU_DEP_1) | instskip(NEXT) | instid1(VALU_DEP_1)
	v_floor_f64_e32 v[2:3], v[2:3]
	v_fmamk_f64 v[0:1], v[2:3], 0xc1f00000, v[0:1]
	s_delay_alu instid0(VALU_DEP_1)
	v_cvt_u32_f64_e32 v0, v[0:1]
	global_store_b8 v[6:7], v0, off
.LBB9_162:
.LBB9_163:
	v_add_nc_u32_e32 v4, 0x80, v4
	s_mov_b32 s23, -1
	s_branch .LBB9_274
.LBB9_164:
	s_mov_b32 s22, -1
                                        ; implicit-def: $vgpr6_vgpr7
.LBB9_165:
	s_mov_b32 s24, 0
.LBB9_166:
	s_delay_alu instid0(SALU_CYCLE_1)
	s_and_b32 vcc_lo, exec_lo, s24
	s_cbranch_vccz .LBB9_170
; %bb.167:
	s_cmp_eq_u32 s0, 29
	s_cbranch_scc0 .LBB9_169
; %bb.168:
	global_load_b64 v[6:7], v[0:1], off
	s_mov_b32 s23, -1
	s_mov_b32 s22, 0
	s_mov_b32 s24, 0
	s_wait_loadcnt 0x0
	v_cvt_f64_u32_e32 v[8:9], v7
	v_cvt_f64_u32_e32 v[6:7], v6
	s_delay_alu instid0(VALU_DEP_2) | instskip(NEXT) | instid1(VALU_DEP_1)
	v_ldexp_f64 v[8:9], v[8:9], 32
	v_add_f64_e32 v[6:7], v[8:9], v[6:7]
	s_branch .LBB9_171
.LBB9_169:
	s_mov_b32 s22, -1
                                        ; implicit-def: $vgpr6_vgpr7
.LBB9_170:
	s_mov_b32 s24, 0
.LBB9_171:
	s_delay_alu instid0(SALU_CYCLE_1)
	s_and_b32 vcc_lo, exec_lo, s24
	s_cbranch_vccz .LBB9_189
; %bb.172:
	s_cmp_lt_i32 s0, 27
	s_cbranch_scc1 .LBB9_175
; %bb.173:
	s_cmp_gt_i32 s0, 27
	s_cbranch_scc0 .LBB9_176
; %bb.174:
	global_load_b32 v3, v[0:1], off
	s_mov_b32 s23, 0
	s_wait_loadcnt 0x0
	v_cvt_f64_u32_e32 v[6:7], v3
	s_branch .LBB9_177
.LBB9_175:
	s_mov_b32 s23, -1
                                        ; implicit-def: $vgpr6_vgpr7
	s_branch .LBB9_180
.LBB9_176:
	s_mov_b32 s23, -1
                                        ; implicit-def: $vgpr6_vgpr7
.LBB9_177:
	s_delay_alu instid0(SALU_CYCLE_1)
	s_and_not1_b32 vcc_lo, exec_lo, s23
	s_cbranch_vccnz .LBB9_179
; %bb.178:
	global_load_u16 v3, v[0:1], off
	s_wait_loadcnt 0x0
	v_cvt_f64_u32_e32 v[6:7], v3
.LBB9_179:
	s_mov_b32 s23, 0
.LBB9_180:
	s_delay_alu instid0(SALU_CYCLE_1)
	s_and_not1_b32 vcc_lo, exec_lo, s23
	s_cbranch_vccnz .LBB9_188
; %bb.181:
	global_load_u8 v3, v[0:1], off
	s_mov_b32 s23, 0
	s_mov_b32 s24, exec_lo
	s_wait_loadcnt 0x0
	v_cmpx_lt_i16_e32 0x7f, v3
	s_xor_b32 s24, exec_lo, s24
	s_cbranch_execz .LBB9_201
; %bb.182:
	s_mov_b32 s23, -1
	s_mov_b32 s25, exec_lo
	v_cmpx_eq_u16_e32 0x80, v3
; %bb.183:
	s_xor_b32 s23, exec_lo, -1
; %bb.184:
	s_or_b32 exec_lo, exec_lo, s25
	s_delay_alu instid0(SALU_CYCLE_1)
	s_and_b32 s23, s23, exec_lo
	s_or_saveexec_b32 s24, s24
	v_mov_b64_e32 v[6:7], 0x7ff8000020000000
	s_xor_b32 exec_lo, exec_lo, s24
	s_cbranch_execnz .LBB9_202
.LBB9_185:
	s_or_b32 exec_lo, exec_lo, s24
	s_and_saveexec_b32 s24, s23
	s_cbranch_execz .LBB9_187
.LBB9_186:
	v_and_b32_e32 v5, 0xffff, v3
	s_delay_alu instid0(VALU_DEP_1) | instskip(SKIP_1) | instid1(VALU_DEP_2)
	v_and_b32_e32 v6, 7, v5
	v_bfe_u32 v9, v5, 3, 4
	v_clz_i32_u32_e32 v7, v6
	s_delay_alu instid0(VALU_DEP_2) | instskip(NEXT) | instid1(VALU_DEP_2)
	v_cmp_eq_u32_e32 vcc_lo, 0, v9
	v_min_u32_e32 v7, 32, v7
	s_delay_alu instid0(VALU_DEP_1) | instskip(NEXT) | instid1(VALU_DEP_1)
	v_subrev_nc_u32_e32 v8, 28, v7
	v_dual_lshlrev_b32 v5, v8, v5 :: v_dual_sub_nc_u32 v7, 29, v7
	s_delay_alu instid0(VALU_DEP_1) | instskip(NEXT) | instid1(VALU_DEP_1)
	v_dual_lshlrev_b32 v3, 24, v3 :: v_dual_bitop2_b32 v5, 7, v5 bitop3:0x40
	v_dual_cndmask_b32 v5, v6, v5, vcc_lo :: v_dual_cndmask_b32 v7, v9, v7, vcc_lo
	s_delay_alu instid0(VALU_DEP_2) | instskip(NEXT) | instid1(VALU_DEP_2)
	v_and_b32_e32 v3, 0x80000000, v3
	v_lshlrev_b32_e32 v5, 20, v5
	s_delay_alu instid0(VALU_DEP_3) | instskip(NEXT) | instid1(VALU_DEP_1)
	v_lshl_add_u32 v6, v7, 23, 0x3b800000
	v_or3_b32 v3, v3, v6, v5
	s_delay_alu instid0(VALU_DEP_1)
	v_cvt_f64_f32_e32 v[6:7], v3
.LBB9_187:
	s_or_b32 exec_lo, exec_lo, s24
.LBB9_188:
	s_mov_b32 s23, -1
.LBB9_189:
	s_branch .LBB9_224
.LBB9_190:
	s_cmp_gt_i32 s0, 22
	s_cbranch_scc0 .LBB9_200
; %bb.191:
	s_cmp_lt_i32 s0, 24
	s_cbranch_scc1 .LBB9_203
; %bb.192:
	s_cmp_gt_i32 s0, 24
	s_cbranch_scc0 .LBB9_204
; %bb.193:
	global_load_u8 v3, v[0:1], off
	s_mov_b32 s23, 0
	s_mov_b32 s24, exec_lo
	s_wait_loadcnt 0x0
	v_cmpx_lt_i16_e32 0x7f, v3
	s_xor_b32 s24, exec_lo, s24
	s_cbranch_execz .LBB9_216
; %bb.194:
	s_mov_b32 s23, -1
	s_mov_b32 s25, exec_lo
	v_cmpx_eq_u16_e32 0x80, v3
; %bb.195:
	s_xor_b32 s23, exec_lo, -1
; %bb.196:
	s_or_b32 exec_lo, exec_lo, s25
	s_delay_alu instid0(SALU_CYCLE_1)
	s_and_b32 s23, s23, exec_lo
	s_or_saveexec_b32 s24, s24
	v_mov_b64_e32 v[6:7], 0x7ff8000020000000
	s_xor_b32 exec_lo, exec_lo, s24
	s_cbranch_execnz .LBB9_217
.LBB9_197:
	s_or_b32 exec_lo, exec_lo, s24
	s_and_saveexec_b32 s24, s23
	s_cbranch_execz .LBB9_199
.LBB9_198:
	v_and_b32_e32 v5, 0xffff, v3
	s_delay_alu instid0(VALU_DEP_1) | instskip(SKIP_1) | instid1(VALU_DEP_2)
	v_and_b32_e32 v6, 3, v5
	v_bfe_u32 v9, v5, 2, 5
	v_clz_i32_u32_e32 v7, v6
	s_delay_alu instid0(VALU_DEP_2) | instskip(NEXT) | instid1(VALU_DEP_2)
	v_cmp_eq_u32_e32 vcc_lo, 0, v9
	v_min_u32_e32 v7, 32, v7
	s_delay_alu instid0(VALU_DEP_1) | instskip(NEXT) | instid1(VALU_DEP_1)
	v_subrev_nc_u32_e32 v8, 29, v7
	v_dual_lshlrev_b32 v5, v8, v5 :: v_dual_sub_nc_u32 v7, 30, v7
	s_delay_alu instid0(VALU_DEP_1) | instskip(NEXT) | instid1(VALU_DEP_1)
	v_dual_lshlrev_b32 v3, 24, v3 :: v_dual_bitop2_b32 v5, 3, v5 bitop3:0x40
	v_dual_cndmask_b32 v5, v6, v5, vcc_lo :: v_dual_cndmask_b32 v7, v9, v7, vcc_lo
	s_delay_alu instid0(VALU_DEP_2) | instskip(NEXT) | instid1(VALU_DEP_2)
	v_and_b32_e32 v3, 0x80000000, v3
	v_lshlrev_b32_e32 v5, 21, v5
	s_delay_alu instid0(VALU_DEP_3) | instskip(NEXT) | instid1(VALU_DEP_1)
	v_lshl_add_u32 v6, v7, 23, 0x37800000
	v_or3_b32 v3, v3, v6, v5
	s_delay_alu instid0(VALU_DEP_1)
	v_cvt_f64_f32_e32 v[6:7], v3
.LBB9_199:
	s_or_b32 exec_lo, exec_lo, s24
	s_mov_b32 s23, 0
	s_branch .LBB9_205
.LBB9_200:
	s_mov_b32 s24, -1
                                        ; implicit-def: $vgpr6_vgpr7
	s_branch .LBB9_211
.LBB9_201:
	s_or_saveexec_b32 s24, s24
	v_mov_b64_e32 v[6:7], 0x7ff8000020000000
	s_xor_b32 exec_lo, exec_lo, s24
	s_cbranch_execz .LBB9_185
.LBB9_202:
	v_cmp_ne_u16_e32 vcc_lo, 0, v3
	v_mov_b64_e32 v[6:7], 0
	s_and_not1_b32 s23, s23, exec_lo
	s_and_b32 s25, vcc_lo, exec_lo
	s_delay_alu instid0(SALU_CYCLE_1)
	s_or_b32 s23, s23, s25
	s_or_b32 exec_lo, exec_lo, s24
	s_and_saveexec_b32 s24, s23
	s_cbranch_execnz .LBB9_186
	s_branch .LBB9_187
.LBB9_203:
	s_mov_b32 s23, -1
                                        ; implicit-def: $vgpr6_vgpr7
	s_branch .LBB9_208
.LBB9_204:
	s_mov_b32 s23, -1
                                        ; implicit-def: $vgpr6_vgpr7
.LBB9_205:
	s_delay_alu instid0(SALU_CYCLE_1)
	s_and_b32 vcc_lo, exec_lo, s23
	s_cbranch_vccz .LBB9_207
; %bb.206:
	global_load_u8 v3, v[0:1], off
	s_wait_loadcnt 0x0
	v_lshlrev_b32_e32 v3, 24, v3
	s_delay_alu instid0(VALU_DEP_1) | instskip(NEXT) | instid1(VALU_DEP_1)
	v_and_b32_e32 v5, 0x7f000000, v3
	v_clz_i32_u32_e32 v6, v5
	v_cmp_ne_u32_e32 vcc_lo, 0, v5
	v_add_nc_u32_e32 v8, 0x1000000, v5
	s_delay_alu instid0(VALU_DEP_3) | instskip(NEXT) | instid1(VALU_DEP_1)
	v_min_u32_e32 v6, 32, v6
	v_sub_nc_u32_e64 v6, v6, 4 clamp
	s_delay_alu instid0(VALU_DEP_1) | instskip(NEXT) | instid1(VALU_DEP_1)
	v_dual_lshlrev_b32 v7, v6, v5 :: v_dual_lshlrev_b32 v6, 23, v6
	v_lshrrev_b32_e32 v7, 4, v7
	s_delay_alu instid0(VALU_DEP_1) | instskip(NEXT) | instid1(VALU_DEP_1)
	v_dual_sub_nc_u32 v6, v7, v6 :: v_dual_ashrrev_i32 v7, 8, v8
	v_add_nc_u32_e32 v6, 0x3c000000, v6
	s_delay_alu instid0(VALU_DEP_1) | instskip(NEXT) | instid1(VALU_DEP_1)
	v_and_or_b32 v6, 0x7f800000, v7, v6
	v_cndmask_b32_e32 v5, 0, v6, vcc_lo
	s_delay_alu instid0(VALU_DEP_1) | instskip(NEXT) | instid1(VALU_DEP_1)
	v_and_or_b32 v3, 0x80000000, v3, v5
	v_cvt_f64_f32_e32 v[6:7], v3
.LBB9_207:
	s_mov_b32 s23, 0
.LBB9_208:
	s_delay_alu instid0(SALU_CYCLE_1)
	s_and_not1_b32 vcc_lo, exec_lo, s23
	s_cbranch_vccnz .LBB9_210
; %bb.209:
	global_load_u8 v3, v[0:1], off
	s_wait_loadcnt 0x0
	v_lshlrev_b32_e32 v5, 25, v3
	v_lshlrev_b16 v3, 8, v3
	s_delay_alu instid0(VALU_DEP_1) | instskip(NEXT) | instid1(VALU_DEP_3)
	v_and_or_b32 v7, 0x7f00, v3, 0.5
	v_lshrrev_b32_e32 v6, 4, v5
	v_bfe_i32 v3, v3, 0, 16
	s_delay_alu instid0(VALU_DEP_3) | instskip(NEXT) | instid1(VALU_DEP_3)
	v_add_f32_e32 v7, -0.5, v7
	v_or_b32_e32 v6, 0x70000000, v6
	s_delay_alu instid0(VALU_DEP_1) | instskip(SKIP_1) | instid1(VALU_DEP_2)
	v_mul_f32_e32 v6, 0x7800000, v6
	v_cmp_gt_u32_e32 vcc_lo, 0x8000000, v5
	v_cndmask_b32_e32 v5, v6, v7, vcc_lo
	s_delay_alu instid0(VALU_DEP_1) | instskip(NEXT) | instid1(VALU_DEP_1)
	v_and_or_b32 v3, 0x80000000, v3, v5
	v_cvt_f64_f32_e32 v[6:7], v3
.LBB9_210:
	s_mov_b32 s24, 0
	s_mov_b32 s23, -1
.LBB9_211:
	s_and_not1_b32 vcc_lo, exec_lo, s24
	s_cbranch_vccnz .LBB9_224
; %bb.212:
	s_cmp_gt_i32 s0, 14
	s_cbranch_scc0 .LBB9_215
; %bb.213:
	s_cmp_eq_u32 s0, 15
	s_cbranch_scc0 .LBB9_218
; %bb.214:
	global_load_u16 v3, v[0:1], off
	s_mov_b32 s23, -1
	s_mov_b32 s22, 0
	s_wait_loadcnt 0x0
	v_lshlrev_b32_e32 v3, 16, v3
	s_delay_alu instid0(VALU_DEP_1)
	v_cvt_f64_f32_e32 v[6:7], v3
	s_branch .LBB9_219
.LBB9_215:
	s_mov_b32 s24, -1
                                        ; implicit-def: $vgpr6_vgpr7
	s_branch .LBB9_220
.LBB9_216:
	s_or_saveexec_b32 s24, s24
	v_mov_b64_e32 v[6:7], 0x7ff8000020000000
	s_xor_b32 exec_lo, exec_lo, s24
	s_cbranch_execz .LBB9_197
.LBB9_217:
	v_cmp_ne_u16_e32 vcc_lo, 0, v3
	v_mov_b64_e32 v[6:7], 0
	s_and_not1_b32 s23, s23, exec_lo
	s_and_b32 s25, vcc_lo, exec_lo
	s_delay_alu instid0(SALU_CYCLE_1)
	s_or_b32 s23, s23, s25
	s_or_b32 exec_lo, exec_lo, s24
	s_and_saveexec_b32 s24, s23
	s_cbranch_execnz .LBB9_198
	s_branch .LBB9_199
.LBB9_218:
	s_mov_b32 s22, -1
                                        ; implicit-def: $vgpr6_vgpr7
.LBB9_219:
	s_mov_b32 s24, 0
.LBB9_220:
	s_delay_alu instid0(SALU_CYCLE_1)
	s_and_b32 vcc_lo, exec_lo, s24
	s_cbranch_vccz .LBB9_224
; %bb.221:
	s_cmp_eq_u32 s0, 11
	s_cbranch_scc0 .LBB9_223
; %bb.222:
	global_load_u8 v3, v[0:1], off
	v_mov_b32_e32 v6, 0
	s_mov_b32 s22, 0
	s_mov_b32 s23, -1
	s_wait_loadcnt 0x0
	v_cmp_ne_u16_e32 vcc_lo, 0, v3
	v_cndmask_b32_e64 v7, 0, 0x3ff00000, vcc_lo
	s_branch .LBB9_224
.LBB9_223:
	s_mov_b32 s22, -1
                                        ; implicit-def: $vgpr6_vgpr7
.LBB9_224:
	s_branch .LBB9_25
.LBB9_225:
	s_cmp_lt_i32 s0, 5
	s_cbranch_scc1 .LBB9_230
; %bb.226:
	s_cmp_lt_i32 s0, 8
	s_cbranch_scc1 .LBB9_231
; %bb.227:
	;; [unrolled: 3-line block ×3, first 2 shown]
	s_cmp_gt_i32 s0, 9
	s_cbranch_scc0 .LBB9_233
; %bb.229:
	global_load_b64 v[6:7], v[0:1], off
	s_mov_b32 s23, 0
	s_branch .LBB9_234
.LBB9_230:
                                        ; implicit-def: $vgpr6_vgpr7
	s_branch .LBB9_252
.LBB9_231:
	s_mov_b32 s23, -1
                                        ; implicit-def: $vgpr6_vgpr7
	s_branch .LBB9_240
.LBB9_232:
	s_mov_b32 s23, -1
                                        ; implicit-def: $vgpr6_vgpr7
	s_branch .LBB9_237
.LBB9_233:
	s_mov_b32 s23, -1
                                        ; implicit-def: $vgpr6_vgpr7
.LBB9_234:
	s_delay_alu instid0(SALU_CYCLE_1)
	s_and_not1_b32 vcc_lo, exec_lo, s23
	s_cbranch_vccnz .LBB9_236
; %bb.235:
	global_load_b32 v3, v[0:1], off
	s_wait_loadcnt 0x0
	v_cvt_f64_f32_e32 v[6:7], v3
.LBB9_236:
	s_mov_b32 s23, 0
.LBB9_237:
	s_delay_alu instid0(SALU_CYCLE_1)
	s_and_not1_b32 vcc_lo, exec_lo, s23
	s_cbranch_vccnz .LBB9_239
; %bb.238:
	global_load_b32 v3, v[0:1], off
	s_wait_loadcnt 0x0
	v_cvt_f32_f16_e32 v3, v3
	s_delay_alu instid0(VALU_DEP_1)
	v_cvt_f64_f32_e32 v[6:7], v3
.LBB9_239:
	s_mov_b32 s23, 0
.LBB9_240:
	s_delay_alu instid0(SALU_CYCLE_1)
	s_and_not1_b32 vcc_lo, exec_lo, s23
	s_cbranch_vccnz .LBB9_251
; %bb.241:
	s_cmp_lt_i32 s0, 6
	s_cbranch_scc1 .LBB9_244
; %bb.242:
	s_cmp_gt_i32 s0, 6
	s_cbranch_scc0 .LBB9_245
; %bb.243:
	s_wait_loadcnt 0x0
	global_load_b64 v[6:7], v[0:1], off
	s_mov_b32 s23, 0
	s_branch .LBB9_246
.LBB9_244:
	s_mov_b32 s23, -1
                                        ; implicit-def: $vgpr6_vgpr7
	s_branch .LBB9_249
.LBB9_245:
	s_mov_b32 s23, -1
                                        ; implicit-def: $vgpr6_vgpr7
.LBB9_246:
	s_delay_alu instid0(SALU_CYCLE_1)
	s_and_not1_b32 vcc_lo, exec_lo, s23
	s_cbranch_vccnz .LBB9_248
; %bb.247:
	global_load_b32 v3, v[0:1], off
	s_wait_loadcnt 0x0
	v_cvt_f64_f32_e32 v[6:7], v3
.LBB9_248:
	s_mov_b32 s23, 0
.LBB9_249:
	s_delay_alu instid0(SALU_CYCLE_1)
	s_and_not1_b32 vcc_lo, exec_lo, s23
	s_cbranch_vccnz .LBB9_251
; %bb.250:
	global_load_u16 v3, v[0:1], off
	s_wait_loadcnt 0x0
	v_cvt_f32_f16_e32 v3, v3
	s_delay_alu instid0(VALU_DEP_1)
	v_cvt_f64_f32_e32 v[6:7], v3
.LBB9_251:
	s_cbranch_execnz .LBB9_271
.LBB9_252:
	s_cmp_lt_i32 s0, 2
	s_cbranch_scc1 .LBB9_256
; %bb.253:
	s_cmp_lt_i32 s0, 3
	s_cbranch_scc1 .LBB9_257
; %bb.254:
	s_cmp_gt_i32 s0, 3
	s_cbranch_scc0 .LBB9_258
; %bb.255:
	s_wait_loadcnt 0x0
	global_load_b64 v[6:7], v[0:1], off
	s_mov_b32 s23, 0
	s_wait_loadcnt 0x0
	v_cvt_f64_i32_e32 v[8:9], v7
	v_cvt_f64_u32_e32 v[6:7], v6
	s_delay_alu instid0(VALU_DEP_2) | instskip(NEXT) | instid1(VALU_DEP_1)
	v_ldexp_f64 v[8:9], v[8:9], 32
	v_add_f64_e32 v[6:7], v[8:9], v[6:7]
	s_branch .LBB9_259
.LBB9_256:
	s_mov_b32 s23, -1
                                        ; implicit-def: $vgpr6_vgpr7
	s_branch .LBB9_265
.LBB9_257:
	s_mov_b32 s23, -1
                                        ; implicit-def: $vgpr6_vgpr7
	s_branch .LBB9_262
.LBB9_258:
	s_mov_b32 s23, -1
                                        ; implicit-def: $vgpr6_vgpr7
.LBB9_259:
	s_delay_alu instid0(SALU_CYCLE_1)
	s_and_not1_b32 vcc_lo, exec_lo, s23
	s_cbranch_vccnz .LBB9_261
; %bb.260:
	global_load_b32 v3, v[0:1], off
	s_wait_loadcnt 0x0
	v_cvt_f64_i32_e32 v[6:7], v3
.LBB9_261:
	s_mov_b32 s23, 0
.LBB9_262:
	s_delay_alu instid0(SALU_CYCLE_1)
	s_and_not1_b32 vcc_lo, exec_lo, s23
	s_cbranch_vccnz .LBB9_264
; %bb.263:
	global_load_i16 v3, v[0:1], off
	s_wait_loadcnt 0x0
	v_cvt_f64_i32_e32 v[6:7], v3
.LBB9_264:
	s_mov_b32 s23, 0
.LBB9_265:
	s_delay_alu instid0(SALU_CYCLE_1)
	s_and_not1_b32 vcc_lo, exec_lo, s23
	s_cbranch_vccnz .LBB9_271
; %bb.266:
	s_cmp_gt_i32 s0, 0
	s_mov_b32 s0, 0
	s_cbranch_scc0 .LBB9_268
; %bb.267:
	global_load_i8 v3, v[0:1], off
	s_wait_loadcnt 0x0
	v_cvt_f64_i32_e32 v[6:7], v3
	s_branch .LBB9_269
.LBB9_268:
	s_mov_b32 s0, -1
                                        ; implicit-def: $vgpr6_vgpr7
.LBB9_269:
	s_delay_alu instid0(SALU_CYCLE_1)
	s_and_not1_b32 vcc_lo, exec_lo, s0
	s_cbranch_vccnz .LBB9_271
; %bb.270:
	global_load_u8 v0, v[0:1], off
	s_wait_loadcnt 0x0
	v_cvt_f64_u32_e32 v[6:7], v0
.LBB9_271:
	s_branch .LBB9_26
.LBB9_272:
	s_mov_b32 s0, 0
.LBB9_273:
	s_mov_b32 s23, 0
                                        ; implicit-def: $vgpr4
.LBB9_274:
	s_and_b32 s39, s0, exec_lo
	s_and_b32 s40, s22, exec_lo
	s_or_not1_b32 s23, s23, exec_lo
.LBB9_275:
	s_wait_xcnt 0x0
	s_or_b32 exec_lo, exec_lo, s41
	s_mov_b32 s22, 0
	s_mov_b32 s0, 0
                                        ; implicit-def: $vgpr0_vgpr1
                                        ; implicit-def: $vgpr2
                                        ; implicit-def: $vgpr6_vgpr7
	s_and_saveexec_b32 s41, s23
	s_cbranch_execz .LBB9_283
; %bb.276:
	s_mov_b32 s0, -1
	s_mov_b32 s42, s40
	s_mov_b32 s43, s39
	s_mov_b32 s44, exec_lo
	v_cmpx_gt_i32_e64 s36, v4
	s_cbranch_execz .LBB9_562
; %bb.277:
	s_and_not1_b32 vcc_lo, exec_lo, s31
	s_cbranch_vccnz .LBB9_286
; %bb.278:
	s_and_not1_b32 vcc_lo, exec_lo, s38
	s_cbranch_vccnz .LBB9_287
; %bb.279:
	s_add_co_i32 s0, s37, 1
	s_cmp_eq_u32 s29, 2
	s_cbranch_scc1 .LBB9_288
; %bb.280:
	v_dual_mov_b32 v2, 0 :: v_dual_mov_b32 v0, 0
	v_mov_b32_e32 v1, v4
	s_and_b32 s22, s0, 28
	s_mov_b32 s23, 0
	s_mov_b64 s[24:25], s[2:3]
	s_mov_b64 s[26:27], s[20:21]
.LBB9_281:                              ; =>This Inner Loop Header: Depth=1
	s_clause 0x1
	s_load_b256 s[48:55], s[24:25], 0x4
	s_load_b128 s[64:67], s[24:25], 0x24
	s_load_b256 s[56:63], s[26:27], 0x0
	s_add_co_i32 s23, s23, 4
	s_wait_xcnt 0x0
	s_add_nc_u64 s[24:25], s[24:25], 48
	s_cmp_eq_u32 s22, s23
	s_add_nc_u64 s[26:27], s[26:27], 32
	s_wait_kmcnt 0x0
	v_mul_hi_u32 v3, s49, v1
	s_delay_alu instid0(VALU_DEP_1) | instskip(NEXT) | instid1(VALU_DEP_1)
	v_add_nc_u32_e32 v3, v1, v3
	v_lshrrev_b32_e32 v3, s50, v3
	s_delay_alu instid0(VALU_DEP_1) | instskip(NEXT) | instid1(VALU_DEP_1)
	v_mul_hi_u32 v5, s52, v3
	v_add_nc_u32_e32 v5, v3, v5
	s_delay_alu instid0(VALU_DEP_1) | instskip(SKIP_1) | instid1(VALU_DEP_1)
	v_lshrrev_b32_e32 v5, s53, v5
	s_wait_loadcnt 0x0
	v_mul_hi_u32 v6, s55, v5
	s_delay_alu instid0(VALU_DEP_1) | instskip(SKIP_1) | instid1(VALU_DEP_1)
	v_add_nc_u32_e32 v6, v5, v6
	v_mul_lo_u32 v7, v3, s48
	v_sub_nc_u32_e32 v1, v1, v7
	v_mul_lo_u32 v7, v5, s51
	s_delay_alu instid0(VALU_DEP_4) | instskip(NEXT) | instid1(VALU_DEP_3)
	v_lshrrev_b32_e32 v6, s64, v6
	v_mad_u32 v0, v1, s57, v0
	v_mad_u32 v1, v1, s56, v2
	s_delay_alu instid0(VALU_DEP_4) | instskip(NEXT) | instid1(VALU_DEP_4)
	v_sub_nc_u32_e32 v2, v3, v7
	v_mul_hi_u32 v8, s66, v6
	v_mul_lo_u32 v3, v6, s54
	s_delay_alu instid0(VALU_DEP_3) | instskip(SKIP_1) | instid1(VALU_DEP_3)
	v_mad_u32 v0, v2, s59, v0
	v_mad_u32 v2, v2, s58, v1
	v_dual_add_nc_u32 v7, v6, v8 :: v_dual_sub_nc_u32 v3, v5, v3
	s_delay_alu instid0(VALU_DEP_1) | instskip(NEXT) | instid1(VALU_DEP_2)
	v_lshrrev_b32_e32 v1, s67, v7
	v_mad_u32 v0, v3, s61, v0
	s_delay_alu instid0(VALU_DEP_4) | instskip(NEXT) | instid1(VALU_DEP_3)
	v_mad_u32 v2, v3, s60, v2
	v_mul_lo_u32 v5, v1, s65
	s_delay_alu instid0(VALU_DEP_1) | instskip(NEXT) | instid1(VALU_DEP_1)
	v_sub_nc_u32_e32 v3, v6, v5
	v_mad_u32 v0, v3, s63, v0
	s_delay_alu instid0(VALU_DEP_4)
	v_mad_u32 v2, v3, s62, v2
	s_cbranch_scc0 .LBB9_281
; %bb.282:
	s_delay_alu instid0(VALU_DEP_2)
	v_mov_b32_e32 v3, v0
	s_branch .LBB9_289
.LBB9_283:
	s_or_b32 exec_lo, exec_lo, s41
	s_mov_b32 s1, 0
	s_and_saveexec_b32 s6, s40
	s_cbranch_execnz .LBB9_952
.LBB9_284:
	s_or_b32 exec_lo, exec_lo, s6
	s_and_saveexec_b32 s6, s17
	s_delay_alu instid0(SALU_CYCLE_1)
	s_xor_b32 s6, exec_lo, s6
	s_cbranch_execz .LBB9_953
.LBB9_285:
	global_load_u8 v3, v[0:1], off
	s_wait_loadcnt 0x1
	v_mov_b32_e32 v6, 0
	s_or_b32 s0, s0, exec_lo
	s_wait_loadcnt 0x0
	v_cmp_ne_u16_e32 vcc_lo, 0, v3
	v_cndmask_b32_e64 v7, 0, 0x3ff00000, vcc_lo
	s_wait_xcnt 0x0
	s_or_b32 exec_lo, exec_lo, s6
	s_and_saveexec_b32 s6, s22
	s_cbranch_execz .LBB9_999
	s_branch .LBB9_954
.LBB9_286:
                                        ; implicit-def: $vgpr0
                                        ; implicit-def: $vgpr2
	s_and_not1_b32 vcc_lo, exec_lo, s0
	s_cbranch_vccnz .LBB9_296
	s_branch .LBB9_294
.LBB9_287:
	v_dual_mov_b32 v0, 0 :: v_dual_mov_b32 v2, 0
	s_branch .LBB9_293
.LBB9_288:
	v_mov_b64_e32 v[2:3], 0
	v_mov_b32_e32 v1, v4
                                        ; implicit-def: $vgpr0
.LBB9_289:
	s_and_b32 s0, s0, 3
	s_mov_b32 s23, 0
	s_cmp_eq_u32 s0, 0
	s_cbranch_scc1 .LBB9_293
; %bb.290:
	s_lshl_b32 s24, s22, 3
	s_mov_b32 s25, s23
	s_mul_u64 s[26:27], s[22:23], 12
	s_add_nc_u64 s[24:25], s[2:3], s[24:25]
	s_delay_alu instid0(SALU_CYCLE_1)
	s_add_nc_u64 s[22:23], s[24:25], 0xc4
	s_add_nc_u64 s[24:25], s[2:3], s[26:27]
.LBB9_291:                              ; =>This Inner Loop Header: Depth=1
	s_load_b96 s[48:50], s[24:25], 0x4
	s_load_b64 s[26:27], s[22:23], 0x0
	s_add_co_i32 s0, s0, -1
	s_wait_xcnt 0x0
	s_add_nc_u64 s[24:25], s[24:25], 12
	s_cmp_lg_u32 s0, 0
	s_add_nc_u64 s[22:23], s[22:23], 8
	s_wait_kmcnt 0x0
	v_mul_hi_u32 v0, s49, v1
	s_delay_alu instid0(VALU_DEP_1) | instskip(NEXT) | instid1(VALU_DEP_1)
	v_add_nc_u32_e32 v0, v1, v0
	v_lshrrev_b32_e32 v0, s50, v0
	s_delay_alu instid0(VALU_DEP_1) | instskip(NEXT) | instid1(VALU_DEP_1)
	v_mul_lo_u32 v5, v0, s48
	v_sub_nc_u32_e32 v1, v1, v5
	s_delay_alu instid0(VALU_DEP_1)
	v_mad_u32 v3, v1, s27, v3
	v_mad_u32 v2, v1, s26, v2
	v_mov_b32_e32 v1, v0
	s_cbranch_scc1 .LBB9_291
; %bb.292:
	s_delay_alu instid0(VALU_DEP_3)
	v_mov_b32_e32 v0, v3
.LBB9_293:
	s_cbranch_execnz .LBB9_296
.LBB9_294:
	v_mov_b32_e32 v5, 0
	s_and_not1_b32 vcc_lo, exec_lo, s35
	s_delay_alu instid0(VALU_DEP_1) | instskip(NEXT) | instid1(VALU_DEP_1)
	v_mul_u64_e32 v[0:1], s[16:17], v[4:5]
	v_add_nc_u32_e32 v0, v4, v1
	s_wait_loadcnt 0x0
	s_delay_alu instid0(VALU_DEP_1) | instskip(NEXT) | instid1(VALU_DEP_1)
	v_lshrrev_b32_e32 v6, s14, v0
	v_mul_lo_u32 v0, v6, s12
	s_delay_alu instid0(VALU_DEP_1) | instskip(NEXT) | instid1(VALU_DEP_1)
	v_sub_nc_u32_e32 v1, v4, v0
	v_mul_lo_u32 v0, v1, s9
	v_mul_lo_u32 v2, v1, s8
	s_cbranch_vccnz .LBB9_296
; %bb.295:
	v_mov_b32_e32 v7, v5
	s_delay_alu instid0(VALU_DEP_1) | instskip(NEXT) | instid1(VALU_DEP_1)
	v_mul_u64_e32 v[8:9], s[18:19], v[6:7]
	v_add_nc_u32_e32 v1, v6, v9
	s_delay_alu instid0(VALU_DEP_1) | instskip(NEXT) | instid1(VALU_DEP_1)
	v_lshrrev_b32_e32 v1, s1, v1
	v_mul_lo_u32 v1, v1, s15
	s_delay_alu instid0(VALU_DEP_1) | instskip(NEXT) | instid1(VALU_DEP_1)
	v_sub_nc_u32_e32 v1, v6, v1
	v_mad_u32 v2, v1, s10, v2
	v_mad_u32 v0, v1, s11, v0
.LBB9_296:
	v_mov_b32_e32 v1, 0
	s_and_b32 s0, 0xffff, s13
	s_delay_alu instid0(SALU_CYCLE_1) | instskip(NEXT) | instid1(VALU_DEP_1)
	s_cmp_lt_i32 s0, 11
	v_add_nc_u64_e32 v[0:1], s[6:7], v[0:1]
	s_cbranch_scc1 .LBB9_303
; %bb.297:
	s_cmp_gt_i32 s0, 25
	s_cbranch_scc0 .LBB9_320
; %bb.298:
	s_cmp_gt_i32 s0, 28
	s_cbranch_scc0 .LBB9_322
	;; [unrolled: 3-line block ×4, first 2 shown]
; %bb.301:
	s_cmp_eq_u32 s0, 46
	s_mov_b32 s24, 0
	s_cbranch_scc0 .LBB9_332
; %bb.302:
	global_load_b32 v3, v[0:1], off
	s_mov_b32 s23, -1
	s_mov_b32 s22, 0
	s_wait_loadcnt 0x0
	v_lshlrev_b32_e32 v3, 16, v3
	s_delay_alu instid0(VALU_DEP_1)
	v_cvt_f64_f32_e32 v[6:7], v3
	s_branch .LBB9_334
.LBB9_303:
	s_mov_b32 s23, 0
	s_mov_b32 s22, s40
                                        ; implicit-def: $vgpr6_vgpr7
	s_cbranch_execnz .LBB9_511
.LBB9_304:
	s_and_not1_b32 vcc_lo, exec_lo, s23
	s_cbranch_vccnz .LBB9_559
.LBB9_305:
	s_wait_xcnt 0x0
	v_mov_b64_e32 v[0:1], 0x7ff0000000000000
	s_mov_b32 s23, exec_lo
	s_wait_loadcnt 0x0
	s_delay_alu instid0(VALU_DEP_2)
	v_cmpx_neq_f64_e32 0, v[6:7]
	s_cbranch_execz .LBB9_313
; %bb.306:
	v_mov_b64_e32 v[0:1], 0x7ff8000000000000
	s_mov_b32 s24, exec_lo
	v_cmpx_ngt_f64_e32 0, v[6:7]
	s_cbranch_execz .LBB9_312
; %bb.307:
                                        ; implicit-def: $vgpr0_vgpr1
	s_mov_b32 s0, exec_lo
	v_cmpx_ge_f64_e32 2.0, v[6:7]
	s_xor_b32 s25, exec_lo, s0
	s_cbranch_execz .LBB9_309
; %bb.308:
	v_fma_f64 v[0:1], v[6:7], 0.5, -2.0
	s_mov_b64 s[26:27], 0xbc545cb72134d0ef
	v_mul_f64_e32 v[12:13], 0.5, v[6:7]
	s_delay_alu instid0(VALU_DEP_2) | instskip(SKIP_1) | instid1(VALU_DEP_2)
	v_fmaak_f64 v[8:9], s[26:27], v[0:1], 0x3c833362977da589
	s_mov_b64 s[26:27], 0x3fe5555555555555
	v_frexp_mant_f64_e32 v[14:15], v[12:13]
	v_cmp_neq_f64_e64 s0, 0, v[12:13]
	s_delay_alu instid0(VALU_DEP_3) | instskip(NEXT) | instid1(VALU_DEP_1)
	v_fmaak_f64 v[10:11], v[0:1], v[8:9], 0x3c545cb72134d0ef
	v_add_f64_e32 v[10:11], 0xbcb184eb721ebbb4, v[10:11]
	s_delay_alu instid0(VALU_DEP_4) | instskip(SKIP_1) | instid1(VALU_DEP_2)
	v_cmp_gt_f64_e32 vcc_lo, s[26:27], v[14:15]
	s_mov_b64 s[26:27], 0x3fc3ab76bf559e2b
	v_fma_f64 v[8:9], v[0:1], v[10:11], -v[8:9]
	v_cndmask_b32_e64 v3, 0, 1, vcc_lo
	s_delay_alu instid0(VALU_DEP_1) | instskip(SKIP_1) | instid1(VALU_DEP_4)
	v_ldexp_f64 v[14:15], v[14:15], v3
	v_frexp_exp_i32_f64_e32 v3, v[12:13]
	v_add_f64_e32 v[8:9], 0x3cdee6d893f65eba, v[8:9]
	s_delay_alu instid0(VALU_DEP_3) | instskip(SKIP_1) | instid1(VALU_DEP_4)
	v_add_f64_e32 v[16:17], 1.0, v[14:15]
	v_add_f64_e32 v[22:23], -1.0, v[14:15]
	v_subrev_co_ci_u32_e64 v3, null, 0, v3, vcc_lo
	v_cmp_neq_f64_e32 vcc_lo, 0x7ff00000, v[12:13]
	v_fma_f64 v[10:11], v[0:1], v[8:9], -v[10:11]
	v_rcp_f64_e32 v[18:19], v[16:17]
	v_add_f64_e32 v[24:25], -1.0, v[16:17]
	s_delay_alu instid0(VALU_DEP_2) | instskip(NEXT) | instid1(VALU_DEP_2)
	v_add_f64_e32 v[10:11], 0xbd0a5022c297fbeb, v[10:11]
	v_add_f64_e64 v[14:15], v[14:15], -v[24:25]
	s_delay_alu instid0(TRANS32_DEP_1) | instskip(NEXT) | instid1(VALU_DEP_3)
	v_fma_f64 v[20:21], -v[16:17], v[18:19], 1.0
	v_fma_f64 v[8:9], v[0:1], v[10:11], -v[8:9]
	s_delay_alu instid0(VALU_DEP_2) | instskip(NEXT) | instid1(VALU_DEP_2)
	v_fmac_f64_e32 v[18:19], v[20:21], v[18:19]
	v_add_f64_e32 v[8:9], 0x3d359b464b262627, v[8:9]
	s_delay_alu instid0(VALU_DEP_2) | instskip(NEXT) | instid1(VALU_DEP_2)
	v_fma_f64 v[20:21], -v[16:17], v[18:19], 1.0
	v_fma_f64 v[10:11], v[0:1], v[8:9], -v[10:11]
	s_delay_alu instid0(VALU_DEP_2) | instskip(NEXT) | instid1(VALU_DEP_2)
	v_fmac_f64_e32 v[18:19], v[20:21], v[18:19]
	v_add_f64_e32 v[10:11], 0xbd61164c62ee1af0, v[10:11]
	s_delay_alu instid0(VALU_DEP_2) | instskip(NEXT) | instid1(VALU_DEP_2)
	v_mul_f64_e32 v[20:21], v[22:23], v[18:19]
	v_fma_f64 v[8:9], v[0:1], v[10:11], -v[8:9]
	s_delay_alu instid0(VALU_DEP_2) | instskip(NEXT) | instid1(VALU_DEP_2)
	v_mul_f64_e32 v[26:27], v[16:17], v[20:21]
	v_add_f64_e32 v[8:9], 0x3d89fe2fe19bd324, v[8:9]
	s_delay_alu instid0(VALU_DEP_2) | instskip(NEXT) | instid1(VALU_DEP_2)
	v_fma_f64 v[16:17], v[20:21], v[16:17], -v[26:27]
	v_fma_f64 v[10:11], v[0:1], v[8:9], -v[10:11]
	s_delay_alu instid0(VALU_DEP_2) | instskip(NEXT) | instid1(VALU_DEP_2)
	v_fmac_f64_e32 v[16:17], v[20:21], v[14:15]
	v_add_f64_e32 v[10:11], 0xbdb2fc957a946abc, v[10:11]
	s_delay_alu instid0(VALU_DEP_2) | instskip(NEXT) | instid1(VALU_DEP_2)
	v_add_f64_e32 v[14:15], v[26:27], v[16:17]
	v_fma_f64 v[8:9], v[0:1], v[10:11], -v[8:9]
	s_delay_alu instid0(VALU_DEP_2) | instskip(NEXT) | instid1(VALU_DEP_2)
	v_add_f64_e64 v[24:25], v[22:23], -v[14:15]
	v_add_f64_e32 v[8:9], 0x3dda98becc743c10, v[8:9]
	v_add_f64_e64 v[26:27], v[14:15], -v[26:27]
	s_delay_alu instid0(VALU_DEP_3) | instskip(NEXT) | instid1(VALU_DEP_3)
	v_add_f64_e64 v[22:23], v[22:23], -v[24:25]
	v_fma_f64 v[10:11], v[0:1], v[8:9], -v[10:11]
	s_delay_alu instid0(VALU_DEP_3) | instskip(SKIP_1) | instid1(VALU_DEP_4)
	v_add_f64_e64 v[16:17], v[26:27], -v[16:17]
	v_cvt_f64_i32_e32 v[26:27], v3
	v_add_f64_e64 v[14:15], v[22:23], -v[14:15]
	s_delay_alu instid0(VALU_DEP_4) | instskip(NEXT) | instid1(VALU_DEP_3)
	v_add_f64_e32 v[10:11], 0xbe01d4fe13ae9556, v[10:11]
	v_mul_f64_e32 v[28:29], 0x3fe62e42fefa39ef, v[26:27]
	s_delay_alu instid0(VALU_DEP_3) | instskip(NEXT) | instid1(VALU_DEP_3)
	v_add_f64_e32 v[14:15], v[16:17], v[14:15]
	v_fma_f64 v[8:9], v[0:1], v[10:11], -v[8:9]
	s_delay_alu instid0(VALU_DEP_2) | instskip(NEXT) | instid1(VALU_DEP_2)
	v_add_f64_e32 v[14:15], v[24:25], v[14:15]
	v_add_f64_e32 v[8:9], 0x3e26d903a454cb34, v[8:9]
	s_delay_alu instid0(VALU_DEP_2) | instskip(NEXT) | instid1(VALU_DEP_2)
	v_mul_f64_e32 v[14:15], v[18:19], v[14:15]
	v_fma_f64 v[10:11], v[0:1], v[8:9], -v[10:11]
	s_delay_alu instid0(VALU_DEP_2) | instskip(NEXT) | instid1(VALU_DEP_2)
	v_add_f64_e32 v[16:17], v[20:21], v[14:15]
	v_add_f64_e32 v[10:11], 0xbe4beaf68c0b30ab, v[10:11]
	s_delay_alu instid0(VALU_DEP_2) | instskip(NEXT) | instid1(VALU_DEP_2)
	v_mul_f64_e32 v[18:19], v[16:17], v[16:17]
	v_fma_f64 v[8:9], v[0:1], v[10:11], -v[8:9]
	s_delay_alu instid0(VALU_DEP_2) | instskip(NEXT) | instid1(VALU_DEP_2)
	v_fmaak_f64 v[22:23], s[26:27], v[18:19], 0x3fc385386b47b09a
	v_add_f64_e32 v[8:9], 0x3e703b769d4d6435, v[8:9]
	v_mul_f64_e32 v[24:25], v[16:17], v[18:19]
	s_mov_b64 s[26:27], 0x3ca3cee1e6a7fd77
	s_delay_alu instid0(VALU_DEP_3) | instskip(NEXT) | instid1(VALU_DEP_1)
	v_fmaak_f64 v[22:23], v[18:19], v[22:23], 0x3fc7474dd7f4df2e
	v_fmaak_f64 v[22:23], v[18:19], v[22:23], 0x3fcc71c016291751
	s_delay_alu instid0(VALU_DEP_1) | instskip(NEXT) | instid1(VALU_DEP_1)
	v_fmaak_f64 v[22:23], v[18:19], v[22:23], 0x3fd249249b27acf1
	v_fmaak_f64 v[22:23], v[18:19], v[22:23], 0x3fd99999998ef7b6
	v_fma_f64 v[10:11], v[0:1], v[8:9], -v[10:11]
	s_delay_alu instid0(VALU_DEP_2) | instskip(SKIP_2) | instid1(VALU_DEP_3)
	v_fmaak_f64 v[18:19], v[18:19], v[22:23], 0x3fe5555555555780
	v_ldexp_f64 v[22:23], v[16:17], 1
	v_add_f64_e64 v[16:17], v[16:17], -v[20:21]
	v_mul_f64_e32 v[18:19], v[24:25], v[18:19]
	v_fma_f64 v[24:25], v[6:7], v[6:7], -2.0
	v_add_f64_e32 v[10:11], 0xbe91ec638f227f8d, v[10:11]
	s_delay_alu instid0(VALU_DEP_4) | instskip(NEXT) | instid1(VALU_DEP_4)
	v_add_f64_e64 v[14:15], v[14:15], -v[16:17]
	v_add_f64_e32 v[20:21], v[22:23], v[18:19]
	s_delay_alu instid0(VALU_DEP_3) | instskip(NEXT) | instid1(VALU_DEP_3)
	v_fma_f64 v[8:9], v[0:1], v[10:11], -v[8:9]
	v_ldexp_f64 v[14:15], v[14:15], 1
	s_delay_alu instid0(VALU_DEP_3) | instskip(SKIP_2) | instid1(VALU_DEP_1)
	v_add_f64_e64 v[16:17], v[20:21], -v[22:23]
	v_fmaak_f64 v[22:23], s[26:27], v[24:25], 0x3d27fb0ac384c2aa
	s_mov_b64 s[26:27], 0x3fe62e42fefa39ef
	v_fmaak_f64 v[30:31], v[24:25], v[22:23], 0xbca3cee1e6a7fd77
	v_add_f64_e32 v[8:9], 0x3eb2bf24978cf4ac, v[8:9]
	s_delay_alu instid0(VALU_DEP_4) | instskip(NEXT) | instid1(VALU_DEP_3)
	v_add_f64_e64 v[16:17], v[18:19], -v[16:17]
	v_add_f64_e32 v[18:19], 0x3da6c25c47512144, v[30:31]
	v_fma_f64 v[30:31], v[26:27], s[26:27], -v[28:29]
	s_mov_b64 s[26:27], 0x3e5ade156a5dcb37
	s_delay_alu instid0(VALU_DEP_4) | instskip(NEXT) | instid1(VALU_DEP_4)
	v_fma_f64 v[10:11], v[0:1], v[8:9], -v[10:11]
	v_add_f64_e32 v[14:15], v[14:15], v[16:17]
	s_delay_alu instid0(VALU_DEP_4) | instskip(NEXT) | instid1(VALU_DEP_4)
	v_fma_f64 v[16:17], v[24:25], v[18:19], -v[22:23]
	v_fmamk_f64 v[22:23], v[26:27], 0x3c7abc9e3b39803f, v[30:31]
	s_delay_alu instid0(VALU_DEP_1) | instskip(SKIP_3) | instid1(VALU_DEP_4)
	v_add_f64_e32 v[30:31], v[28:29], v[22:23]
	v_add_f64_e32 v[10:11], 0xbed2866fcba56427, v[10:11]
	;; [unrolled: 1-line block ×4, first 2 shown]
	v_add_f64_e64 v[28:29], v[30:31], -v[28:29]
	s_delay_alu instid0(VALU_DEP_4) | instskip(NEXT) | instid1(VALU_DEP_4)
	v_fma_f64 v[8:9], v[0:1], v[10:11], -v[8:9]
	v_add_f64_e32 v[32:33], v[30:31], v[26:27]
	s_delay_alu instid0(VALU_DEP_4) | instskip(SKIP_1) | instid1(VALU_DEP_4)
	v_fma_f64 v[18:19], v[24:25], v[16:17], -v[18:19]
	v_add_f64_e64 v[20:21], v[26:27], -v[20:21]
	v_add_f64_e32 v[8:9], 0x3ef13f58be9a2859, v[8:9]
	s_delay_alu instid0(VALU_DEP_4) | instskip(NEXT) | instid1(VALU_DEP_4)
	v_add_f64_e64 v[34:35], v[32:33], -v[30:31]
	v_add_f64_e32 v[18:19], 0x3e9102bce7f95efc, v[18:19]
	s_delay_alu instid0(VALU_DEP_4)
	v_add_f64_e64 v[14:15], v[14:15], -v[20:21]
	v_add_f64_e64 v[20:21], v[22:23], -v[28:29]
	v_mul_f64_e32 v[28:29], 0x3ff71547652b82fe, v[6:7]
	v_fma_f64 v[10:11], v[0:1], v[8:9], -v[10:11]
	v_add_f64_e64 v[36:37], v[32:33], -v[34:35]
	v_fma_f64 v[16:17], v[24:25], v[18:19], -v[16:17]
	v_add_f64_e64 v[26:27], v[26:27], -v[34:35]
	s_delay_alu instid0(VALU_DEP_4) | instskip(NEXT) | instid1(VALU_DEP_4)
	v_add_f64_e32 v[10:11], 0xbf0e2b2659c41d5a, v[10:11]
	v_add_f64_e64 v[22:23], v[30:31], -v[36:37]
	s_delay_alu instid0(VALU_DEP_4) | instskip(SKIP_1) | instid1(VALU_DEP_4)
	v_add_f64_e32 v[16:17], 0x3ef7f900fe8cfca0, v[16:17]
	v_add_f64_e32 v[30:31], v[20:21], v[14:15]
	v_fma_f64 v[8:9], v[0:1], v[10:11], -v[8:9]
	s_delay_alu instid0(VALU_DEP_4) | instskip(NEXT) | instid1(VALU_DEP_4)
	v_add_f64_e32 v[22:23], v[26:27], v[22:23]
	v_fma_f64 v[18:19], v[24:25], v[16:17], -v[18:19]
	v_rndne_f64_e32 v[26:27], v[28:29]
	v_add_f64_e64 v[28:29], v[30:31], -v[20:21]
	v_add_f64_e32 v[8:9], 0x3f28b51b74107cab, v[8:9]
	v_add_f64_e32 v[22:23], v[30:31], v[22:23]
	;; [unrolled: 1-line block ×3, first 2 shown]
	v_fmamk_f64 v[6:7], v[26:27], 0xbfe62e42fefa39ef, v[6:7]
	v_add_f64_e64 v[30:31], v[30:31], -v[28:29]
	v_add_f64_e64 v[14:15], v[14:15], -v[28:29]
	v_cvt_i32_f64_e32 v3, v[26:27]
	s_delay_alu instid0(VALU_DEP_4) | instskip(NEXT) | instid1(VALU_DEP_1)
	v_fmamk_f64 v[6:7], v[26:27], 0xbc7abc9e3b39803f, v[6:7]
	v_fmaak_f64 v[36:37], s[26:27], v[6:7], 0x3e928af3fca7ab0c
	s_delay_alu instid0(VALU_DEP_1) | instskip(SKIP_1) | instid1(VALU_DEP_2)
	v_fmaak_f64 v[36:37], v[6:7], v[36:37], 0x3ec71dee623fde64
	v_fma_f64 v[10:11], v[0:1], v[8:9], -v[10:11]
	v_fmaak_f64 v[36:37], v[6:7], v[36:37], 0x3efa01997c89e6b0
	v_add_f64_e32 v[34:35], v[32:33], v[22:23]
	v_fma_f64 v[16:17], v[24:25], v[18:19], -v[16:17]
	v_add_f64_e64 v[20:21], v[20:21], -v[30:31]
	s_delay_alu instid0(VALU_DEP_4) | instskip(NEXT) | instid1(VALU_DEP_1)
	v_fmaak_f64 v[36:37], v[6:7], v[36:37], 0x3f2a01a014761f6e
	v_fmaak_f64 v[30:31], v[6:7], v[36:37], 0x3f56c16c1852b7b0
	v_add_f64_e32 v[10:11], 0xbf42e2fd1f15eb52, v[10:11]
	v_add_f64_e64 v[28:29], v[34:35], -v[32:33]
	v_add_f64_e32 v[16:17], 0x3fa26bf6554a9085, v[16:17]
	v_add_f64_e32 v[14:15], v[14:15], v[20:21]
	s_delay_alu instid0(VALU_DEP_4) | instskip(NEXT) | instid1(VALU_DEP_4)
	v_fma_f64 v[8:9], v[0:1], v[10:11], -v[8:9]
	v_add_f64_e64 v[20:21], v[22:23], -v[28:29]
	s_delay_alu instid0(VALU_DEP_4) | instskip(NEXT) | instid1(VALU_DEP_3)
	v_fma_f64 v[18:19], v[24:25], v[16:17], -v[18:19]
	v_add_f64_e32 v[8:9], 0x3f5adc758a12100e, v[8:9]
	s_delay_alu instid0(VALU_DEP_3) | instskip(NEXT) | instid1(VALU_DEP_3)
	v_add_f64_e32 v[14:15], v[14:15], v[20:21]
	v_add_f64_e32 v[18:19], 0x3fd608d881213db9, v[18:19]
	s_delay_alu instid0(VALU_DEP_3) | instskip(NEXT) | instid1(VALU_DEP_1)
	v_fma_f64 v[10:11], v[0:1], v[8:9], -v[10:11]
	v_add_f64_e32 v[10:11], 0xbf71b65e201aa849, v[10:11]
	s_delay_alu instid0(VALU_DEP_1) | instskip(NEXT) | instid1(VALU_DEP_1)
	v_fma_f64 v[8:9], v[0:1], v[10:11], -v[8:9]
	v_add_f64_e32 v[8:9], 0x3f859961f3dde3dd, v[8:9]
	s_delay_alu instid0(VALU_DEP_1) | instskip(NEXT) | instid1(VALU_DEP_1)
	;; [unrolled: 3-line block ×6, first 2 shown]
	v_fma_f64 v[10:11], v[0:1], v[8:9], -v[10:11]
	v_add_f64_e32 v[10:11], 0xbfd37febc057cd8d, v[10:11]
	s_delay_alu instid0(VALU_DEP_1) | instskip(SKIP_1) | instid1(VALU_DEP_1)
	v_fma_f64 v[0:1], v[0:1], v[10:11], -v[8:9]
	v_fmaak_f64 v[10:11], v[6:7], v[30:31], 0x3f81111111122322
	v_fmaak_f64 v[10:11], v[6:7], v[10:11], 0x3fa55555555502a1
	s_delay_alu instid0(VALU_DEP_1) | instskip(NEXT) | instid1(VALU_DEP_1)
	v_fmaak_f64 v[10:11], v[6:7], v[10:11], 0x3fc5555555555511
	v_fmaak_f64 v[10:11], v[6:7], v[10:11], 0x3fe000000000000b
	s_delay_alu instid0(VALU_DEP_1) | instskip(SKIP_1) | instid1(VALU_DEP_2)
	v_fma_f64 v[10:11], v[6:7], v[10:11], 1.0
	v_add_f64_e32 v[0:1], 0x3fe5a84e9035a22a, v[0:1]
	v_fma_f64 v[6:7], v[6:7], v[10:11], 1.0
	v_fma_f64 v[10:11], v[24:25], v[18:19], -v[16:17]
	s_delay_alu instid0(VALU_DEP_3) | instskip(SKIP_1) | instid1(VALU_DEP_4)
	v_add_f64_e64 v[0:1], v[0:1], -v[8:9]
	v_add_f64_e32 v[8:9], v[34:35], v[14:15]
	v_ldexp_f64 v[6:7], v[6:7], v3
	s_delay_alu instid0(VALU_DEP_4) | instskip(NEXT) | instid1(VALU_DEP_4)
	v_add_f64_e32 v[10:11], 0xbfe12166e9d2f61f, v[10:11]
	v_mul_f64_e32 v[0:1], 0.5, v[0:1]
	s_delay_alu instid0(VALU_DEP_4) | instskip(SKIP_2) | instid1(VALU_DEP_2)
	v_cndmask_b32_e32 v3, 0x7ff00000, v9, vcc_lo
	s_and_b32 vcc_lo, s0, vcc_lo
	v_cndmask_b32_e32 v8, 0, v8, vcc_lo
	v_cndmask_b32_e64 v9, 0xfff00000, v3, s0
	v_add_f64_e64 v[10:11], v[10:11], -v[16:17]
	v_mul_f64_e32 v[0:1], v[6:7], v[0:1]
	s_delay_alu instid0(VALU_DEP_1) | instskip(NEXT) | instid1(VALU_DEP_1)
	v_mul_f64_e32 v[0:1], v[8:9], v[0:1]
	v_fma_f64 v[0:1], v[10:11], 0.5, -v[0:1]
	s_delay_alu instid0(VALU_DEP_1)
	v_mul_f64_e32 v[0:1], v[6:7], v[0:1]
                                        ; implicit-def: $vgpr6_vgpr7
.LBB9_309:
	s_and_not1_saveexec_b32 s0, s25
	s_cbranch_execz .LBB9_311
; %bb.310:
	v_div_scale_f64 v[0:1], null, v[6:7], v[6:7], 0x40200000
	v_div_scale_f64 v[12:13], vcc_lo, 0x40200000, v[6:7], 0x40200000
	s_mov_b64 s[26:27], 0x3c5871a5cf8c9ee1
	v_rcp_f64_e32 v[8:9], v[0:1]
	v_nop
	s_delay_alu instid0(TRANS32_DEP_1) | instskip(NEXT) | instid1(VALU_DEP_1)
	v_fma_f64 v[10:11], -v[0:1], v[8:9], 1.0
	v_fmac_f64_e32 v[8:9], v[8:9], v[10:11]
	s_delay_alu instid0(VALU_DEP_1) | instskip(NEXT) | instid1(VALU_DEP_1)
	v_fma_f64 v[10:11], -v[0:1], v[8:9], 1.0
	v_fmac_f64_e32 v[8:9], v[8:9], v[10:11]
	s_delay_alu instid0(VALU_DEP_1) | instskip(NEXT) | instid1(VALU_DEP_1)
	v_mul_f64_e32 v[10:11], v[12:13], v[8:9]
	v_fma_f64 v[0:1], -v[0:1], v[10:11], v[12:13]
	s_delay_alu instid0(VALU_DEP_1) | instskip(SKIP_1) | instid1(VALU_DEP_2)
	v_div_fmas_f64 v[0:1], v[0:1], v[8:9], v[10:11]
	v_cmp_gt_f64_e32 vcc_lo, 0x10000000, v[6:7]
	v_div_fixup_f64 v[0:1], v[0:1], v[6:7], 0x40200000
	v_cndmask_b32_e64 v3, 0, 0x100, vcc_lo
	s_delay_alu instid0(VALU_DEP_1) | instskip(SKIP_1) | instid1(VALU_DEP_2)
	v_ldexp_f64 v[6:7], v[6:7], v3
	v_cndmask_b32_e64 v3, 0, 0xffffff80, vcc_lo
	v_cmp_class_f64_e64 vcc_lo, v[6:7], 0x260
	v_add_f64_e32 v[0:1], -2.0, v[0:1]
	v_rsq_f64_e32 v[12:13], v[6:7]
	s_delay_alu instid0(VALU_DEP_1) | instskip(NEXT) | instid1(TRANS32_DEP_1)
	v_fmaak_f64 v[8:9], s[26:27], v[0:1], 0xbc72fecc93812603
	v_mul_f64_e32 v[14:15], v[6:7], v[12:13]
	s_delay_alu instid0(VALU_DEP_2) | instskip(SKIP_1) | instid1(VALU_DEP_2)
	v_fmaak_f64 v[10:11], v[0:1], v[8:9], 0xbc5871a5cf8c9ee1
	v_mul_f64_e32 v[12:13], 0.5, v[12:13]
	v_add_f64_e32 v[10:11], 0x3c8e092e41a8cdf4, v[10:11]
	s_delay_alu instid0(VALU_DEP_2) | instskip(NEXT) | instid1(VALU_DEP_2)
	v_fma_f64 v[16:17], -v[12:13], v[14:15], 0.5
	v_fma_f64 v[8:9], v[0:1], v[10:11], -v[8:9]
	s_delay_alu instid0(VALU_DEP_2) | instskip(SKIP_1) | instid1(VALU_DEP_3)
	v_fmac_f64_e32 v[14:15], v[14:15], v[16:17]
	v_fmac_f64_e32 v[12:13], v[12:13], v[16:17]
	v_add_f64_e32 v[8:9], 0xbca82f9474d77641, v[8:9]
	s_delay_alu instid0(VALU_DEP_3) | instskip(NEXT) | instid1(VALU_DEP_2)
	v_fma_f64 v[16:17], -v[14:15], v[14:15], v[6:7]
	v_fma_f64 v[10:11], v[0:1], v[8:9], -v[10:11]
	s_delay_alu instid0(VALU_DEP_2) | instskip(NEXT) | instid1(VALU_DEP_2)
	v_fmac_f64_e32 v[14:15], v[16:17], v[12:13]
	v_add_f64_e32 v[10:11], 0x3cc3dbf96b94785b, v[10:11]
	s_delay_alu instid0(VALU_DEP_1) | instskip(NEXT) | instid1(VALU_DEP_1)
	v_fma_f64 v[8:9], v[0:1], v[10:11], -v[8:9]
	v_add_f64_e32 v[8:9], 0xbce0a690ecfadd36, v[8:9]
	s_delay_alu instid0(VALU_DEP_1) | instskip(NEXT) | instid1(VALU_DEP_1)
	v_fma_f64 v[10:11], v[0:1], v[8:9], -v[10:11]
	;; [unrolled: 3-line block ×19, first 2 shown]
	v_add_f64_e32 v[8:9], 0xbfa019f72d4ff71e, v[8:9]
	s_delay_alu instid0(VALU_DEP_1) | instskip(SKIP_1) | instid1(VALU_DEP_2)
	v_fma_f64 v[0:1], v[0:1], v[8:9], -v[10:11]
	v_fma_f64 v[8:9], -v[14:15], v[14:15], v[6:7]
	v_add_f64_e32 v[0:1], 0x400385bd9f4e6907, v[0:1]
	s_delay_alu instid0(VALU_DEP_2) | instskip(NEXT) | instid1(VALU_DEP_2)
	v_fmac_f64_e32 v[14:15], v[8:9], v[12:13]
	v_add_f64_e64 v[0:1], v[0:1], -v[10:11]
	s_delay_alu instid0(VALU_DEP_2) | instskip(NEXT) | instid1(VALU_DEP_1)
	v_ldexp_f64 v[8:9], v[14:15], v3
	v_dual_mul_f64 v[0:1], 0.5, v[0:1] :: v_dual_cndmask_b32 v7, v9, v7, vcc_lo
	s_delay_alu instid0(VALU_DEP_2) | instskip(NEXT) | instid1(VALU_DEP_1)
	v_cndmask_b32_e32 v6, v8, v6, vcc_lo
	v_div_scale_f64 v[8:9], null, v[6:7], v[6:7], v[0:1]
	s_delay_alu instid0(VALU_DEP_1) | instskip(SKIP_1) | instid1(TRANS32_DEP_1)
	v_rcp_f64_e32 v[10:11], v[8:9]
	v_nop
	v_fma_f64 v[12:13], -v[8:9], v[10:11], 1.0
	s_delay_alu instid0(VALU_DEP_1) | instskip(NEXT) | instid1(VALU_DEP_1)
	v_fmac_f64_e32 v[10:11], v[10:11], v[12:13]
	v_fma_f64 v[12:13], -v[8:9], v[10:11], 1.0
	s_delay_alu instid0(VALU_DEP_1) | instskip(SKIP_1) | instid1(VALU_DEP_1)
	v_fmac_f64_e32 v[10:11], v[10:11], v[12:13]
	v_div_scale_f64 v[12:13], vcc_lo, v[0:1], v[6:7], v[0:1]
	v_mul_f64_e32 v[14:15], v[12:13], v[10:11]
	s_delay_alu instid0(VALU_DEP_1) | instskip(NEXT) | instid1(VALU_DEP_1)
	v_fma_f64 v[8:9], -v[8:9], v[14:15], v[12:13]
	v_div_fmas_f64 v[8:9], v[8:9], v[10:11], v[14:15]
	s_delay_alu instid0(VALU_DEP_1)
	v_div_fixup_f64 v[0:1], v[8:9], v[6:7], v[0:1]
.LBB9_311:
	s_or_b32 exec_lo, exec_lo, s0
.LBB9_312:
	s_delay_alu instid0(SALU_CYCLE_1)
	s_or_b32 exec_lo, exec_lo, s24
.LBB9_313:
	s_delay_alu instid0(SALU_CYCLE_1) | instskip(SKIP_2) | instid1(SALU_CYCLE_1)
	s_or_b32 exec_lo, exec_lo, s23
	v_mov_b32_e32 v3, 0
	s_and_b32 s23, s34, 0xff
	s_cmp_lt_i32 s23, 11
	s_delay_alu instid0(VALU_DEP_1)
	v_add_nc_u64_e32 v[6:7], s[4:5], v[2:3]
	s_cbranch_scc1 .LBB9_321
; %bb.314:
	s_and_b32 s24, 0xffff, s23
	s_delay_alu instid0(SALU_CYCLE_1)
	s_cmp_gt_i32 s24, 25
	s_cbranch_scc0 .LBB9_323
; %bb.315:
	s_cmp_gt_i32 s24, 28
	s_cbranch_scc0 .LBB9_325
; %bb.316:
	;; [unrolled: 3-line block ×4, first 2 shown]
	s_mov_b32 s26, 0
	s_mov_b32 s0, -1
	s_cmp_eq_u32 s24, 46
	s_mov_b32 s25, 0
	s_cbranch_scc0 .LBB9_338
; %bb.319:
	s_delay_alu instid0(VALU_DEP_3) | instskip(SKIP_2) | instid1(VALU_DEP_1)
	v_cvt_f32_f64_e32 v2, v[0:1]
	s_mov_b32 s25, -1
	s_mov_b32 s0, 0
	v_bfe_u32 v3, v2, 16, 1
	v_cmp_o_f32_e32 vcc_lo, v2, v2
	s_delay_alu instid0(VALU_DEP_2) | instskip(NEXT) | instid1(VALU_DEP_1)
	v_add3_u32 v3, v2, v3, 0x7fff
	v_lshrrev_b32_e32 v3, 16, v3
	s_delay_alu instid0(VALU_DEP_1)
	v_cndmask_b32_e32 v2, 0x7fc0, v3, vcc_lo
	global_store_b32 v[6:7], v2, off
	s_branch .LBB9_338
.LBB9_320:
	s_mov_b32 s24, -1
	s_mov_b32 s23, 0
	s_mov_b32 s22, s40
                                        ; implicit-def: $vgpr6_vgpr7
	s_branch .LBB9_475
.LBB9_321:
	s_mov_b32 s24, -1
	s_mov_b32 s25, 0
	s_mov_b32 s0, s39
	s_branch .LBB9_407
.LBB9_322:
	s_mov_b32 s24, -1
	s_mov_b32 s23, 0
	s_mov_b32 s22, s40
                                        ; implicit-def: $vgpr6_vgpr7
	s_branch .LBB9_456
.LBB9_323:
	s_mov_b32 s26, -1
	s_mov_b32 s25, 0
	s_mov_b32 s0, s39
	s_branch .LBB9_365
.LBB9_324:
	s_mov_b32 s24, -1
	s_mov_b32 s23, 0
	s_mov_b32 s22, s40
                                        ; implicit-def: $vgpr6_vgpr7
	s_branch .LBB9_451
.LBB9_325:
	s_mov_b32 s26, -1
	s_mov_b32 s25, 0
	s_mov_b32 s0, s39
	s_branch .LBB9_348
.LBB9_326:
	s_and_not1_saveexec_b32 s27, s27
	s_cbranch_execz .LBB9_77
.LBB9_327:
	v_add_f32_e64 v3, 0x46000000, |v2|
	s_and_not1_b32 s26, s26, exec_lo
	s_delay_alu instid0(VALU_DEP_1) | instskip(NEXT) | instid1(VALU_DEP_1)
	v_and_b32_e32 v3, 0xff, v3
	v_cmp_ne_u32_e32 vcc_lo, 0, v3
	s_and_b32 s39, vcc_lo, exec_lo
	s_delay_alu instid0(SALU_CYCLE_1)
	s_or_b32 s26, s26, s39
	s_or_b32 exec_lo, exec_lo, s27
	v_mov_b32_e32 v5, 0
	s_and_saveexec_b32 s27, s26
	s_cbranch_execnz .LBB9_78
	s_branch .LBB9_79
.LBB9_328:
	s_mov_b32 s24, -1
	s_mov_b32 s23, 0
	s_mov_b32 s22, s40
	s_branch .LBB9_333
.LBB9_329:
	s_mov_b32 s26, -1
	s_mov_b32 s25, 0
	s_mov_b32 s0, s39
	s_branch .LBB9_344
.LBB9_330:
	s_and_not1_saveexec_b32 s27, s27
	s_cbranch_execz .LBB9_90
.LBB9_331:
	v_add_f32_e64 v3, 0x42800000, |v2|
	s_and_not1_b32 s26, s26, exec_lo
	s_delay_alu instid0(VALU_DEP_1) | instskip(NEXT) | instid1(VALU_DEP_1)
	v_and_b32_e32 v3, 0xff, v3
	v_cmp_ne_u32_e32 vcc_lo, 0, v3
	s_and_b32 s39, vcc_lo, exec_lo
	s_delay_alu instid0(SALU_CYCLE_1)
	s_or_b32 s26, s26, s39
	s_or_b32 exec_lo, exec_lo, s27
	v_mov_b32_e32 v5, 0
	s_and_saveexec_b32 s27, s26
	s_cbranch_execnz .LBB9_91
	s_branch .LBB9_92
.LBB9_332:
	s_mov_b32 s22, -1
	s_mov_b32 s23, 0
.LBB9_333:
                                        ; implicit-def: $vgpr6_vgpr7
.LBB9_334:
	s_and_b32 vcc_lo, exec_lo, s24
	s_cbranch_vccz .LBB9_450
; %bb.335:
	s_cmp_eq_u32 s0, 44
	s_cbranch_scc0 .LBB9_449
; %bb.336:
	global_load_u8 v3, v[0:1], off
	s_mov_b32 s22, 0
	s_mov_b32 s23, -1
	s_wait_loadcnt 0x0
	v_lshlrev_b32_e32 v5, 23, v3
	v_cmp_ne_u32_e32 vcc_lo, 0xff, v3
	s_delay_alu instid0(VALU_DEP_2) | instskip(NEXT) | instid1(VALU_DEP_1)
	v_cvt_f64_f32_e32 v[6:7], v5
	v_cndmask_b32_e32 v5, 0x20000000, v6, vcc_lo
	s_delay_alu instid0(VALU_DEP_2) | instskip(SKIP_1) | instid1(VALU_DEP_2)
	v_cndmask_b32_e32 v6, 0x7ff80000, v7, vcc_lo
	v_cmp_ne_u32_e32 vcc_lo, 0, v3
	v_cndmask_b32_e32 v7, 0x38000000, v6, vcc_lo
	s_delay_alu instid0(VALU_DEP_4)
	v_cndmask_b32_e32 v6, 0, v5, vcc_lo
	s_branch .LBB9_450
.LBB9_337:
	s_mov_b32 s26, -1
	s_mov_b32 s25, 0
	s_mov_b32 s0, s39
.LBB9_338:
	s_and_b32 vcc_lo, exec_lo, s26
	s_cbranch_vccz .LBB9_343
; %bb.339:
	s_cmp_eq_u32 s24, 44
	s_mov_b32 s0, -1
	s_cbranch_scc0 .LBB9_343
; %bb.340:
	s_wait_xcnt 0x0
	s_delay_alu instid0(VALU_DEP_3) | instskip(SKIP_2) | instid1(VALU_DEP_2)
	v_cvt_f32_f64_e32 v2, v[0:1]
	v_mov_b32_e32 v3, 0xff
	s_mov_b32 s25, exec_lo
	v_bfe_u32 v5, v2, 23, 8
	s_delay_alu instid0(VALU_DEP_1)
	v_cmpx_ne_u32_e32 0xff, v5
	s_cbranch_execz .LBB9_342
; %bb.341:
	v_and_b32_e32 v3, 0x400000, v2
	v_and_or_b32 v5, 0x3fffff, v2, v5
	v_lshrrev_b32_e32 v2, 23, v2
	s_delay_alu instid0(VALU_DEP_3) | instskip(NEXT) | instid1(VALU_DEP_3)
	v_cmp_ne_u32_e32 vcc_lo, 0, v3
	v_cmp_ne_u32_e64 s0, 0, v5
	s_and_b32 s0, vcc_lo, s0
	s_delay_alu instid0(SALU_CYCLE_1) | instskip(NEXT) | instid1(VALU_DEP_1)
	v_cndmask_b32_e64 v3, 0, 1, s0
	v_add_nc_u32_e32 v3, v2, v3
.LBB9_342:
	s_or_b32 exec_lo, exec_lo, s25
	s_mov_b32 s25, -1
	s_mov_b32 s0, 0
	global_store_b8 v[6:7], v3, off
.LBB9_343:
	s_mov_b32 s26, 0
.LBB9_344:
	s_delay_alu instid0(SALU_CYCLE_1)
	s_and_b32 vcc_lo, exec_lo, s26
	s_cbranch_vccz .LBB9_347
; %bb.345:
	s_cmp_eq_u32 s24, 29
	s_mov_b32 s0, -1
	s_cbranch_scc0 .LBB9_347
; %bb.346:
	s_wait_xcnt 0x0
	s_delay_alu instid0(VALU_DEP_3) | instskip(SKIP_3) | instid1(VALU_DEP_1)
	v_trunc_f64_e32 v[2:3], v[0:1]
	s_mov_b32 s25, -1
	s_mov_b32 s0, 0
	s_mov_b32 s26, 0
	v_ldexp_f64 v[8:9], v[2:3], 0xffffffe0
	s_delay_alu instid0(VALU_DEP_1) | instskip(NEXT) | instid1(VALU_DEP_1)
	v_floor_f64_e32 v[8:9], v[8:9]
	v_fmamk_f64 v[2:3], v[8:9], 0xc1f00000, v[2:3]
	v_cvt_u32_f64_e32 v9, v[8:9]
	s_delay_alu instid0(VALU_DEP_2)
	v_cvt_u32_f64_e32 v8, v[2:3]
	global_store_b64 v[6:7], v[8:9], off
	s_branch .LBB9_348
.LBB9_347:
	s_mov_b32 s26, 0
.LBB9_348:
	s_delay_alu instid0(SALU_CYCLE_1)
	s_and_b32 vcc_lo, exec_lo, s26
	s_cbranch_vccz .LBB9_364
; %bb.349:
	s_cmp_lt_i32 s24, 27
	s_mov_b32 s25, -1
	s_cbranch_scc1 .LBB9_355
; %bb.350:
	s_wait_xcnt 0x0
	s_delay_alu instid0(VALU_DEP_3)
	v_cvt_u32_f64_e32 v2, v[0:1]
	s_cmp_gt_i32 s24, 27
	s_cbranch_scc0 .LBB9_352
; %bb.351:
	s_mov_b32 s25, 0
	global_store_b32 v[6:7], v2, off
.LBB9_352:
	s_and_not1_b32 vcc_lo, exec_lo, s25
	s_cbranch_vccnz .LBB9_354
; %bb.353:
	global_store_b16 v[6:7], v2, off
.LBB9_354:
	s_mov_b32 s25, 0
.LBB9_355:
	s_delay_alu instid0(SALU_CYCLE_1)
	s_and_not1_b32 vcc_lo, exec_lo, s25
	s_cbranch_vccnz .LBB9_363
; %bb.356:
	s_wait_xcnt 0x0
	s_delay_alu instid0(VALU_DEP_3) | instskip(SKIP_2) | instid1(VALU_DEP_2)
	v_cvt_f32_f64_e32 v2, v[0:1]
	v_mov_b32_e32 v5, 0x80
	s_mov_b32 s25, exec_lo
	v_and_b32_e32 v3, 0x7fffffff, v2
	s_delay_alu instid0(VALU_DEP_1)
	v_cmpx_gt_u32_e32 0x43800000, v3
	s_cbranch_execz .LBB9_362
; %bb.357:
	v_cmp_lt_u32_e32 vcc_lo, 0x3bffffff, v3
	s_mov_b32 s26, 0
                                        ; implicit-def: $vgpr3
	s_and_saveexec_b32 s27, vcc_lo
	s_delay_alu instid0(SALU_CYCLE_1)
	s_xor_b32 s27, exec_lo, s27
	s_cbranch_execz .LBB9_592
; %bb.358:
	v_bfe_u32 v3, v2, 20, 1
	s_mov_b32 s26, exec_lo
	s_delay_alu instid0(VALU_DEP_1) | instskip(NEXT) | instid1(VALU_DEP_1)
	v_add3_u32 v3, v2, v3, 0x487ffff
	v_lshrrev_b32_e32 v3, 20, v3
	s_and_not1_saveexec_b32 s27, s27
	s_cbranch_execnz .LBB9_593
.LBB9_359:
	s_or_b32 exec_lo, exec_lo, s27
	v_mov_b32_e32 v5, 0
	s_and_saveexec_b32 s27, s26
.LBB9_360:
	v_lshrrev_b32_e32 v2, 24, v2
	s_delay_alu instid0(VALU_DEP_1)
	v_and_or_b32 v5, 0x80, v2, v3
.LBB9_361:
	s_or_b32 exec_lo, exec_lo, s27
.LBB9_362:
	s_delay_alu instid0(SALU_CYCLE_1)
	s_or_b32 exec_lo, exec_lo, s25
	global_store_b8 v[6:7], v5, off
.LBB9_363:
	s_mov_b32 s25, -1
.LBB9_364:
	s_mov_b32 s26, 0
.LBB9_365:
	s_delay_alu instid0(SALU_CYCLE_1)
	s_and_b32 vcc_lo, exec_lo, s26
	s_cbranch_vccz .LBB9_406
; %bb.366:
	s_cmp_gt_i32 s24, 22
	s_mov_b32 s26, -1
	s_cbranch_scc0 .LBB9_398
; %bb.367:
	s_cmp_lt_i32 s24, 24
	s_mov_b32 s25, -1
	s_cbranch_scc1 .LBB9_387
; %bb.368:
	s_cmp_gt_i32 s24, 24
	s_cbranch_scc0 .LBB9_376
; %bb.369:
	s_wait_xcnt 0x0
	s_delay_alu instid0(VALU_DEP_3) | instskip(SKIP_2) | instid1(VALU_DEP_2)
	v_cvt_f32_f64_e32 v2, v[0:1]
	v_mov_b32_e32 v5, 0x80
	s_mov_b32 s25, exec_lo
	v_and_b32_e32 v3, 0x7fffffff, v2
	s_delay_alu instid0(VALU_DEP_1)
	v_cmpx_gt_u32_e32 0x47800000, v3
	s_cbranch_execz .LBB9_375
; %bb.370:
	v_cmp_lt_u32_e32 vcc_lo, 0x37ffffff, v3
	s_mov_b32 s26, 0
                                        ; implicit-def: $vgpr3
	s_and_saveexec_b32 s27, vcc_lo
	s_delay_alu instid0(SALU_CYCLE_1)
	s_xor_b32 s27, exec_lo, s27
	s_cbranch_execz .LBB9_595
; %bb.371:
	v_bfe_u32 v3, v2, 21, 1
	s_mov_b32 s26, exec_lo
	s_delay_alu instid0(VALU_DEP_1) | instskip(NEXT) | instid1(VALU_DEP_1)
	v_add3_u32 v3, v2, v3, 0x88fffff
	v_lshrrev_b32_e32 v3, 21, v3
	s_and_not1_saveexec_b32 s27, s27
	s_cbranch_execnz .LBB9_596
.LBB9_372:
	s_or_b32 exec_lo, exec_lo, s27
	v_mov_b32_e32 v5, 0
	s_and_saveexec_b32 s27, s26
.LBB9_373:
	v_lshrrev_b32_e32 v2, 24, v2
	s_delay_alu instid0(VALU_DEP_1)
	v_and_or_b32 v5, 0x80, v2, v3
.LBB9_374:
	s_or_b32 exec_lo, exec_lo, s27
.LBB9_375:
	s_delay_alu instid0(SALU_CYCLE_1)
	s_or_b32 exec_lo, exec_lo, s25
	s_mov_b32 s25, 0
	global_store_b8 v[6:7], v5, off
.LBB9_376:
	s_and_b32 vcc_lo, exec_lo, s25
	s_cbranch_vccz .LBB9_386
; %bb.377:
	s_wait_xcnt 0x0
	s_delay_alu instid0(VALU_DEP_3) | instskip(SKIP_1) | instid1(VALU_DEP_1)
	v_cvt_f32_f64_e32 v2, v[0:1]
	s_mov_b32 s25, exec_lo
                                        ; implicit-def: $vgpr3
	v_and_b32_e32 v5, 0x7fffffff, v2
	s_delay_alu instid0(VALU_DEP_1)
	v_cmpx_gt_u32_e32 0x43f00000, v5
	s_xor_b32 s25, exec_lo, s25
	s_cbranch_execz .LBB9_383
; %bb.378:
	s_mov_b32 s26, exec_lo
                                        ; implicit-def: $vgpr3
	v_cmpx_lt_u32_e32 0x3c7fffff, v5
	s_xor_b32 s26, exec_lo, s26
; %bb.379:
	v_bfe_u32 v3, v2, 20, 1
	s_delay_alu instid0(VALU_DEP_1) | instskip(NEXT) | instid1(VALU_DEP_1)
	v_add3_u32 v3, v2, v3, 0x407ffff
	v_and_b32_e32 v5, 0xff00000, v3
	v_lshrrev_b32_e32 v3, 20, v3
	s_delay_alu instid0(VALU_DEP_2) | instskip(NEXT) | instid1(VALU_DEP_2)
	v_cmp_ne_u32_e32 vcc_lo, 0x7f00000, v5
	v_cndmask_b32_e32 v3, 0x7e, v3, vcc_lo
; %bb.380:
	s_and_not1_saveexec_b32 s26, s26
; %bb.381:
	v_add_f32_e64 v3, 0x46800000, |v2|
; %bb.382:
	s_or_b32 exec_lo, exec_lo, s26
                                        ; implicit-def: $vgpr5
.LBB9_383:
	s_and_not1_saveexec_b32 s25, s25
; %bb.384:
	v_mov_b32_e32 v3, 0x7f
	v_cmp_lt_u32_e32 vcc_lo, 0x7f800000, v5
	s_delay_alu instid0(VALU_DEP_2)
	v_cndmask_b32_e32 v3, 0x7e, v3, vcc_lo
; %bb.385:
	s_or_b32 exec_lo, exec_lo, s25
	v_lshrrev_b32_e32 v2, 24, v2
	s_delay_alu instid0(VALU_DEP_1)
	v_and_or_b32 v2, 0x80, v2, v3
	global_store_b8 v[6:7], v2, off
.LBB9_386:
	s_mov_b32 s25, 0
.LBB9_387:
	s_delay_alu instid0(SALU_CYCLE_1)
	s_and_not1_b32 vcc_lo, exec_lo, s25
	s_cbranch_vccnz .LBB9_397
; %bb.388:
	s_wait_xcnt 0x0
	s_delay_alu instid0(VALU_DEP_3) | instskip(SKIP_1) | instid1(VALU_DEP_1)
	v_cvt_f32_f64_e32 v2, v[0:1]
	s_mov_b32 s25, exec_lo
                                        ; implicit-def: $vgpr3
	v_and_b32_e32 v5, 0x7fffffff, v2
	s_delay_alu instid0(VALU_DEP_1)
	v_cmpx_gt_u32_e32 0x47800000, v5
	s_xor_b32 s25, exec_lo, s25
	s_cbranch_execz .LBB9_394
; %bb.389:
	s_mov_b32 s26, exec_lo
                                        ; implicit-def: $vgpr3
	v_cmpx_lt_u32_e32 0x387fffff, v5
	s_xor_b32 s26, exec_lo, s26
; %bb.390:
	v_bfe_u32 v3, v2, 21, 1
	s_delay_alu instid0(VALU_DEP_1) | instskip(NEXT) | instid1(VALU_DEP_1)
	v_add3_u32 v3, v2, v3, 0x80fffff
	v_lshrrev_b32_e32 v3, 21, v3
; %bb.391:
	s_and_not1_saveexec_b32 s26, s26
; %bb.392:
	v_add_f32_e64 v3, 0x43000000, |v2|
; %bb.393:
	s_or_b32 exec_lo, exec_lo, s26
                                        ; implicit-def: $vgpr5
.LBB9_394:
	s_and_not1_saveexec_b32 s25, s25
; %bb.395:
	v_mov_b32_e32 v3, 0x7f
	v_cmp_lt_u32_e32 vcc_lo, 0x7f800000, v5
	s_delay_alu instid0(VALU_DEP_2)
	v_cndmask_b32_e32 v3, 0x7c, v3, vcc_lo
; %bb.396:
	s_or_b32 exec_lo, exec_lo, s25
	v_lshrrev_b32_e32 v2, 24, v2
	s_delay_alu instid0(VALU_DEP_1)
	v_and_or_b32 v2, 0x80, v2, v3
	global_store_b8 v[6:7], v2, off
.LBB9_397:
	s_mov_b32 s26, 0
	s_mov_b32 s25, -1
.LBB9_398:
	s_and_not1_b32 vcc_lo, exec_lo, s26
	s_cbranch_vccnz .LBB9_406
; %bb.399:
	s_cmp_gt_i32 s24, 14
	s_mov_b32 s26, -1
	s_cbranch_scc0 .LBB9_403
; %bb.400:
	s_cmp_eq_u32 s24, 15
	s_mov_b32 s0, -1
	s_cbranch_scc0 .LBB9_402
; %bb.401:
	s_wait_xcnt 0x0
	s_delay_alu instid0(VALU_DEP_3) | instskip(SKIP_2) | instid1(VALU_DEP_1)
	v_cvt_f32_f64_e32 v2, v[0:1]
	s_mov_b32 s25, -1
	s_mov_b32 s0, 0
	v_bfe_u32 v3, v2, 16, 1
	v_cmp_o_f32_e32 vcc_lo, v2, v2
	s_delay_alu instid0(VALU_DEP_2) | instskip(NEXT) | instid1(VALU_DEP_1)
	v_add3_u32 v3, v2, v3, 0x7fff
	v_lshrrev_b32_e32 v3, 16, v3
	s_delay_alu instid0(VALU_DEP_1)
	v_cndmask_b32_e32 v2, 0x7fc0, v3, vcc_lo
	global_store_b16 v[6:7], v2, off
.LBB9_402:
	s_mov_b32 s26, 0
.LBB9_403:
	s_delay_alu instid0(SALU_CYCLE_1)
	s_and_b32 vcc_lo, exec_lo, s26
	s_cbranch_vccz .LBB9_406
; %bb.404:
	s_cmp_eq_u32 s24, 11
	s_mov_b32 s0, -1
	s_cbranch_scc0 .LBB9_406
; %bb.405:
	s_delay_alu instid0(VALU_DEP_3)
	v_cmp_neq_f64_e32 vcc_lo, 0, v[0:1]
	s_mov_b32 s25, -1
	s_mov_b32 s0, 0
	s_wait_xcnt 0x0
	v_cndmask_b32_e64 v2, 0, 1, vcc_lo
	global_store_b8 v[6:7], v2, off
.LBB9_406:
	s_mov_b32 s24, 0
.LBB9_407:
	s_delay_alu instid0(SALU_CYCLE_1)
	s_and_b32 vcc_lo, exec_lo, s24
	s_cbranch_vccz .LBB9_446
; %bb.408:
	s_and_b32 s23, 0xffff, s23
	s_mov_b32 s24, -1
	s_cmp_lt_i32 s23, 5
	s_cbranch_scc1 .LBB9_429
; %bb.409:
	s_cmp_lt_i32 s23, 8
	s_cbranch_scc1 .LBB9_419
; %bb.410:
	;; [unrolled: 3-line block ×3, first 2 shown]
	s_cmp_gt_i32 s23, 9
	s_cbranch_scc0 .LBB9_413
; %bb.412:
	s_wait_xcnt 0x0
	v_mov_b32_e32 v2, 0
	s_mov_b32 s24, 0
	s_delay_alu instid0(VALU_DEP_1)
	v_mov_b32_e32 v3, v2
	global_store_b128 v[6:7], v[0:3], off
.LBB9_413:
	s_and_not1_b32 vcc_lo, exec_lo, s24
	s_cbranch_vccnz .LBB9_415
; %bb.414:
	s_wait_xcnt 0x0
	s_delay_alu instid0(VALU_DEP_3)
	v_cvt_f32_f64_e32 v2, v[0:1]
	v_mov_b32_e32 v3, 0
	global_store_b64 v[6:7], v[2:3], off
.LBB9_415:
	s_mov_b32 s24, 0
.LBB9_416:
	s_delay_alu instid0(SALU_CYCLE_1)
	s_and_not1_b32 vcc_lo, exec_lo, s24
	s_cbranch_vccnz .LBB9_418
; %bb.417:
	s_wait_xcnt 0x0
	s_delay_alu instid0(VALU_DEP_3) | instskip(SKIP_2) | instid1(VALU_DEP_3)
	v_and_or_b32 v2, 0x1ff, v1, v0
	v_lshrrev_b32_e32 v3, 8, v1
	v_bfe_u32 v5, v1, 20, 11
	v_cmp_ne_u32_e32 vcc_lo, 0, v2
	s_delay_alu instid0(VALU_DEP_2) | instskip(SKIP_2) | instid1(VALU_DEP_1)
	v_sub_nc_u32_e32 v8, 0x3f1, v5
	v_add_nc_u32_e32 v5, 0xfffffc10, v5
	v_cndmask_b32_e64 v2, 0, 1, vcc_lo
	v_and_or_b32 v2, 0xffe, v3, v2
	s_delay_alu instid0(VALU_DEP_4) | instskip(NEXT) | instid1(VALU_DEP_2)
	v_med3_i32 v3, v8, 0, 13
	v_or_b32_e32 v8, 0x1000, v2
	s_delay_alu instid0(VALU_DEP_1) | instskip(NEXT) | instid1(VALU_DEP_1)
	v_lshrrev_b32_e32 v9, v3, v8
	v_lshlrev_b32_e32 v3, v3, v9
	s_delay_alu instid0(VALU_DEP_1) | instskip(SKIP_3) | instid1(VALU_DEP_2)
	v_cmp_ne_u32_e32 vcc_lo, v3, v8
	v_lshl_or_b32 v8, v5, 12, v2
	v_cndmask_b32_e64 v3, 0, 1, vcc_lo
	v_cmp_gt_i32_e32 vcc_lo, 1, v5
	v_or_b32_e32 v3, v9, v3
	s_delay_alu instid0(VALU_DEP_1) | instskip(NEXT) | instid1(VALU_DEP_1)
	v_cndmask_b32_e32 v3, v8, v3, vcc_lo
	v_dual_lshrrev_b32 v3, 2, v3 :: v_dual_bitop2_b32 v8, 7, v3 bitop3:0x40
	s_delay_alu instid0(VALU_DEP_1) | instskip(SKIP_4) | instid1(VALU_DEP_2)
	v_cmp_lt_i32_e32 vcc_lo, 5, v8
	v_cndmask_b32_e64 v9, 0, 1, vcc_lo
	v_cmp_eq_u32_e32 vcc_lo, 3, v8
	v_cndmask_b32_e64 v8, 0, 1, vcc_lo
	v_cmp_ne_u32_e32 vcc_lo, 0, v2
	v_or_b32_e32 v8, v8, v9
	v_mov_b32_e32 v9, 0x7e00
	s_delay_alu instid0(VALU_DEP_1) | instskip(SKIP_1) | instid1(VALU_DEP_2)
	v_dual_cndmask_b32 v2, 0x7c00, v9 :: v_dual_add_nc_u32 v3, v3, v8
	v_cmp_gt_i32_e32 vcc_lo, 31, v5
	v_dual_cndmask_b32 v3, 0x7c00, v3 :: v_dual_lshrrev_b32 v8, 16, v1
	v_cmp_eq_u32_e32 vcc_lo, 0x40f, v5
	s_delay_alu instid0(VALU_DEP_2) | instskip(NEXT) | instid1(VALU_DEP_3)
	v_cndmask_b32_e32 v2, v3, v2, vcc_lo
	v_and_b32_e32 v3, 0x8000, v8
	s_delay_alu instid0(VALU_DEP_1)
	v_bitop3_b32 v2, v3, 0xffff, v2 bitop3:0xc8
	global_store_b32 v[6:7], v2, off
.LBB9_418:
	s_mov_b32 s24, 0
.LBB9_419:
	s_delay_alu instid0(SALU_CYCLE_1)
	s_and_not1_b32 vcc_lo, exec_lo, s24
	s_cbranch_vccnz .LBB9_428
; %bb.420:
	s_cmp_lt_i32 s23, 6
	s_mov_b32 s24, -1
	s_cbranch_scc1 .LBB9_426
; %bb.421:
	s_cmp_gt_i32 s23, 6
	s_cbranch_scc0 .LBB9_423
; %bb.422:
	s_mov_b32 s24, 0
	global_store_b64 v[6:7], v[0:1], off
.LBB9_423:
	s_and_not1_b32 vcc_lo, exec_lo, s24
	s_cbranch_vccnz .LBB9_425
; %bb.424:
	s_wait_xcnt 0x0
	s_delay_alu instid0(VALU_DEP_3)
	v_cvt_f32_f64_e32 v2, v[0:1]
	global_store_b32 v[6:7], v2, off
.LBB9_425:
	s_mov_b32 s24, 0
.LBB9_426:
	s_delay_alu instid0(SALU_CYCLE_1)
	s_and_not1_b32 vcc_lo, exec_lo, s24
	s_cbranch_vccnz .LBB9_428
; %bb.427:
	s_wait_xcnt 0x0
	s_delay_alu instid0(VALU_DEP_3) | instskip(SKIP_2) | instid1(VALU_DEP_3)
	v_and_or_b32 v2, 0x1ff, v1, v0
	v_lshrrev_b32_e32 v3, 8, v1
	v_bfe_u32 v5, v1, 20, 11
	v_cmp_ne_u32_e32 vcc_lo, 0, v2
	s_delay_alu instid0(VALU_DEP_2) | instskip(SKIP_2) | instid1(VALU_DEP_1)
	v_sub_nc_u32_e32 v8, 0x3f1, v5
	v_add_nc_u32_e32 v5, 0xfffffc10, v5
	v_cndmask_b32_e64 v2, 0, 1, vcc_lo
	v_and_or_b32 v2, 0xffe, v3, v2
	s_delay_alu instid0(VALU_DEP_4) | instskip(NEXT) | instid1(VALU_DEP_2)
	v_med3_i32 v3, v8, 0, 13
	v_or_b32_e32 v8, 0x1000, v2
	s_delay_alu instid0(VALU_DEP_1) | instskip(NEXT) | instid1(VALU_DEP_1)
	v_lshrrev_b32_e32 v9, v3, v8
	v_lshlrev_b32_e32 v3, v3, v9
	s_delay_alu instid0(VALU_DEP_1) | instskip(SKIP_3) | instid1(VALU_DEP_2)
	v_cmp_ne_u32_e32 vcc_lo, v3, v8
	v_lshl_or_b32 v8, v5, 12, v2
	v_cndmask_b32_e64 v3, 0, 1, vcc_lo
	v_cmp_gt_i32_e32 vcc_lo, 1, v5
	v_or_b32_e32 v3, v9, v3
	s_delay_alu instid0(VALU_DEP_1) | instskip(NEXT) | instid1(VALU_DEP_1)
	v_cndmask_b32_e32 v3, v8, v3, vcc_lo
	v_dual_lshrrev_b32 v3, 2, v3 :: v_dual_bitop2_b32 v8, 7, v3 bitop3:0x40
	s_delay_alu instid0(VALU_DEP_1) | instskip(SKIP_4) | instid1(VALU_DEP_2)
	v_cmp_lt_i32_e32 vcc_lo, 5, v8
	v_cndmask_b32_e64 v9, 0, 1, vcc_lo
	v_cmp_eq_u32_e32 vcc_lo, 3, v8
	v_cndmask_b32_e64 v8, 0, 1, vcc_lo
	v_cmp_ne_u32_e32 vcc_lo, 0, v2
	v_or_b32_e32 v8, v8, v9
	v_mov_b32_e32 v9, 0x7e00
	s_delay_alu instid0(VALU_DEP_1) | instskip(SKIP_1) | instid1(VALU_DEP_2)
	v_dual_cndmask_b32 v2, 0x7c00, v9 :: v_dual_add_nc_u32 v3, v3, v8
	v_cmp_gt_i32_e32 vcc_lo, 31, v5
	v_cndmask_b32_e32 v3, 0x7c00, v3, vcc_lo
	v_cmp_eq_u32_e32 vcc_lo, 0x40f, v5
	s_delay_alu instid0(VALU_DEP_2) | instskip(NEXT) | instid1(VALU_DEP_1)
	v_dual_cndmask_b32 v2, v3, v2 :: v_dual_lshrrev_b32 v3, 16, v1
	v_and_or_b32 v2, 0x8000, v3, v2
	global_store_b16 v[6:7], v2, off
.LBB9_428:
	s_mov_b32 s24, 0
.LBB9_429:
	s_delay_alu instid0(SALU_CYCLE_1)
	s_and_not1_b32 vcc_lo, exec_lo, s24
	s_cbranch_vccnz .LBB9_445
; %bb.430:
	s_cmp_lt_i32 s23, 2
	s_mov_b32 s24, -1
	s_cbranch_scc1 .LBB9_440
; %bb.431:
	s_cmp_lt_i32 s23, 3
	s_cbranch_scc1 .LBB9_437
; %bb.432:
	s_cmp_gt_i32 s23, 3
	s_cbranch_scc0 .LBB9_434
; %bb.433:
	s_wait_xcnt 0x0
	s_delay_alu instid0(VALU_DEP_3) | instskip(SKIP_1) | instid1(VALU_DEP_1)
	v_trunc_f64_e32 v[2:3], v[0:1]
	s_mov_b32 s24, 0
	v_ldexp_f64 v[8:9], v[2:3], 0xffffffe0
	s_delay_alu instid0(VALU_DEP_1) | instskip(NEXT) | instid1(VALU_DEP_1)
	v_floor_f64_e32 v[8:9], v[8:9]
	v_fmamk_f64 v[2:3], v[8:9], 0xc1f00000, v[2:3]
	v_cvt_i32_f64_e32 v9, v[8:9]
	s_delay_alu instid0(VALU_DEP_2)
	v_cvt_u32_f64_e32 v8, v[2:3]
	global_store_b64 v[6:7], v[8:9], off
.LBB9_434:
	s_and_not1_b32 vcc_lo, exec_lo, s24
	s_cbranch_vccnz .LBB9_436
; %bb.435:
	s_wait_xcnt 0x0
	s_delay_alu instid0(VALU_DEP_3)
	v_cvt_i32_f64_e32 v2, v[0:1]
	global_store_b32 v[6:7], v2, off
.LBB9_436:
	s_mov_b32 s24, 0
.LBB9_437:
	s_delay_alu instid0(SALU_CYCLE_1)
	s_and_not1_b32 vcc_lo, exec_lo, s24
	s_cbranch_vccnz .LBB9_439
; %bb.438:
	s_wait_xcnt 0x0
	s_delay_alu instid0(VALU_DEP_3)
	v_cvt_i32_f64_e32 v2, v[0:1]
	global_store_b16 v[6:7], v2, off
.LBB9_439:
	s_mov_b32 s24, 0
.LBB9_440:
	s_delay_alu instid0(SALU_CYCLE_1)
	s_and_not1_b32 vcc_lo, exec_lo, s24
	s_cbranch_vccnz .LBB9_445
; %bb.441:
	s_cmp_gt_i32 s23, 0
	s_mov_b32 s23, -1
	s_cbranch_scc0 .LBB9_443
; %bb.442:
	s_wait_xcnt 0x0
	s_delay_alu instid0(VALU_DEP_3)
	v_cvt_i32_f64_e32 v2, v[0:1]
	s_mov_b32 s23, 0
	global_store_b8 v[6:7], v2, off
.LBB9_443:
	s_and_not1_b32 vcc_lo, exec_lo, s23
	s_cbranch_vccnz .LBB9_445
; %bb.444:
	s_wait_xcnt 0x0
	v_trunc_f64_e32 v[0:1], v[0:1]
	s_delay_alu instid0(VALU_DEP_1) | instskip(NEXT) | instid1(VALU_DEP_1)
	v_ldexp_f64 v[2:3], v[0:1], 0xffffffe0
	v_floor_f64_e32 v[2:3], v[2:3]
	s_delay_alu instid0(VALU_DEP_1) | instskip(NEXT) | instid1(VALU_DEP_1)
	v_fmamk_f64 v[0:1], v[2:3], 0xc1f00000, v[0:1]
	v_cvt_u32_f64_e32 v0, v[0:1]
	global_store_b8 v[6:7], v0, off
.LBB9_445:
	s_mov_b32 s25, -1
.LBB9_446:
	s_delay_alu instid0(SALU_CYCLE_1)
	s_and_not1_b32 vcc_lo, exec_lo, s25
	s_cbranch_vccnz .LBB9_448
; %bb.447:
	v_add_nc_u32_e32 v4, 0x80, v4
	s_mov_b32 s23, -1
	s_branch .LBB9_561
.LBB9_448:
	s_mov_b32 s23, 0
	s_branch .LBB9_560
.LBB9_449:
	s_mov_b32 s22, -1
                                        ; implicit-def: $vgpr6_vgpr7
.LBB9_450:
	s_mov_b32 s24, 0
.LBB9_451:
	s_delay_alu instid0(SALU_CYCLE_1)
	s_and_b32 vcc_lo, exec_lo, s24
	s_cbranch_vccz .LBB9_455
; %bb.452:
	s_cmp_eq_u32 s0, 29
	s_cbranch_scc0 .LBB9_454
; %bb.453:
	s_wait_loadcnt 0x0
	global_load_b64 v[6:7], v[0:1], off
	s_mov_b32 s23, -1
	s_mov_b32 s22, 0
	s_mov_b32 s24, 0
	s_wait_loadcnt 0x0
	v_cvt_f64_u32_e32 v[8:9], v7
	v_cvt_f64_u32_e32 v[6:7], v6
	s_delay_alu instid0(VALU_DEP_2) | instskip(NEXT) | instid1(VALU_DEP_1)
	v_ldexp_f64 v[8:9], v[8:9], 32
	v_add_f64_e32 v[6:7], v[8:9], v[6:7]
	s_branch .LBB9_456
.LBB9_454:
	s_mov_b32 s22, -1
                                        ; implicit-def: $vgpr6_vgpr7
.LBB9_455:
	s_mov_b32 s24, 0
.LBB9_456:
	s_delay_alu instid0(SALU_CYCLE_1)
	s_and_b32 vcc_lo, exec_lo, s24
	s_cbranch_vccz .LBB9_474
; %bb.457:
	s_cmp_lt_i32 s0, 27
	s_cbranch_scc1 .LBB9_460
; %bb.458:
	s_cmp_gt_i32 s0, 27
	s_cbranch_scc0 .LBB9_461
; %bb.459:
	global_load_b32 v3, v[0:1], off
	s_mov_b32 s23, 0
	s_wait_loadcnt 0x0
	v_cvt_f64_u32_e32 v[6:7], v3
	s_branch .LBB9_462
.LBB9_460:
	s_mov_b32 s23, -1
                                        ; implicit-def: $vgpr6_vgpr7
	s_branch .LBB9_465
.LBB9_461:
	s_mov_b32 s23, -1
                                        ; implicit-def: $vgpr6_vgpr7
.LBB9_462:
	s_delay_alu instid0(SALU_CYCLE_1)
	s_and_not1_b32 vcc_lo, exec_lo, s23
	s_cbranch_vccnz .LBB9_464
; %bb.463:
	global_load_u16 v3, v[0:1], off
	s_wait_loadcnt 0x0
	v_cvt_f64_u32_e32 v[6:7], v3
.LBB9_464:
	s_mov_b32 s23, 0
.LBB9_465:
	s_delay_alu instid0(SALU_CYCLE_1)
	s_and_not1_b32 vcc_lo, exec_lo, s23
	s_cbranch_vccnz .LBB9_473
; %bb.466:
	global_load_u8 v3, v[0:1], off
	s_mov_b32 s23, 0
	s_mov_b32 s24, exec_lo
	s_wait_loadcnt 0x0
	v_cmpx_lt_i16_e32 0x7f, v3
	s_xor_b32 s24, exec_lo, s24
	s_cbranch_execz .LBB9_487
; %bb.467:
	s_mov_b32 s23, -1
	s_mov_b32 s25, exec_lo
	v_cmpx_eq_u16_e32 0x80, v3
; %bb.468:
	s_xor_b32 s23, exec_lo, -1
; %bb.469:
	s_or_b32 exec_lo, exec_lo, s25
	s_delay_alu instid0(SALU_CYCLE_1)
	s_and_b32 s23, s23, exec_lo
	s_or_saveexec_b32 s24, s24
	v_mov_b64_e32 v[6:7], 0x7ff8000020000000
	s_xor_b32 exec_lo, exec_lo, s24
	s_cbranch_execnz .LBB9_488
.LBB9_470:
	s_or_b32 exec_lo, exec_lo, s24
	s_and_saveexec_b32 s24, s23
	s_cbranch_execz .LBB9_472
.LBB9_471:
	v_and_b32_e32 v5, 0xffff, v3
	s_delay_alu instid0(VALU_DEP_1) | instskip(SKIP_1) | instid1(VALU_DEP_2)
	v_and_b32_e32 v6, 7, v5
	v_bfe_u32 v9, v5, 3, 4
	v_clz_i32_u32_e32 v7, v6
	s_delay_alu instid0(VALU_DEP_2) | instskip(NEXT) | instid1(VALU_DEP_2)
	v_cmp_eq_u32_e32 vcc_lo, 0, v9
	v_min_u32_e32 v7, 32, v7
	s_delay_alu instid0(VALU_DEP_1) | instskip(NEXT) | instid1(VALU_DEP_1)
	v_subrev_nc_u32_e32 v8, 28, v7
	v_dual_lshlrev_b32 v5, v8, v5 :: v_dual_sub_nc_u32 v7, 29, v7
	s_delay_alu instid0(VALU_DEP_1) | instskip(NEXT) | instid1(VALU_DEP_1)
	v_dual_lshlrev_b32 v3, 24, v3 :: v_dual_bitop2_b32 v5, 7, v5 bitop3:0x40
	v_dual_cndmask_b32 v5, v6, v5, vcc_lo :: v_dual_cndmask_b32 v7, v9, v7, vcc_lo
	s_delay_alu instid0(VALU_DEP_2) | instskip(NEXT) | instid1(VALU_DEP_2)
	v_and_b32_e32 v3, 0x80000000, v3
	v_lshlrev_b32_e32 v5, 20, v5
	s_delay_alu instid0(VALU_DEP_3) | instskip(NEXT) | instid1(VALU_DEP_1)
	v_lshl_add_u32 v6, v7, 23, 0x3b800000
	v_or3_b32 v3, v3, v6, v5
	s_delay_alu instid0(VALU_DEP_1)
	v_cvt_f64_f32_e32 v[6:7], v3
.LBB9_472:
	s_or_b32 exec_lo, exec_lo, s24
.LBB9_473:
	s_mov_b32 s23, -1
.LBB9_474:
	s_mov_b32 s24, 0
.LBB9_475:
	s_delay_alu instid0(SALU_CYCLE_1)
	s_and_b32 vcc_lo, exec_lo, s24
	s_cbranch_vccz .LBB9_510
; %bb.476:
	s_cmp_gt_i32 s0, 22
	s_cbranch_scc0 .LBB9_486
; %bb.477:
	s_cmp_lt_i32 s0, 24
	s_cbranch_scc1 .LBB9_489
; %bb.478:
	s_cmp_gt_i32 s0, 24
	s_cbranch_scc0 .LBB9_490
; %bb.479:
	global_load_u8 v3, v[0:1], off
	s_mov_b32 s23, 0
	s_mov_b32 s24, exec_lo
	s_wait_loadcnt 0x0
	v_cmpx_lt_i16_e32 0x7f, v3
	s_xor_b32 s24, exec_lo, s24
	s_cbranch_execz .LBB9_502
; %bb.480:
	s_mov_b32 s23, -1
	s_mov_b32 s25, exec_lo
	v_cmpx_eq_u16_e32 0x80, v3
; %bb.481:
	s_xor_b32 s23, exec_lo, -1
; %bb.482:
	s_or_b32 exec_lo, exec_lo, s25
	s_delay_alu instid0(SALU_CYCLE_1)
	s_and_b32 s23, s23, exec_lo
	s_or_saveexec_b32 s24, s24
	v_mov_b64_e32 v[6:7], 0x7ff8000020000000
	s_xor_b32 exec_lo, exec_lo, s24
	s_cbranch_execnz .LBB9_503
.LBB9_483:
	s_or_b32 exec_lo, exec_lo, s24
	s_and_saveexec_b32 s24, s23
	s_cbranch_execz .LBB9_485
.LBB9_484:
	v_and_b32_e32 v5, 0xffff, v3
	s_delay_alu instid0(VALU_DEP_1) | instskip(SKIP_1) | instid1(VALU_DEP_2)
	v_and_b32_e32 v6, 3, v5
	v_bfe_u32 v9, v5, 2, 5
	v_clz_i32_u32_e32 v7, v6
	s_delay_alu instid0(VALU_DEP_2) | instskip(NEXT) | instid1(VALU_DEP_2)
	v_cmp_eq_u32_e32 vcc_lo, 0, v9
	v_min_u32_e32 v7, 32, v7
	s_delay_alu instid0(VALU_DEP_1) | instskip(NEXT) | instid1(VALU_DEP_1)
	v_subrev_nc_u32_e32 v8, 29, v7
	v_dual_lshlrev_b32 v5, v8, v5 :: v_dual_sub_nc_u32 v7, 30, v7
	s_delay_alu instid0(VALU_DEP_1) | instskip(NEXT) | instid1(VALU_DEP_1)
	v_dual_lshlrev_b32 v3, 24, v3 :: v_dual_bitop2_b32 v5, 3, v5 bitop3:0x40
	v_dual_cndmask_b32 v5, v6, v5, vcc_lo :: v_dual_cndmask_b32 v7, v9, v7, vcc_lo
	s_delay_alu instid0(VALU_DEP_2) | instskip(NEXT) | instid1(VALU_DEP_2)
	v_and_b32_e32 v3, 0x80000000, v3
	v_lshlrev_b32_e32 v5, 21, v5
	s_delay_alu instid0(VALU_DEP_3) | instskip(NEXT) | instid1(VALU_DEP_1)
	v_lshl_add_u32 v6, v7, 23, 0x37800000
	v_or3_b32 v3, v3, v6, v5
	s_delay_alu instid0(VALU_DEP_1)
	v_cvt_f64_f32_e32 v[6:7], v3
.LBB9_485:
	s_or_b32 exec_lo, exec_lo, s24
	s_mov_b32 s23, 0
	s_branch .LBB9_491
.LBB9_486:
	s_mov_b32 s24, -1
                                        ; implicit-def: $vgpr6_vgpr7
	s_branch .LBB9_497
.LBB9_487:
	s_or_saveexec_b32 s24, s24
	v_mov_b64_e32 v[6:7], 0x7ff8000020000000
	s_xor_b32 exec_lo, exec_lo, s24
	s_cbranch_execz .LBB9_470
.LBB9_488:
	v_cmp_ne_u16_e32 vcc_lo, 0, v3
	v_mov_b64_e32 v[6:7], 0
	s_and_not1_b32 s23, s23, exec_lo
	s_and_b32 s25, vcc_lo, exec_lo
	s_delay_alu instid0(SALU_CYCLE_1)
	s_or_b32 s23, s23, s25
	s_or_b32 exec_lo, exec_lo, s24
	s_and_saveexec_b32 s24, s23
	s_cbranch_execnz .LBB9_471
	s_branch .LBB9_472
.LBB9_489:
	s_mov_b32 s23, -1
                                        ; implicit-def: $vgpr6_vgpr7
	s_branch .LBB9_494
.LBB9_490:
	s_mov_b32 s23, -1
                                        ; implicit-def: $vgpr6_vgpr7
.LBB9_491:
	s_delay_alu instid0(SALU_CYCLE_1)
	s_and_b32 vcc_lo, exec_lo, s23
	s_cbranch_vccz .LBB9_493
; %bb.492:
	global_load_u8 v3, v[0:1], off
	s_wait_loadcnt 0x0
	v_lshlrev_b32_e32 v3, 24, v3
	s_delay_alu instid0(VALU_DEP_1) | instskip(NEXT) | instid1(VALU_DEP_1)
	v_and_b32_e32 v5, 0x7f000000, v3
	v_clz_i32_u32_e32 v6, v5
	v_cmp_ne_u32_e32 vcc_lo, 0, v5
	v_add_nc_u32_e32 v8, 0x1000000, v5
	s_delay_alu instid0(VALU_DEP_3) | instskip(NEXT) | instid1(VALU_DEP_1)
	v_min_u32_e32 v6, 32, v6
	v_sub_nc_u32_e64 v6, v6, 4 clamp
	s_delay_alu instid0(VALU_DEP_1) | instskip(NEXT) | instid1(VALU_DEP_1)
	v_dual_lshlrev_b32 v7, v6, v5 :: v_dual_lshlrev_b32 v6, 23, v6
	v_lshrrev_b32_e32 v7, 4, v7
	s_delay_alu instid0(VALU_DEP_1) | instskip(NEXT) | instid1(VALU_DEP_1)
	v_dual_sub_nc_u32 v6, v7, v6 :: v_dual_ashrrev_i32 v7, 8, v8
	v_add_nc_u32_e32 v6, 0x3c000000, v6
	s_delay_alu instid0(VALU_DEP_1) | instskip(NEXT) | instid1(VALU_DEP_1)
	v_and_or_b32 v6, 0x7f800000, v7, v6
	v_cndmask_b32_e32 v5, 0, v6, vcc_lo
	s_delay_alu instid0(VALU_DEP_1) | instskip(NEXT) | instid1(VALU_DEP_1)
	v_and_or_b32 v3, 0x80000000, v3, v5
	v_cvt_f64_f32_e32 v[6:7], v3
.LBB9_493:
	s_mov_b32 s23, 0
.LBB9_494:
	s_delay_alu instid0(SALU_CYCLE_1)
	s_and_not1_b32 vcc_lo, exec_lo, s23
	s_cbranch_vccnz .LBB9_496
; %bb.495:
	global_load_u8 v3, v[0:1], off
	s_wait_loadcnt 0x0
	v_lshlrev_b32_e32 v5, 25, v3
	v_lshlrev_b16 v3, 8, v3
	s_delay_alu instid0(VALU_DEP_1) | instskip(NEXT) | instid1(VALU_DEP_3)
	v_and_or_b32 v7, 0x7f00, v3, 0.5
	v_lshrrev_b32_e32 v6, 4, v5
	v_bfe_i32 v3, v3, 0, 16
	s_delay_alu instid0(VALU_DEP_3) | instskip(NEXT) | instid1(VALU_DEP_3)
	v_add_f32_e32 v7, -0.5, v7
	v_or_b32_e32 v6, 0x70000000, v6
	s_delay_alu instid0(VALU_DEP_1) | instskip(SKIP_1) | instid1(VALU_DEP_2)
	v_mul_f32_e32 v6, 0x7800000, v6
	v_cmp_gt_u32_e32 vcc_lo, 0x8000000, v5
	v_cndmask_b32_e32 v5, v6, v7, vcc_lo
	s_delay_alu instid0(VALU_DEP_1) | instskip(NEXT) | instid1(VALU_DEP_1)
	v_and_or_b32 v3, 0x80000000, v3, v5
	v_cvt_f64_f32_e32 v[6:7], v3
.LBB9_496:
	s_mov_b32 s24, 0
	s_mov_b32 s23, -1
.LBB9_497:
	s_and_not1_b32 vcc_lo, exec_lo, s24
	s_cbranch_vccnz .LBB9_510
; %bb.498:
	s_cmp_gt_i32 s0, 14
	s_cbranch_scc0 .LBB9_501
; %bb.499:
	s_cmp_eq_u32 s0, 15
	s_cbranch_scc0 .LBB9_504
; %bb.500:
	global_load_u16 v3, v[0:1], off
	s_mov_b32 s23, -1
	s_mov_b32 s22, 0
	s_wait_loadcnt 0x0
	v_lshlrev_b32_e32 v3, 16, v3
	s_delay_alu instid0(VALU_DEP_1)
	v_cvt_f64_f32_e32 v[6:7], v3
	s_branch .LBB9_505
.LBB9_501:
	s_mov_b32 s24, -1
                                        ; implicit-def: $vgpr6_vgpr7
	s_branch .LBB9_506
.LBB9_502:
	s_or_saveexec_b32 s24, s24
	v_mov_b64_e32 v[6:7], 0x7ff8000020000000
	s_xor_b32 exec_lo, exec_lo, s24
	s_cbranch_execz .LBB9_483
.LBB9_503:
	v_cmp_ne_u16_e32 vcc_lo, 0, v3
	v_mov_b64_e32 v[6:7], 0
	s_and_not1_b32 s23, s23, exec_lo
	s_and_b32 s25, vcc_lo, exec_lo
	s_delay_alu instid0(SALU_CYCLE_1)
	s_or_b32 s23, s23, s25
	s_or_b32 exec_lo, exec_lo, s24
	s_and_saveexec_b32 s24, s23
	s_cbranch_execnz .LBB9_484
	s_branch .LBB9_485
.LBB9_504:
	s_mov_b32 s22, -1
                                        ; implicit-def: $vgpr6_vgpr7
.LBB9_505:
	s_mov_b32 s24, 0
.LBB9_506:
	s_delay_alu instid0(SALU_CYCLE_1)
	s_and_b32 vcc_lo, exec_lo, s24
	s_cbranch_vccz .LBB9_510
; %bb.507:
	s_cmp_eq_u32 s0, 11
	s_cbranch_scc0 .LBB9_509
; %bb.508:
	global_load_u8 v3, v[0:1], off
	s_wait_loadcnt 0x1
	v_mov_b32_e32 v6, 0
	s_mov_b32 s22, 0
	s_mov_b32 s23, -1
	s_wait_loadcnt 0x0
	v_cmp_ne_u16_e32 vcc_lo, 0, v3
	v_cndmask_b32_e64 v7, 0, 0x3ff00000, vcc_lo
	s_branch .LBB9_510
.LBB9_509:
	s_mov_b32 s22, -1
                                        ; implicit-def: $vgpr6_vgpr7
.LBB9_510:
	s_branch .LBB9_304
.LBB9_511:
	s_cmp_lt_i32 s0, 5
	s_cbranch_scc1 .LBB9_516
; %bb.512:
	s_cmp_lt_i32 s0, 8
	s_cbranch_scc1 .LBB9_517
; %bb.513:
	;; [unrolled: 3-line block ×3, first 2 shown]
	s_cmp_gt_i32 s0, 9
	s_cbranch_scc0 .LBB9_519
; %bb.515:
	s_wait_loadcnt 0x0
	global_load_b64 v[6:7], v[0:1], off
	s_mov_b32 s23, 0
	s_branch .LBB9_520
.LBB9_516:
	s_mov_b32 s23, -1
                                        ; implicit-def: $vgpr6_vgpr7
	s_branch .LBB9_538
.LBB9_517:
	s_mov_b32 s23, -1
                                        ; implicit-def: $vgpr6_vgpr7
	s_branch .LBB9_526
.LBB9_518:
	s_mov_b32 s23, -1
                                        ; implicit-def: $vgpr6_vgpr7
	s_branch .LBB9_523
.LBB9_519:
	s_mov_b32 s23, -1
                                        ; implicit-def: $vgpr6_vgpr7
.LBB9_520:
	s_delay_alu instid0(SALU_CYCLE_1)
	s_and_not1_b32 vcc_lo, exec_lo, s23
	s_cbranch_vccnz .LBB9_522
; %bb.521:
	global_load_b32 v3, v[0:1], off
	s_wait_loadcnt 0x0
	v_cvt_f64_f32_e32 v[6:7], v3
.LBB9_522:
	s_mov_b32 s23, 0
.LBB9_523:
	s_delay_alu instid0(SALU_CYCLE_1)
	s_and_not1_b32 vcc_lo, exec_lo, s23
	s_cbranch_vccnz .LBB9_525
; %bb.524:
	global_load_b32 v3, v[0:1], off
	s_wait_loadcnt 0x0
	v_cvt_f32_f16_e32 v3, v3
	s_delay_alu instid0(VALU_DEP_1)
	v_cvt_f64_f32_e32 v[6:7], v3
.LBB9_525:
	s_mov_b32 s23, 0
.LBB9_526:
	s_delay_alu instid0(SALU_CYCLE_1)
	s_and_not1_b32 vcc_lo, exec_lo, s23
	s_cbranch_vccnz .LBB9_537
; %bb.527:
	s_cmp_lt_i32 s0, 6
	s_cbranch_scc1 .LBB9_530
; %bb.528:
	s_cmp_gt_i32 s0, 6
	s_cbranch_scc0 .LBB9_531
; %bb.529:
	s_wait_loadcnt 0x0
	global_load_b64 v[6:7], v[0:1], off
	s_mov_b32 s23, 0
	s_branch .LBB9_532
.LBB9_530:
	s_mov_b32 s23, -1
                                        ; implicit-def: $vgpr6_vgpr7
	s_branch .LBB9_535
.LBB9_531:
	s_mov_b32 s23, -1
                                        ; implicit-def: $vgpr6_vgpr7
.LBB9_532:
	s_delay_alu instid0(SALU_CYCLE_1)
	s_and_not1_b32 vcc_lo, exec_lo, s23
	s_cbranch_vccnz .LBB9_534
; %bb.533:
	global_load_b32 v3, v[0:1], off
	s_wait_loadcnt 0x0
	v_cvt_f64_f32_e32 v[6:7], v3
.LBB9_534:
	s_mov_b32 s23, 0
.LBB9_535:
	s_delay_alu instid0(SALU_CYCLE_1)
	s_and_not1_b32 vcc_lo, exec_lo, s23
	s_cbranch_vccnz .LBB9_537
; %bb.536:
	global_load_u16 v3, v[0:1], off
	s_wait_loadcnt 0x0
	v_cvt_f32_f16_e32 v3, v3
	s_delay_alu instid0(VALU_DEP_1)
	v_cvt_f64_f32_e32 v[6:7], v3
.LBB9_537:
	s_mov_b32 s23, 0
.LBB9_538:
	s_delay_alu instid0(SALU_CYCLE_1)
	s_and_not1_b32 vcc_lo, exec_lo, s23
	s_cbranch_vccnz .LBB9_558
; %bb.539:
	s_cmp_lt_i32 s0, 2
	s_cbranch_scc1 .LBB9_543
; %bb.540:
	s_cmp_lt_i32 s0, 3
	s_cbranch_scc1 .LBB9_544
; %bb.541:
	s_cmp_gt_i32 s0, 3
	s_cbranch_scc0 .LBB9_545
; %bb.542:
	s_wait_loadcnt 0x0
	global_load_b64 v[6:7], v[0:1], off
	s_mov_b32 s23, 0
	s_wait_loadcnt 0x0
	v_cvt_f64_i32_e32 v[8:9], v7
	v_cvt_f64_u32_e32 v[6:7], v6
	s_delay_alu instid0(VALU_DEP_2) | instskip(NEXT) | instid1(VALU_DEP_1)
	v_ldexp_f64 v[8:9], v[8:9], 32
	v_add_f64_e32 v[6:7], v[8:9], v[6:7]
	s_branch .LBB9_546
.LBB9_543:
	s_mov_b32 s23, -1
                                        ; implicit-def: $vgpr6_vgpr7
	s_branch .LBB9_552
.LBB9_544:
	s_mov_b32 s23, -1
                                        ; implicit-def: $vgpr6_vgpr7
	s_branch .LBB9_549
.LBB9_545:
	s_mov_b32 s23, -1
                                        ; implicit-def: $vgpr6_vgpr7
.LBB9_546:
	s_delay_alu instid0(SALU_CYCLE_1)
	s_and_not1_b32 vcc_lo, exec_lo, s23
	s_cbranch_vccnz .LBB9_548
; %bb.547:
	global_load_b32 v3, v[0:1], off
	s_wait_loadcnt 0x0
	v_cvt_f64_i32_e32 v[6:7], v3
.LBB9_548:
	s_mov_b32 s23, 0
.LBB9_549:
	s_delay_alu instid0(SALU_CYCLE_1)
	s_and_not1_b32 vcc_lo, exec_lo, s23
	s_cbranch_vccnz .LBB9_551
; %bb.550:
	global_load_i16 v3, v[0:1], off
	s_wait_loadcnt 0x0
	v_cvt_f64_i32_e32 v[6:7], v3
.LBB9_551:
	s_mov_b32 s23, 0
.LBB9_552:
	s_delay_alu instid0(SALU_CYCLE_1)
	s_and_not1_b32 vcc_lo, exec_lo, s23
	s_cbranch_vccnz .LBB9_558
; %bb.553:
	s_cmp_gt_i32 s0, 0
	s_mov_b32 s0, 0
	s_cbranch_scc0 .LBB9_555
; %bb.554:
	global_load_i8 v3, v[0:1], off
	s_wait_loadcnt 0x0
	v_cvt_f64_i32_e32 v[6:7], v3
	s_branch .LBB9_556
.LBB9_555:
	s_mov_b32 s0, -1
                                        ; implicit-def: $vgpr6_vgpr7
.LBB9_556:
	s_delay_alu instid0(SALU_CYCLE_1)
	s_and_not1_b32 vcc_lo, exec_lo, s0
	s_cbranch_vccnz .LBB9_558
; %bb.557:
	global_load_u8 v0, v[0:1], off
	s_wait_loadcnt 0x0
	v_cvt_f64_u32_e32 v[6:7], v0
.LBB9_558:
	s_branch .LBB9_305
.LBB9_559:
	s_mov_b32 s23, 0
	s_mov_b32 s0, s39
.LBB9_560:
                                        ; implicit-def: $vgpr4
.LBB9_561:
	s_and_not1_b32 s24, s39, exec_lo
	s_and_b32 s0, s0, exec_lo
	s_and_not1_b32 s25, s40, exec_lo
	s_and_b32 s22, s22, exec_lo
	s_or_b32 s43, s24, s0
	s_or_b32 s42, s25, s22
	s_or_not1_b32 s0, s23, exec_lo
.LBB9_562:
	s_wait_xcnt 0x0
	s_or_b32 exec_lo, exec_lo, s44
	s_mov_b32 s23, 0
	s_mov_b32 s22, 0
	;; [unrolled: 1-line block ×3, first 2 shown]
                                        ; implicit-def: $vgpr0_vgpr1
                                        ; implicit-def: $vgpr2
                                        ; implicit-def: $vgpr6_vgpr7
	s_and_saveexec_b32 s44, s0
	s_cbranch_execz .LBB9_951
; %bb.563:
	s_mov_b32 s25, -1
	s_mov_b32 s0, s42
	s_mov_b32 s26, s43
	s_mov_b32 s45, exec_lo
	v_cmpx_gt_i32_e64 s36, v4
	s_cbranch_execz .LBB9_848
; %bb.564:
	s_and_not1_b32 vcc_lo, exec_lo, s31
	s_cbranch_vccnz .LBB9_570
; %bb.565:
	s_and_not1_b32 vcc_lo, exec_lo, s38
	s_cbranch_vccnz .LBB9_571
; %bb.566:
	s_add_co_i32 s0, s37, 1
	s_cmp_eq_u32 s29, 2
	s_cbranch_scc1 .LBB9_572
; %bb.567:
	v_dual_mov_b32 v2, 0 :: v_dual_mov_b32 v0, 0
	v_mov_b32_e32 v1, v4
	s_and_b32 s22, s0, 28
	s_mov_b64 s[24:25], s[2:3]
	s_mov_b64 s[26:27], s[20:21]
.LBB9_568:                              ; =>This Inner Loop Header: Depth=1
	s_clause 0x1
	s_load_b256 s[48:55], s[24:25], 0x4
	s_load_b128 s[64:67], s[24:25], 0x24
	s_load_b256 s[56:63], s[26:27], 0x0
	s_add_co_i32 s23, s23, 4
	s_wait_xcnt 0x0
	s_add_nc_u64 s[24:25], s[24:25], 48
	s_cmp_eq_u32 s22, s23
	s_add_nc_u64 s[26:27], s[26:27], 32
	s_wait_kmcnt 0x0
	v_mul_hi_u32 v3, s49, v1
	s_delay_alu instid0(VALU_DEP_1) | instskip(NEXT) | instid1(VALU_DEP_1)
	v_add_nc_u32_e32 v3, v1, v3
	v_lshrrev_b32_e32 v3, s50, v3
	s_delay_alu instid0(VALU_DEP_1) | instskip(NEXT) | instid1(VALU_DEP_1)
	v_mul_hi_u32 v5, s52, v3
	v_add_nc_u32_e32 v5, v3, v5
	s_delay_alu instid0(VALU_DEP_1) | instskip(SKIP_1) | instid1(VALU_DEP_1)
	v_lshrrev_b32_e32 v5, s53, v5
	s_wait_loadcnt 0x0
	v_mul_hi_u32 v6, s55, v5
	s_delay_alu instid0(VALU_DEP_1) | instskip(SKIP_1) | instid1(VALU_DEP_1)
	v_add_nc_u32_e32 v6, v5, v6
	v_mul_lo_u32 v7, v3, s48
	v_sub_nc_u32_e32 v1, v1, v7
	v_mul_lo_u32 v7, v5, s51
	s_delay_alu instid0(VALU_DEP_4) | instskip(NEXT) | instid1(VALU_DEP_3)
	v_lshrrev_b32_e32 v6, s64, v6
	v_mad_u32 v0, v1, s57, v0
	v_mad_u32 v1, v1, s56, v2
	s_delay_alu instid0(VALU_DEP_4) | instskip(NEXT) | instid1(VALU_DEP_4)
	v_sub_nc_u32_e32 v2, v3, v7
	v_mul_hi_u32 v8, s66, v6
	v_mul_lo_u32 v3, v6, s54
	s_delay_alu instid0(VALU_DEP_3) | instskip(SKIP_1) | instid1(VALU_DEP_3)
	v_mad_u32 v0, v2, s59, v0
	v_mad_u32 v2, v2, s58, v1
	v_dual_add_nc_u32 v7, v6, v8 :: v_dual_sub_nc_u32 v3, v5, v3
	s_delay_alu instid0(VALU_DEP_1) | instskip(NEXT) | instid1(VALU_DEP_2)
	v_lshrrev_b32_e32 v1, s67, v7
	v_mad_u32 v0, v3, s61, v0
	s_delay_alu instid0(VALU_DEP_4) | instskip(NEXT) | instid1(VALU_DEP_3)
	v_mad_u32 v2, v3, s60, v2
	v_mul_lo_u32 v5, v1, s65
	s_delay_alu instid0(VALU_DEP_1) | instskip(NEXT) | instid1(VALU_DEP_1)
	v_sub_nc_u32_e32 v3, v6, v5
	v_mad_u32 v0, v3, s63, v0
	s_delay_alu instid0(VALU_DEP_4)
	v_mad_u32 v2, v3, s62, v2
	s_cbranch_scc0 .LBB9_568
; %bb.569:
	s_delay_alu instid0(VALU_DEP_2)
	v_mov_b32_e32 v3, v0
	s_branch .LBB9_573
.LBB9_570:
	s_mov_b32 s0, -1
                                        ; implicit-def: $vgpr0
                                        ; implicit-def: $vgpr2
	s_branch .LBB9_578
.LBB9_571:
	v_dual_mov_b32 v0, 0 :: v_dual_mov_b32 v2, 0
	s_branch .LBB9_577
.LBB9_572:
	v_mov_b64_e32 v[2:3], 0
	v_mov_b32_e32 v1, v4
                                        ; implicit-def: $vgpr0
.LBB9_573:
	s_and_b32 s0, s0, 3
	s_mov_b32 s23, 0
	s_cmp_eq_u32 s0, 0
	s_cbranch_scc1 .LBB9_577
; %bb.574:
	s_lshl_b32 s24, s22, 3
	s_mov_b32 s25, s23
	s_mul_u64 s[26:27], s[22:23], 12
	s_add_nc_u64 s[24:25], s[2:3], s[24:25]
	s_delay_alu instid0(SALU_CYCLE_1)
	s_add_nc_u64 s[22:23], s[24:25], 0xc4
	s_add_nc_u64 s[24:25], s[2:3], s[26:27]
.LBB9_575:                              ; =>This Inner Loop Header: Depth=1
	s_load_b96 s[48:50], s[24:25], 0x4
	s_load_b64 s[26:27], s[22:23], 0x0
	s_add_co_i32 s0, s0, -1
	s_wait_xcnt 0x0
	s_add_nc_u64 s[24:25], s[24:25], 12
	s_cmp_lg_u32 s0, 0
	s_add_nc_u64 s[22:23], s[22:23], 8
	s_wait_kmcnt 0x0
	v_mul_hi_u32 v0, s49, v1
	s_delay_alu instid0(VALU_DEP_1) | instskip(NEXT) | instid1(VALU_DEP_1)
	v_add_nc_u32_e32 v0, v1, v0
	v_lshrrev_b32_e32 v0, s50, v0
	s_delay_alu instid0(VALU_DEP_1) | instskip(NEXT) | instid1(VALU_DEP_1)
	v_mul_lo_u32 v5, v0, s48
	v_sub_nc_u32_e32 v1, v1, v5
	s_delay_alu instid0(VALU_DEP_1)
	v_mad_u32 v3, v1, s27, v3
	v_mad_u32 v2, v1, s26, v2
	v_mov_b32_e32 v1, v0
	s_cbranch_scc1 .LBB9_575
; %bb.576:
	s_delay_alu instid0(VALU_DEP_3)
	v_mov_b32_e32 v0, v3
.LBB9_577:
	s_mov_b32 s0, 0
.LBB9_578:
	s_delay_alu instid0(SALU_CYCLE_1)
	s_and_not1_b32 vcc_lo, exec_lo, s0
	s_cbranch_vccnz .LBB9_581
; %bb.579:
	v_mov_b32_e32 v5, 0
	s_and_not1_b32 vcc_lo, exec_lo, s35
	s_delay_alu instid0(VALU_DEP_1) | instskip(NEXT) | instid1(VALU_DEP_1)
	v_mul_u64_e32 v[0:1], s[16:17], v[4:5]
	v_add_nc_u32_e32 v0, v4, v1
	s_wait_loadcnt 0x0
	s_delay_alu instid0(VALU_DEP_1) | instskip(NEXT) | instid1(VALU_DEP_1)
	v_lshrrev_b32_e32 v6, s14, v0
	v_mul_lo_u32 v0, v6, s12
	s_delay_alu instid0(VALU_DEP_1) | instskip(NEXT) | instid1(VALU_DEP_1)
	v_sub_nc_u32_e32 v1, v4, v0
	v_mul_lo_u32 v0, v1, s9
	v_mul_lo_u32 v2, v1, s8
	s_cbranch_vccnz .LBB9_581
; %bb.580:
	v_mov_b32_e32 v7, v5
	s_delay_alu instid0(VALU_DEP_1) | instskip(NEXT) | instid1(VALU_DEP_1)
	v_mul_u64_e32 v[8:9], s[18:19], v[6:7]
	v_add_nc_u32_e32 v1, v6, v9
	s_delay_alu instid0(VALU_DEP_1) | instskip(NEXT) | instid1(VALU_DEP_1)
	v_lshrrev_b32_e32 v1, s1, v1
	v_mul_lo_u32 v1, v1, s15
	s_delay_alu instid0(VALU_DEP_1) | instskip(NEXT) | instid1(VALU_DEP_1)
	v_sub_nc_u32_e32 v1, v6, v1
	v_mad_u32 v2, v1, s10, v2
	v_mad_u32 v0, v1, s11, v0
.LBB9_581:
	v_mov_b32_e32 v1, 0
	s_and_b32 s0, 0xffff, s13
	s_delay_alu instid0(SALU_CYCLE_1) | instskip(NEXT) | instid1(VALU_DEP_1)
	s_cmp_lt_i32 s0, 11
	v_add_nc_u64_e32 v[0:1], s[6:7], v[0:1]
	s_cbranch_scc1 .LBB9_588
; %bb.582:
	s_cmp_gt_i32 s0, 25
	s_cbranch_scc0 .LBB9_589
; %bb.583:
	s_cmp_gt_i32 s0, 28
	s_cbranch_scc0 .LBB9_590
	;; [unrolled: 3-line block ×4, first 2 shown]
; %bb.586:
	s_cmp_eq_u32 s0, 46
	s_mov_b32 s24, 0
	s_cbranch_scc0 .LBB9_597
; %bb.587:
	global_load_b32 v3, v[0:1], off
	s_mov_b32 s23, -1
	s_mov_b32 s22, 0
	s_wait_loadcnt 0x0
	v_lshlrev_b32_e32 v3, 16, v3
	s_delay_alu instid0(VALU_DEP_1)
	v_cvt_f64_f32_e32 v[6:7], v3
	s_branch .LBB9_599
.LBB9_588:
	s_mov_b32 s24, -1
	s_mov_b32 s23, 0
	s_mov_b32 s22, s42
                                        ; implicit-def: $vgpr6_vgpr7
	s_branch .LBB9_664
.LBB9_589:
	s_mov_b32 s24, -1
	s_mov_b32 s23, 0
	s_mov_b32 s22, s42
                                        ; implicit-def: $vgpr6_vgpr7
	s_branch .LBB9_628
.LBB9_590:
	s_mov_b32 s24, -1
	s_mov_b32 s23, 0
	s_mov_b32 s22, s42
                                        ; implicit-def: $vgpr6_vgpr7
	s_branch .LBB9_609
.LBB9_591:
	s_mov_b32 s24, -1
	s_mov_b32 s23, 0
	s_mov_b32 s22, s42
                                        ; implicit-def: $vgpr6_vgpr7
	s_branch .LBB9_604
.LBB9_592:
	s_and_not1_saveexec_b32 s27, s27
	s_cbranch_execz .LBB9_359
.LBB9_593:
	v_add_f32_e64 v3, 0x46000000, |v2|
	s_and_not1_b32 s26, s26, exec_lo
	s_delay_alu instid0(VALU_DEP_1) | instskip(NEXT) | instid1(VALU_DEP_1)
	v_and_b32_e32 v3, 0xff, v3
	v_cmp_ne_u32_e32 vcc_lo, 0, v3
	s_and_b32 s42, vcc_lo, exec_lo
	s_delay_alu instid0(SALU_CYCLE_1)
	s_or_b32 s26, s26, s42
	s_or_b32 exec_lo, exec_lo, s27
	v_mov_b32_e32 v5, 0
	s_and_saveexec_b32 s27, s26
	s_cbranch_execnz .LBB9_360
	s_branch .LBB9_361
.LBB9_594:
	s_mov_b32 s24, -1
	s_mov_b32 s23, 0
	s_mov_b32 s22, s42
	s_branch .LBB9_598
.LBB9_595:
	s_and_not1_saveexec_b32 s27, s27
	s_cbranch_execz .LBB9_372
.LBB9_596:
	v_add_f32_e64 v3, 0x42800000, |v2|
	s_and_not1_b32 s26, s26, exec_lo
	s_delay_alu instid0(VALU_DEP_1) | instskip(NEXT) | instid1(VALU_DEP_1)
	v_and_b32_e32 v3, 0xff, v3
	v_cmp_ne_u32_e32 vcc_lo, 0, v3
	s_and_b32 s42, vcc_lo, exec_lo
	s_delay_alu instid0(SALU_CYCLE_1)
	s_or_b32 s26, s26, s42
	s_or_b32 exec_lo, exec_lo, s27
	v_mov_b32_e32 v5, 0
	s_and_saveexec_b32 s27, s26
	s_cbranch_execnz .LBB9_373
	s_branch .LBB9_374
.LBB9_597:
	s_mov_b32 s22, -1
	s_mov_b32 s23, 0
.LBB9_598:
                                        ; implicit-def: $vgpr6_vgpr7
.LBB9_599:
	s_and_b32 vcc_lo, exec_lo, s24
	s_cbranch_vccz .LBB9_603
; %bb.600:
	s_cmp_eq_u32 s0, 44
	s_cbranch_scc0 .LBB9_602
; %bb.601:
	global_load_u8 v3, v[0:1], off
	s_mov_b32 s22, 0
	s_mov_b32 s23, -1
	s_wait_loadcnt 0x0
	v_lshlrev_b32_e32 v5, 23, v3
	v_cmp_ne_u32_e32 vcc_lo, 0xff, v3
	s_delay_alu instid0(VALU_DEP_2) | instskip(NEXT) | instid1(VALU_DEP_1)
	v_cvt_f64_f32_e32 v[6:7], v5
	v_cndmask_b32_e32 v5, 0x20000000, v6, vcc_lo
	s_delay_alu instid0(VALU_DEP_2) | instskip(SKIP_1) | instid1(VALU_DEP_2)
	v_cndmask_b32_e32 v6, 0x7ff80000, v7, vcc_lo
	v_cmp_ne_u32_e32 vcc_lo, 0, v3
	v_cndmask_b32_e32 v7, 0x38000000, v6, vcc_lo
	s_delay_alu instid0(VALU_DEP_4)
	v_cndmask_b32_e32 v6, 0, v5, vcc_lo
	s_branch .LBB9_603
.LBB9_602:
	s_mov_b32 s22, -1
                                        ; implicit-def: $vgpr6_vgpr7
.LBB9_603:
	s_mov_b32 s24, 0
.LBB9_604:
	s_delay_alu instid0(SALU_CYCLE_1)
	s_and_b32 vcc_lo, exec_lo, s24
	s_cbranch_vccz .LBB9_608
; %bb.605:
	s_cmp_eq_u32 s0, 29
	s_cbranch_scc0 .LBB9_607
; %bb.606:
	s_wait_loadcnt 0x0
	global_load_b64 v[6:7], v[0:1], off
	s_mov_b32 s23, -1
	s_mov_b32 s22, 0
	s_mov_b32 s24, 0
	s_wait_loadcnt 0x0
	v_cvt_f64_u32_e32 v[8:9], v7
	v_cvt_f64_u32_e32 v[6:7], v6
	s_delay_alu instid0(VALU_DEP_2) | instskip(NEXT) | instid1(VALU_DEP_1)
	v_ldexp_f64 v[8:9], v[8:9], 32
	v_add_f64_e32 v[6:7], v[8:9], v[6:7]
	s_branch .LBB9_609
.LBB9_607:
	s_mov_b32 s22, -1
                                        ; implicit-def: $vgpr6_vgpr7
.LBB9_608:
	s_mov_b32 s24, 0
.LBB9_609:
	s_delay_alu instid0(SALU_CYCLE_1)
	s_and_b32 vcc_lo, exec_lo, s24
	s_cbranch_vccz .LBB9_627
; %bb.610:
	s_cmp_lt_i32 s0, 27
	s_cbranch_scc1 .LBB9_613
; %bb.611:
	s_cmp_gt_i32 s0, 27
	s_cbranch_scc0 .LBB9_614
; %bb.612:
	global_load_b32 v3, v[0:1], off
	s_mov_b32 s23, 0
	s_wait_loadcnt 0x0
	v_cvt_f64_u32_e32 v[6:7], v3
	s_branch .LBB9_615
.LBB9_613:
	s_mov_b32 s23, -1
                                        ; implicit-def: $vgpr6_vgpr7
	s_branch .LBB9_618
.LBB9_614:
	s_mov_b32 s23, -1
                                        ; implicit-def: $vgpr6_vgpr7
.LBB9_615:
	s_delay_alu instid0(SALU_CYCLE_1)
	s_and_not1_b32 vcc_lo, exec_lo, s23
	s_cbranch_vccnz .LBB9_617
; %bb.616:
	global_load_u16 v3, v[0:1], off
	s_wait_loadcnt 0x0
	v_cvt_f64_u32_e32 v[6:7], v3
.LBB9_617:
	s_mov_b32 s23, 0
.LBB9_618:
	s_delay_alu instid0(SALU_CYCLE_1)
	s_and_not1_b32 vcc_lo, exec_lo, s23
	s_cbranch_vccnz .LBB9_626
; %bb.619:
	global_load_u8 v3, v[0:1], off
	s_mov_b32 s23, 0
	s_mov_b32 s24, exec_lo
	s_wait_loadcnt 0x0
	v_cmpx_lt_i16_e32 0x7f, v3
	s_xor_b32 s24, exec_lo, s24
	s_cbranch_execz .LBB9_640
; %bb.620:
	s_mov_b32 s23, -1
	s_mov_b32 s25, exec_lo
	v_cmpx_eq_u16_e32 0x80, v3
; %bb.621:
	s_xor_b32 s23, exec_lo, -1
; %bb.622:
	s_or_b32 exec_lo, exec_lo, s25
	s_delay_alu instid0(SALU_CYCLE_1)
	s_and_b32 s23, s23, exec_lo
	s_or_saveexec_b32 s24, s24
	v_mov_b64_e32 v[6:7], 0x7ff8000020000000
	s_xor_b32 exec_lo, exec_lo, s24
	s_cbranch_execnz .LBB9_641
.LBB9_623:
	s_or_b32 exec_lo, exec_lo, s24
	s_and_saveexec_b32 s24, s23
	s_cbranch_execz .LBB9_625
.LBB9_624:
	v_and_b32_e32 v5, 0xffff, v3
	s_delay_alu instid0(VALU_DEP_1) | instskip(SKIP_1) | instid1(VALU_DEP_2)
	v_and_b32_e32 v6, 7, v5
	v_bfe_u32 v9, v5, 3, 4
	v_clz_i32_u32_e32 v7, v6
	s_delay_alu instid0(VALU_DEP_2) | instskip(NEXT) | instid1(VALU_DEP_2)
	v_cmp_eq_u32_e32 vcc_lo, 0, v9
	v_min_u32_e32 v7, 32, v7
	s_delay_alu instid0(VALU_DEP_1) | instskip(NEXT) | instid1(VALU_DEP_1)
	v_subrev_nc_u32_e32 v8, 28, v7
	v_dual_lshlrev_b32 v5, v8, v5 :: v_dual_sub_nc_u32 v7, 29, v7
	s_delay_alu instid0(VALU_DEP_1) | instskip(NEXT) | instid1(VALU_DEP_1)
	v_dual_lshlrev_b32 v3, 24, v3 :: v_dual_bitop2_b32 v5, 7, v5 bitop3:0x40
	v_dual_cndmask_b32 v5, v6, v5, vcc_lo :: v_dual_cndmask_b32 v7, v9, v7, vcc_lo
	s_delay_alu instid0(VALU_DEP_2) | instskip(NEXT) | instid1(VALU_DEP_2)
	v_and_b32_e32 v3, 0x80000000, v3
	v_lshlrev_b32_e32 v5, 20, v5
	s_delay_alu instid0(VALU_DEP_3) | instskip(NEXT) | instid1(VALU_DEP_1)
	v_lshl_add_u32 v6, v7, 23, 0x3b800000
	v_or3_b32 v3, v3, v6, v5
	s_delay_alu instid0(VALU_DEP_1)
	v_cvt_f64_f32_e32 v[6:7], v3
.LBB9_625:
	s_or_b32 exec_lo, exec_lo, s24
.LBB9_626:
	s_mov_b32 s23, -1
.LBB9_627:
	s_mov_b32 s24, 0
.LBB9_628:
	s_delay_alu instid0(SALU_CYCLE_1)
	s_and_b32 vcc_lo, exec_lo, s24
	s_cbranch_vccz .LBB9_663
; %bb.629:
	s_cmp_gt_i32 s0, 22
	s_cbranch_scc0 .LBB9_639
; %bb.630:
	s_cmp_lt_i32 s0, 24
	s_cbranch_scc1 .LBB9_642
; %bb.631:
	s_cmp_gt_i32 s0, 24
	s_cbranch_scc0 .LBB9_643
; %bb.632:
	global_load_u8 v3, v[0:1], off
	s_mov_b32 s23, 0
	s_mov_b32 s24, exec_lo
	s_wait_loadcnt 0x0
	v_cmpx_lt_i16_e32 0x7f, v3
	s_xor_b32 s24, exec_lo, s24
	s_cbranch_execz .LBB9_655
; %bb.633:
	s_mov_b32 s23, -1
	s_mov_b32 s25, exec_lo
	v_cmpx_eq_u16_e32 0x80, v3
; %bb.634:
	s_xor_b32 s23, exec_lo, -1
; %bb.635:
	s_or_b32 exec_lo, exec_lo, s25
	s_delay_alu instid0(SALU_CYCLE_1)
	s_and_b32 s23, s23, exec_lo
	s_or_saveexec_b32 s24, s24
	v_mov_b64_e32 v[6:7], 0x7ff8000020000000
	s_xor_b32 exec_lo, exec_lo, s24
	s_cbranch_execnz .LBB9_656
.LBB9_636:
	s_or_b32 exec_lo, exec_lo, s24
	s_and_saveexec_b32 s24, s23
	s_cbranch_execz .LBB9_638
.LBB9_637:
	v_and_b32_e32 v5, 0xffff, v3
	s_delay_alu instid0(VALU_DEP_1) | instskip(SKIP_1) | instid1(VALU_DEP_2)
	v_and_b32_e32 v6, 3, v5
	v_bfe_u32 v9, v5, 2, 5
	v_clz_i32_u32_e32 v7, v6
	s_delay_alu instid0(VALU_DEP_2) | instskip(NEXT) | instid1(VALU_DEP_2)
	v_cmp_eq_u32_e32 vcc_lo, 0, v9
	v_min_u32_e32 v7, 32, v7
	s_delay_alu instid0(VALU_DEP_1) | instskip(NEXT) | instid1(VALU_DEP_1)
	v_subrev_nc_u32_e32 v8, 29, v7
	v_dual_lshlrev_b32 v5, v8, v5 :: v_dual_sub_nc_u32 v7, 30, v7
	s_delay_alu instid0(VALU_DEP_1) | instskip(NEXT) | instid1(VALU_DEP_1)
	v_dual_lshlrev_b32 v3, 24, v3 :: v_dual_bitop2_b32 v5, 3, v5 bitop3:0x40
	v_dual_cndmask_b32 v5, v6, v5, vcc_lo :: v_dual_cndmask_b32 v7, v9, v7, vcc_lo
	s_delay_alu instid0(VALU_DEP_2) | instskip(NEXT) | instid1(VALU_DEP_2)
	v_and_b32_e32 v3, 0x80000000, v3
	v_lshlrev_b32_e32 v5, 21, v5
	s_delay_alu instid0(VALU_DEP_3) | instskip(NEXT) | instid1(VALU_DEP_1)
	v_lshl_add_u32 v6, v7, 23, 0x37800000
	v_or3_b32 v3, v3, v6, v5
	s_delay_alu instid0(VALU_DEP_1)
	v_cvt_f64_f32_e32 v[6:7], v3
.LBB9_638:
	s_or_b32 exec_lo, exec_lo, s24
	s_mov_b32 s23, 0
	s_branch .LBB9_644
.LBB9_639:
	s_mov_b32 s24, -1
                                        ; implicit-def: $vgpr6_vgpr7
	s_branch .LBB9_650
.LBB9_640:
	s_or_saveexec_b32 s24, s24
	v_mov_b64_e32 v[6:7], 0x7ff8000020000000
	s_xor_b32 exec_lo, exec_lo, s24
	s_cbranch_execz .LBB9_623
.LBB9_641:
	v_cmp_ne_u16_e32 vcc_lo, 0, v3
	v_mov_b64_e32 v[6:7], 0
	s_and_not1_b32 s23, s23, exec_lo
	s_and_b32 s25, vcc_lo, exec_lo
	s_delay_alu instid0(SALU_CYCLE_1)
	s_or_b32 s23, s23, s25
	s_or_b32 exec_lo, exec_lo, s24
	s_and_saveexec_b32 s24, s23
	s_cbranch_execnz .LBB9_624
	s_branch .LBB9_625
.LBB9_642:
	s_mov_b32 s23, -1
                                        ; implicit-def: $vgpr6_vgpr7
	s_branch .LBB9_647
.LBB9_643:
	s_mov_b32 s23, -1
                                        ; implicit-def: $vgpr6_vgpr7
.LBB9_644:
	s_delay_alu instid0(SALU_CYCLE_1)
	s_and_b32 vcc_lo, exec_lo, s23
	s_cbranch_vccz .LBB9_646
; %bb.645:
	global_load_u8 v3, v[0:1], off
	s_wait_loadcnt 0x0
	v_lshlrev_b32_e32 v3, 24, v3
	s_delay_alu instid0(VALU_DEP_1) | instskip(NEXT) | instid1(VALU_DEP_1)
	v_and_b32_e32 v5, 0x7f000000, v3
	v_clz_i32_u32_e32 v6, v5
	v_cmp_ne_u32_e32 vcc_lo, 0, v5
	v_add_nc_u32_e32 v8, 0x1000000, v5
	s_delay_alu instid0(VALU_DEP_3) | instskip(NEXT) | instid1(VALU_DEP_1)
	v_min_u32_e32 v6, 32, v6
	v_sub_nc_u32_e64 v6, v6, 4 clamp
	s_delay_alu instid0(VALU_DEP_1) | instskip(NEXT) | instid1(VALU_DEP_1)
	v_dual_lshlrev_b32 v7, v6, v5 :: v_dual_lshlrev_b32 v6, 23, v6
	v_lshrrev_b32_e32 v7, 4, v7
	s_delay_alu instid0(VALU_DEP_1) | instskip(NEXT) | instid1(VALU_DEP_1)
	v_dual_sub_nc_u32 v6, v7, v6 :: v_dual_ashrrev_i32 v7, 8, v8
	v_add_nc_u32_e32 v6, 0x3c000000, v6
	s_delay_alu instid0(VALU_DEP_1) | instskip(NEXT) | instid1(VALU_DEP_1)
	v_and_or_b32 v6, 0x7f800000, v7, v6
	v_cndmask_b32_e32 v5, 0, v6, vcc_lo
	s_delay_alu instid0(VALU_DEP_1) | instskip(NEXT) | instid1(VALU_DEP_1)
	v_and_or_b32 v3, 0x80000000, v3, v5
	v_cvt_f64_f32_e32 v[6:7], v3
.LBB9_646:
	s_mov_b32 s23, 0
.LBB9_647:
	s_delay_alu instid0(SALU_CYCLE_1)
	s_and_not1_b32 vcc_lo, exec_lo, s23
	s_cbranch_vccnz .LBB9_649
; %bb.648:
	global_load_u8 v3, v[0:1], off
	s_wait_loadcnt 0x0
	v_lshlrev_b32_e32 v5, 25, v3
	v_lshlrev_b16 v3, 8, v3
	s_delay_alu instid0(VALU_DEP_1) | instskip(NEXT) | instid1(VALU_DEP_3)
	v_and_or_b32 v7, 0x7f00, v3, 0.5
	v_lshrrev_b32_e32 v6, 4, v5
	v_bfe_i32 v3, v3, 0, 16
	s_delay_alu instid0(VALU_DEP_3) | instskip(NEXT) | instid1(VALU_DEP_3)
	v_add_f32_e32 v7, -0.5, v7
	v_or_b32_e32 v6, 0x70000000, v6
	s_delay_alu instid0(VALU_DEP_1) | instskip(SKIP_1) | instid1(VALU_DEP_2)
	v_mul_f32_e32 v6, 0x7800000, v6
	v_cmp_gt_u32_e32 vcc_lo, 0x8000000, v5
	v_cndmask_b32_e32 v5, v6, v7, vcc_lo
	s_delay_alu instid0(VALU_DEP_1) | instskip(NEXT) | instid1(VALU_DEP_1)
	v_and_or_b32 v3, 0x80000000, v3, v5
	v_cvt_f64_f32_e32 v[6:7], v3
.LBB9_649:
	s_mov_b32 s24, 0
	s_mov_b32 s23, -1
.LBB9_650:
	s_and_not1_b32 vcc_lo, exec_lo, s24
	s_cbranch_vccnz .LBB9_663
; %bb.651:
	s_cmp_gt_i32 s0, 14
	s_cbranch_scc0 .LBB9_654
; %bb.652:
	s_cmp_eq_u32 s0, 15
	s_cbranch_scc0 .LBB9_657
; %bb.653:
	global_load_u16 v3, v[0:1], off
	s_mov_b32 s23, -1
	s_mov_b32 s22, 0
	s_wait_loadcnt 0x0
	v_lshlrev_b32_e32 v3, 16, v3
	s_delay_alu instid0(VALU_DEP_1)
	v_cvt_f64_f32_e32 v[6:7], v3
	s_branch .LBB9_658
.LBB9_654:
	s_mov_b32 s24, -1
                                        ; implicit-def: $vgpr6_vgpr7
	s_branch .LBB9_659
.LBB9_655:
	s_or_saveexec_b32 s24, s24
	v_mov_b64_e32 v[6:7], 0x7ff8000020000000
	s_xor_b32 exec_lo, exec_lo, s24
	s_cbranch_execz .LBB9_636
.LBB9_656:
	v_cmp_ne_u16_e32 vcc_lo, 0, v3
	v_mov_b64_e32 v[6:7], 0
	s_and_not1_b32 s23, s23, exec_lo
	s_and_b32 s25, vcc_lo, exec_lo
	s_delay_alu instid0(SALU_CYCLE_1)
	s_or_b32 s23, s23, s25
	s_or_b32 exec_lo, exec_lo, s24
	s_and_saveexec_b32 s24, s23
	s_cbranch_execnz .LBB9_637
	s_branch .LBB9_638
.LBB9_657:
	s_mov_b32 s22, -1
                                        ; implicit-def: $vgpr6_vgpr7
.LBB9_658:
	s_mov_b32 s24, 0
.LBB9_659:
	s_delay_alu instid0(SALU_CYCLE_1)
	s_and_b32 vcc_lo, exec_lo, s24
	s_cbranch_vccz .LBB9_663
; %bb.660:
	s_cmp_eq_u32 s0, 11
	s_cbranch_scc0 .LBB9_662
; %bb.661:
	global_load_u8 v3, v[0:1], off
	s_wait_loadcnt 0x1
	v_mov_b32_e32 v6, 0
	s_mov_b32 s22, 0
	s_mov_b32 s23, -1
	s_wait_loadcnt 0x0
	v_cmp_ne_u16_e32 vcc_lo, 0, v3
	v_cndmask_b32_e64 v7, 0, 0x3ff00000, vcc_lo
	s_branch .LBB9_663
.LBB9_662:
	s_mov_b32 s22, -1
                                        ; implicit-def: $vgpr6_vgpr7
.LBB9_663:
	s_mov_b32 s24, 0
.LBB9_664:
	s_delay_alu instid0(SALU_CYCLE_1)
	s_and_b32 vcc_lo, exec_lo, s24
	s_cbranch_vccz .LBB9_713
; %bb.665:
	s_cmp_lt_i32 s0, 5
	s_cbranch_scc1 .LBB9_670
; %bb.666:
	s_cmp_lt_i32 s0, 8
	s_cbranch_scc1 .LBB9_671
	;; [unrolled: 3-line block ×3, first 2 shown]
; %bb.668:
	s_cmp_gt_i32 s0, 9
	s_cbranch_scc0 .LBB9_673
; %bb.669:
	s_wait_loadcnt 0x0
	global_load_b64 v[6:7], v[0:1], off
	s_mov_b32 s23, 0
	s_branch .LBB9_674
.LBB9_670:
	s_mov_b32 s23, -1
                                        ; implicit-def: $vgpr6_vgpr7
	s_branch .LBB9_692
.LBB9_671:
	s_mov_b32 s23, -1
                                        ; implicit-def: $vgpr6_vgpr7
	s_branch .LBB9_680
.LBB9_672:
	s_mov_b32 s23, -1
                                        ; implicit-def: $vgpr6_vgpr7
	s_branch .LBB9_677
.LBB9_673:
	s_mov_b32 s23, -1
                                        ; implicit-def: $vgpr6_vgpr7
.LBB9_674:
	s_delay_alu instid0(SALU_CYCLE_1)
	s_and_not1_b32 vcc_lo, exec_lo, s23
	s_cbranch_vccnz .LBB9_676
; %bb.675:
	global_load_b32 v3, v[0:1], off
	s_wait_loadcnt 0x0
	v_cvt_f64_f32_e32 v[6:7], v3
.LBB9_676:
	s_mov_b32 s23, 0
.LBB9_677:
	s_delay_alu instid0(SALU_CYCLE_1)
	s_and_not1_b32 vcc_lo, exec_lo, s23
	s_cbranch_vccnz .LBB9_679
; %bb.678:
	global_load_b32 v3, v[0:1], off
	s_wait_loadcnt 0x0
	v_cvt_f32_f16_e32 v3, v3
	s_delay_alu instid0(VALU_DEP_1)
	v_cvt_f64_f32_e32 v[6:7], v3
.LBB9_679:
	s_mov_b32 s23, 0
.LBB9_680:
	s_delay_alu instid0(SALU_CYCLE_1)
	s_and_not1_b32 vcc_lo, exec_lo, s23
	s_cbranch_vccnz .LBB9_691
; %bb.681:
	s_cmp_lt_i32 s0, 6
	s_cbranch_scc1 .LBB9_684
; %bb.682:
	s_cmp_gt_i32 s0, 6
	s_cbranch_scc0 .LBB9_685
; %bb.683:
	s_wait_loadcnt 0x0
	global_load_b64 v[6:7], v[0:1], off
	s_mov_b32 s23, 0
	s_branch .LBB9_686
.LBB9_684:
	s_mov_b32 s23, -1
                                        ; implicit-def: $vgpr6_vgpr7
	s_branch .LBB9_689
.LBB9_685:
	s_mov_b32 s23, -1
                                        ; implicit-def: $vgpr6_vgpr7
.LBB9_686:
	s_delay_alu instid0(SALU_CYCLE_1)
	s_and_not1_b32 vcc_lo, exec_lo, s23
	s_cbranch_vccnz .LBB9_688
; %bb.687:
	global_load_b32 v3, v[0:1], off
	s_wait_loadcnt 0x0
	v_cvt_f64_f32_e32 v[6:7], v3
.LBB9_688:
	s_mov_b32 s23, 0
.LBB9_689:
	s_delay_alu instid0(SALU_CYCLE_1)
	s_and_not1_b32 vcc_lo, exec_lo, s23
	s_cbranch_vccnz .LBB9_691
; %bb.690:
	global_load_u16 v3, v[0:1], off
	s_wait_loadcnt 0x0
	v_cvt_f32_f16_e32 v3, v3
	s_delay_alu instid0(VALU_DEP_1)
	v_cvt_f64_f32_e32 v[6:7], v3
.LBB9_691:
	s_mov_b32 s23, 0
.LBB9_692:
	s_delay_alu instid0(SALU_CYCLE_1)
	s_and_not1_b32 vcc_lo, exec_lo, s23
	s_cbranch_vccnz .LBB9_712
; %bb.693:
	s_cmp_lt_i32 s0, 2
	s_cbranch_scc1 .LBB9_697
; %bb.694:
	s_cmp_lt_i32 s0, 3
	s_cbranch_scc1 .LBB9_698
; %bb.695:
	s_cmp_gt_i32 s0, 3
	s_cbranch_scc0 .LBB9_699
; %bb.696:
	s_wait_loadcnt 0x0
	global_load_b64 v[6:7], v[0:1], off
	s_mov_b32 s23, 0
	s_wait_loadcnt 0x0
	v_cvt_f64_i32_e32 v[8:9], v7
	v_cvt_f64_u32_e32 v[6:7], v6
	s_delay_alu instid0(VALU_DEP_2) | instskip(NEXT) | instid1(VALU_DEP_1)
	v_ldexp_f64 v[8:9], v[8:9], 32
	v_add_f64_e32 v[6:7], v[8:9], v[6:7]
	s_branch .LBB9_700
.LBB9_697:
	s_mov_b32 s23, -1
                                        ; implicit-def: $vgpr6_vgpr7
	s_branch .LBB9_706
.LBB9_698:
	s_mov_b32 s23, -1
                                        ; implicit-def: $vgpr6_vgpr7
	s_branch .LBB9_703
.LBB9_699:
	s_mov_b32 s23, -1
                                        ; implicit-def: $vgpr6_vgpr7
.LBB9_700:
	s_delay_alu instid0(SALU_CYCLE_1)
	s_and_not1_b32 vcc_lo, exec_lo, s23
	s_cbranch_vccnz .LBB9_702
; %bb.701:
	global_load_b32 v3, v[0:1], off
	s_wait_loadcnt 0x0
	v_cvt_f64_i32_e32 v[6:7], v3
.LBB9_702:
	s_mov_b32 s23, 0
.LBB9_703:
	s_delay_alu instid0(SALU_CYCLE_1)
	s_and_not1_b32 vcc_lo, exec_lo, s23
	s_cbranch_vccnz .LBB9_705
; %bb.704:
	global_load_i16 v3, v[0:1], off
	s_wait_loadcnt 0x0
	v_cvt_f64_i32_e32 v[6:7], v3
.LBB9_705:
	s_mov_b32 s23, 0
.LBB9_706:
	s_delay_alu instid0(SALU_CYCLE_1)
	s_and_not1_b32 vcc_lo, exec_lo, s23
	s_cbranch_vccnz .LBB9_712
; %bb.707:
	s_cmp_gt_i32 s0, 0
	s_mov_b32 s0, 0
	s_cbranch_scc0 .LBB9_709
; %bb.708:
	global_load_i8 v3, v[0:1], off
	s_wait_loadcnt 0x0
	v_cvt_f64_i32_e32 v[6:7], v3
	s_branch .LBB9_710
.LBB9_709:
	s_mov_b32 s0, -1
                                        ; implicit-def: $vgpr6_vgpr7
.LBB9_710:
	s_delay_alu instid0(SALU_CYCLE_1)
	s_and_not1_b32 vcc_lo, exec_lo, s0
	s_cbranch_vccnz .LBB9_712
; %bb.711:
	global_load_u8 v0, v[0:1], off
	s_wait_loadcnt 0x0
	v_cvt_f64_u32_e32 v[6:7], v0
.LBB9_712:
	s_mov_b32 s23, -1
.LBB9_713:
	s_delay_alu instid0(SALU_CYCLE_1)
	s_and_not1_b32 vcc_lo, exec_lo, s23
	s_cbranch_vccnz .LBB9_729
; %bb.714:
	s_wait_xcnt 0x0
	v_mov_b64_e32 v[0:1], 0x7ff0000000000000
	s_mov_b32 s23, exec_lo
	s_wait_loadcnt 0x0
	s_delay_alu instid0(VALU_DEP_2)
	v_cmpx_neq_f64_e32 0, v[6:7]
	s_cbranch_execz .LBB9_722
; %bb.715:
	v_mov_b64_e32 v[0:1], 0x7ff8000000000000
	s_mov_b32 s24, exec_lo
	v_cmpx_ngt_f64_e32 0, v[6:7]
	s_cbranch_execz .LBB9_721
; %bb.716:
                                        ; implicit-def: $vgpr0_vgpr1
	s_mov_b32 s0, exec_lo
	v_cmpx_ge_f64_e32 2.0, v[6:7]
	s_xor_b32 s25, exec_lo, s0
	s_cbranch_execz .LBB9_718
; %bb.717:
	v_fma_f64 v[0:1], v[6:7], 0.5, -2.0
	s_mov_b64 s[26:27], 0xbc545cb72134d0ef
	v_mul_f64_e32 v[12:13], 0.5, v[6:7]
	s_delay_alu instid0(VALU_DEP_2) | instskip(SKIP_1) | instid1(VALU_DEP_2)
	v_fmaak_f64 v[8:9], s[26:27], v[0:1], 0x3c833362977da589
	s_mov_b64 s[26:27], 0x3fe5555555555555
	v_frexp_mant_f64_e32 v[14:15], v[12:13]
	v_cmp_neq_f64_e64 s0, 0, v[12:13]
	s_delay_alu instid0(VALU_DEP_3) | instskip(NEXT) | instid1(VALU_DEP_1)
	v_fmaak_f64 v[10:11], v[0:1], v[8:9], 0x3c545cb72134d0ef
	v_add_f64_e32 v[10:11], 0xbcb184eb721ebbb4, v[10:11]
	s_delay_alu instid0(VALU_DEP_4) | instskip(SKIP_1) | instid1(VALU_DEP_2)
	v_cmp_gt_f64_e32 vcc_lo, s[26:27], v[14:15]
	s_mov_b64 s[26:27], 0x3fc3ab76bf559e2b
	v_fma_f64 v[8:9], v[0:1], v[10:11], -v[8:9]
	v_cndmask_b32_e64 v3, 0, 1, vcc_lo
	s_delay_alu instid0(VALU_DEP_1) | instskip(SKIP_1) | instid1(VALU_DEP_4)
	v_ldexp_f64 v[14:15], v[14:15], v3
	v_frexp_exp_i32_f64_e32 v3, v[12:13]
	v_add_f64_e32 v[8:9], 0x3cdee6d893f65eba, v[8:9]
	s_delay_alu instid0(VALU_DEP_3) | instskip(SKIP_1) | instid1(VALU_DEP_4)
	v_add_f64_e32 v[16:17], 1.0, v[14:15]
	v_add_f64_e32 v[22:23], -1.0, v[14:15]
	v_subrev_co_ci_u32_e64 v3, null, 0, v3, vcc_lo
	v_cmp_neq_f64_e32 vcc_lo, 0x7ff00000, v[12:13]
	v_fma_f64 v[10:11], v[0:1], v[8:9], -v[10:11]
	v_rcp_f64_e32 v[18:19], v[16:17]
	v_add_f64_e32 v[24:25], -1.0, v[16:17]
	s_delay_alu instid0(VALU_DEP_2) | instskip(NEXT) | instid1(VALU_DEP_2)
	v_add_f64_e32 v[10:11], 0xbd0a5022c297fbeb, v[10:11]
	v_add_f64_e64 v[14:15], v[14:15], -v[24:25]
	s_delay_alu instid0(TRANS32_DEP_1) | instskip(NEXT) | instid1(VALU_DEP_3)
	v_fma_f64 v[20:21], -v[16:17], v[18:19], 1.0
	v_fma_f64 v[8:9], v[0:1], v[10:11], -v[8:9]
	s_delay_alu instid0(VALU_DEP_2) | instskip(NEXT) | instid1(VALU_DEP_2)
	v_fmac_f64_e32 v[18:19], v[20:21], v[18:19]
	v_add_f64_e32 v[8:9], 0x3d359b464b262627, v[8:9]
	s_delay_alu instid0(VALU_DEP_2) | instskip(NEXT) | instid1(VALU_DEP_2)
	v_fma_f64 v[20:21], -v[16:17], v[18:19], 1.0
	v_fma_f64 v[10:11], v[0:1], v[8:9], -v[10:11]
	s_delay_alu instid0(VALU_DEP_2) | instskip(NEXT) | instid1(VALU_DEP_2)
	v_fmac_f64_e32 v[18:19], v[20:21], v[18:19]
	v_add_f64_e32 v[10:11], 0xbd61164c62ee1af0, v[10:11]
	s_delay_alu instid0(VALU_DEP_2) | instskip(NEXT) | instid1(VALU_DEP_2)
	v_mul_f64_e32 v[20:21], v[22:23], v[18:19]
	v_fma_f64 v[8:9], v[0:1], v[10:11], -v[8:9]
	s_delay_alu instid0(VALU_DEP_2) | instskip(NEXT) | instid1(VALU_DEP_2)
	v_mul_f64_e32 v[26:27], v[16:17], v[20:21]
	v_add_f64_e32 v[8:9], 0x3d89fe2fe19bd324, v[8:9]
	s_delay_alu instid0(VALU_DEP_2) | instskip(NEXT) | instid1(VALU_DEP_2)
	v_fma_f64 v[16:17], v[20:21], v[16:17], -v[26:27]
	v_fma_f64 v[10:11], v[0:1], v[8:9], -v[10:11]
	s_delay_alu instid0(VALU_DEP_2) | instskip(NEXT) | instid1(VALU_DEP_2)
	v_fmac_f64_e32 v[16:17], v[20:21], v[14:15]
	v_add_f64_e32 v[10:11], 0xbdb2fc957a946abc, v[10:11]
	s_delay_alu instid0(VALU_DEP_2) | instskip(NEXT) | instid1(VALU_DEP_2)
	v_add_f64_e32 v[14:15], v[26:27], v[16:17]
	v_fma_f64 v[8:9], v[0:1], v[10:11], -v[8:9]
	s_delay_alu instid0(VALU_DEP_2) | instskip(NEXT) | instid1(VALU_DEP_2)
	v_add_f64_e64 v[24:25], v[22:23], -v[14:15]
	v_add_f64_e32 v[8:9], 0x3dda98becc743c10, v[8:9]
	v_add_f64_e64 v[26:27], v[14:15], -v[26:27]
	s_delay_alu instid0(VALU_DEP_3) | instskip(NEXT) | instid1(VALU_DEP_3)
	v_add_f64_e64 v[22:23], v[22:23], -v[24:25]
	v_fma_f64 v[10:11], v[0:1], v[8:9], -v[10:11]
	s_delay_alu instid0(VALU_DEP_3) | instskip(SKIP_1) | instid1(VALU_DEP_4)
	v_add_f64_e64 v[16:17], v[26:27], -v[16:17]
	v_cvt_f64_i32_e32 v[26:27], v3
	v_add_f64_e64 v[14:15], v[22:23], -v[14:15]
	s_delay_alu instid0(VALU_DEP_4) | instskip(NEXT) | instid1(VALU_DEP_3)
	v_add_f64_e32 v[10:11], 0xbe01d4fe13ae9556, v[10:11]
	v_mul_f64_e32 v[28:29], 0x3fe62e42fefa39ef, v[26:27]
	s_delay_alu instid0(VALU_DEP_3) | instskip(NEXT) | instid1(VALU_DEP_3)
	v_add_f64_e32 v[14:15], v[16:17], v[14:15]
	v_fma_f64 v[8:9], v[0:1], v[10:11], -v[8:9]
	s_delay_alu instid0(VALU_DEP_2) | instskip(NEXT) | instid1(VALU_DEP_2)
	v_add_f64_e32 v[14:15], v[24:25], v[14:15]
	v_add_f64_e32 v[8:9], 0x3e26d903a454cb34, v[8:9]
	s_delay_alu instid0(VALU_DEP_2) | instskip(NEXT) | instid1(VALU_DEP_2)
	v_mul_f64_e32 v[14:15], v[18:19], v[14:15]
	v_fma_f64 v[10:11], v[0:1], v[8:9], -v[10:11]
	s_delay_alu instid0(VALU_DEP_2) | instskip(NEXT) | instid1(VALU_DEP_2)
	v_add_f64_e32 v[16:17], v[20:21], v[14:15]
	v_add_f64_e32 v[10:11], 0xbe4beaf68c0b30ab, v[10:11]
	s_delay_alu instid0(VALU_DEP_2) | instskip(NEXT) | instid1(VALU_DEP_2)
	v_mul_f64_e32 v[18:19], v[16:17], v[16:17]
	v_fma_f64 v[8:9], v[0:1], v[10:11], -v[8:9]
	s_delay_alu instid0(VALU_DEP_2) | instskip(NEXT) | instid1(VALU_DEP_2)
	v_fmaak_f64 v[22:23], s[26:27], v[18:19], 0x3fc385386b47b09a
	v_add_f64_e32 v[8:9], 0x3e703b769d4d6435, v[8:9]
	v_mul_f64_e32 v[24:25], v[16:17], v[18:19]
	s_mov_b64 s[26:27], 0x3ca3cee1e6a7fd77
	s_delay_alu instid0(VALU_DEP_3) | instskip(NEXT) | instid1(VALU_DEP_1)
	v_fmaak_f64 v[22:23], v[18:19], v[22:23], 0x3fc7474dd7f4df2e
	v_fmaak_f64 v[22:23], v[18:19], v[22:23], 0x3fcc71c016291751
	s_delay_alu instid0(VALU_DEP_1) | instskip(NEXT) | instid1(VALU_DEP_1)
	v_fmaak_f64 v[22:23], v[18:19], v[22:23], 0x3fd249249b27acf1
	v_fmaak_f64 v[22:23], v[18:19], v[22:23], 0x3fd99999998ef7b6
	v_fma_f64 v[10:11], v[0:1], v[8:9], -v[10:11]
	s_delay_alu instid0(VALU_DEP_2) | instskip(SKIP_2) | instid1(VALU_DEP_3)
	v_fmaak_f64 v[18:19], v[18:19], v[22:23], 0x3fe5555555555780
	v_ldexp_f64 v[22:23], v[16:17], 1
	v_add_f64_e64 v[16:17], v[16:17], -v[20:21]
	v_mul_f64_e32 v[18:19], v[24:25], v[18:19]
	v_fma_f64 v[24:25], v[6:7], v[6:7], -2.0
	v_add_f64_e32 v[10:11], 0xbe91ec638f227f8d, v[10:11]
	s_delay_alu instid0(VALU_DEP_4) | instskip(NEXT) | instid1(VALU_DEP_4)
	v_add_f64_e64 v[14:15], v[14:15], -v[16:17]
	v_add_f64_e32 v[20:21], v[22:23], v[18:19]
	s_delay_alu instid0(VALU_DEP_3) | instskip(NEXT) | instid1(VALU_DEP_3)
	v_fma_f64 v[8:9], v[0:1], v[10:11], -v[8:9]
	v_ldexp_f64 v[14:15], v[14:15], 1
	s_delay_alu instid0(VALU_DEP_3) | instskip(SKIP_2) | instid1(VALU_DEP_1)
	v_add_f64_e64 v[16:17], v[20:21], -v[22:23]
	v_fmaak_f64 v[22:23], s[26:27], v[24:25], 0x3d27fb0ac384c2aa
	s_mov_b64 s[26:27], 0x3fe62e42fefa39ef
	v_fmaak_f64 v[30:31], v[24:25], v[22:23], 0xbca3cee1e6a7fd77
	v_add_f64_e32 v[8:9], 0x3eb2bf24978cf4ac, v[8:9]
	s_delay_alu instid0(VALU_DEP_4) | instskip(NEXT) | instid1(VALU_DEP_3)
	v_add_f64_e64 v[16:17], v[18:19], -v[16:17]
	v_add_f64_e32 v[18:19], 0x3da6c25c47512144, v[30:31]
	v_fma_f64 v[30:31], v[26:27], s[26:27], -v[28:29]
	s_mov_b64 s[26:27], 0x3e5ade156a5dcb37
	s_delay_alu instid0(VALU_DEP_4) | instskip(NEXT) | instid1(VALU_DEP_4)
	v_fma_f64 v[10:11], v[0:1], v[8:9], -v[10:11]
	v_add_f64_e32 v[14:15], v[14:15], v[16:17]
	s_delay_alu instid0(VALU_DEP_4) | instskip(NEXT) | instid1(VALU_DEP_4)
	v_fma_f64 v[16:17], v[24:25], v[18:19], -v[22:23]
	v_fmamk_f64 v[22:23], v[26:27], 0x3c7abc9e3b39803f, v[30:31]
	s_delay_alu instid0(VALU_DEP_1) | instskip(SKIP_3) | instid1(VALU_DEP_4)
	v_add_f64_e32 v[30:31], v[28:29], v[22:23]
	v_add_f64_e32 v[10:11], 0xbed2866fcba56427, v[10:11]
	;; [unrolled: 1-line block ×4, first 2 shown]
	v_add_f64_e64 v[28:29], v[30:31], -v[28:29]
	s_delay_alu instid0(VALU_DEP_4) | instskip(NEXT) | instid1(VALU_DEP_4)
	v_fma_f64 v[8:9], v[0:1], v[10:11], -v[8:9]
	v_add_f64_e32 v[32:33], v[30:31], v[26:27]
	s_delay_alu instid0(VALU_DEP_4) | instskip(SKIP_1) | instid1(VALU_DEP_4)
	v_fma_f64 v[18:19], v[24:25], v[16:17], -v[18:19]
	v_add_f64_e64 v[20:21], v[26:27], -v[20:21]
	v_add_f64_e32 v[8:9], 0x3ef13f58be9a2859, v[8:9]
	s_delay_alu instid0(VALU_DEP_4) | instskip(NEXT) | instid1(VALU_DEP_4)
	v_add_f64_e64 v[34:35], v[32:33], -v[30:31]
	v_add_f64_e32 v[18:19], 0x3e9102bce7f95efc, v[18:19]
	s_delay_alu instid0(VALU_DEP_4)
	v_add_f64_e64 v[14:15], v[14:15], -v[20:21]
	v_add_f64_e64 v[20:21], v[22:23], -v[28:29]
	v_mul_f64_e32 v[28:29], 0x3ff71547652b82fe, v[6:7]
	v_fma_f64 v[10:11], v[0:1], v[8:9], -v[10:11]
	v_add_f64_e64 v[36:37], v[32:33], -v[34:35]
	v_fma_f64 v[16:17], v[24:25], v[18:19], -v[16:17]
	v_add_f64_e64 v[26:27], v[26:27], -v[34:35]
	s_delay_alu instid0(VALU_DEP_4) | instskip(NEXT) | instid1(VALU_DEP_4)
	v_add_f64_e32 v[10:11], 0xbf0e2b2659c41d5a, v[10:11]
	v_add_f64_e64 v[22:23], v[30:31], -v[36:37]
	s_delay_alu instid0(VALU_DEP_4) | instskip(SKIP_1) | instid1(VALU_DEP_4)
	v_add_f64_e32 v[16:17], 0x3ef7f900fe8cfca0, v[16:17]
	v_add_f64_e32 v[30:31], v[20:21], v[14:15]
	v_fma_f64 v[8:9], v[0:1], v[10:11], -v[8:9]
	s_delay_alu instid0(VALU_DEP_4) | instskip(NEXT) | instid1(VALU_DEP_4)
	v_add_f64_e32 v[22:23], v[26:27], v[22:23]
	v_fma_f64 v[18:19], v[24:25], v[16:17], -v[18:19]
	v_rndne_f64_e32 v[26:27], v[28:29]
	v_add_f64_e64 v[28:29], v[30:31], -v[20:21]
	v_add_f64_e32 v[8:9], 0x3f28b51b74107cab, v[8:9]
	v_add_f64_e32 v[22:23], v[30:31], v[22:23]
	;; [unrolled: 1-line block ×3, first 2 shown]
	v_fmamk_f64 v[6:7], v[26:27], 0xbfe62e42fefa39ef, v[6:7]
	v_add_f64_e64 v[30:31], v[30:31], -v[28:29]
	v_add_f64_e64 v[14:15], v[14:15], -v[28:29]
	v_cvt_i32_f64_e32 v3, v[26:27]
	s_delay_alu instid0(VALU_DEP_4) | instskip(NEXT) | instid1(VALU_DEP_1)
	v_fmamk_f64 v[6:7], v[26:27], 0xbc7abc9e3b39803f, v[6:7]
	v_fmaak_f64 v[36:37], s[26:27], v[6:7], 0x3e928af3fca7ab0c
	s_delay_alu instid0(VALU_DEP_1) | instskip(SKIP_1) | instid1(VALU_DEP_2)
	v_fmaak_f64 v[36:37], v[6:7], v[36:37], 0x3ec71dee623fde64
	v_fma_f64 v[10:11], v[0:1], v[8:9], -v[10:11]
	v_fmaak_f64 v[36:37], v[6:7], v[36:37], 0x3efa01997c89e6b0
	v_add_f64_e32 v[34:35], v[32:33], v[22:23]
	v_fma_f64 v[16:17], v[24:25], v[18:19], -v[16:17]
	v_add_f64_e64 v[20:21], v[20:21], -v[30:31]
	s_delay_alu instid0(VALU_DEP_4) | instskip(NEXT) | instid1(VALU_DEP_1)
	v_fmaak_f64 v[36:37], v[6:7], v[36:37], 0x3f2a01a014761f6e
	v_fmaak_f64 v[30:31], v[6:7], v[36:37], 0x3f56c16c1852b7b0
	v_add_f64_e32 v[10:11], 0xbf42e2fd1f15eb52, v[10:11]
	v_add_f64_e64 v[28:29], v[34:35], -v[32:33]
	v_add_f64_e32 v[16:17], 0x3fa26bf6554a9085, v[16:17]
	v_add_f64_e32 v[14:15], v[14:15], v[20:21]
	s_delay_alu instid0(VALU_DEP_4) | instskip(NEXT) | instid1(VALU_DEP_4)
	v_fma_f64 v[8:9], v[0:1], v[10:11], -v[8:9]
	v_add_f64_e64 v[20:21], v[22:23], -v[28:29]
	s_delay_alu instid0(VALU_DEP_4) | instskip(NEXT) | instid1(VALU_DEP_3)
	v_fma_f64 v[18:19], v[24:25], v[16:17], -v[18:19]
	v_add_f64_e32 v[8:9], 0x3f5adc758a12100e, v[8:9]
	s_delay_alu instid0(VALU_DEP_3) | instskip(NEXT) | instid1(VALU_DEP_3)
	v_add_f64_e32 v[14:15], v[14:15], v[20:21]
	v_add_f64_e32 v[18:19], 0x3fd608d881213db9, v[18:19]
	s_delay_alu instid0(VALU_DEP_3) | instskip(NEXT) | instid1(VALU_DEP_1)
	v_fma_f64 v[10:11], v[0:1], v[8:9], -v[10:11]
	v_add_f64_e32 v[10:11], 0xbf71b65e201aa849, v[10:11]
	s_delay_alu instid0(VALU_DEP_1) | instskip(NEXT) | instid1(VALU_DEP_1)
	v_fma_f64 v[8:9], v[0:1], v[10:11], -v[8:9]
	v_add_f64_e32 v[8:9], 0x3f859961f3dde3dd, v[8:9]
	s_delay_alu instid0(VALU_DEP_1) | instskip(NEXT) | instid1(VALU_DEP_1)
	;; [unrolled: 3-line block ×6, first 2 shown]
	v_fma_f64 v[10:11], v[0:1], v[8:9], -v[10:11]
	v_add_f64_e32 v[10:11], 0xbfd37febc057cd8d, v[10:11]
	s_delay_alu instid0(VALU_DEP_1) | instskip(SKIP_1) | instid1(VALU_DEP_1)
	v_fma_f64 v[0:1], v[0:1], v[10:11], -v[8:9]
	v_fmaak_f64 v[10:11], v[6:7], v[30:31], 0x3f81111111122322
	v_fmaak_f64 v[10:11], v[6:7], v[10:11], 0x3fa55555555502a1
	s_delay_alu instid0(VALU_DEP_1) | instskip(NEXT) | instid1(VALU_DEP_1)
	v_fmaak_f64 v[10:11], v[6:7], v[10:11], 0x3fc5555555555511
	v_fmaak_f64 v[10:11], v[6:7], v[10:11], 0x3fe000000000000b
	s_delay_alu instid0(VALU_DEP_1) | instskip(SKIP_1) | instid1(VALU_DEP_2)
	v_fma_f64 v[10:11], v[6:7], v[10:11], 1.0
	v_add_f64_e32 v[0:1], 0x3fe5a84e9035a22a, v[0:1]
	v_fma_f64 v[6:7], v[6:7], v[10:11], 1.0
	v_fma_f64 v[10:11], v[24:25], v[18:19], -v[16:17]
	s_delay_alu instid0(VALU_DEP_3) | instskip(SKIP_1) | instid1(VALU_DEP_4)
	v_add_f64_e64 v[0:1], v[0:1], -v[8:9]
	v_add_f64_e32 v[8:9], v[34:35], v[14:15]
	v_ldexp_f64 v[6:7], v[6:7], v3
	s_delay_alu instid0(VALU_DEP_4) | instskip(NEXT) | instid1(VALU_DEP_4)
	v_add_f64_e32 v[10:11], 0xbfe12166e9d2f61f, v[10:11]
	v_mul_f64_e32 v[0:1], 0.5, v[0:1]
	s_delay_alu instid0(VALU_DEP_4) | instskip(SKIP_2) | instid1(VALU_DEP_2)
	v_cndmask_b32_e32 v3, 0x7ff00000, v9, vcc_lo
	s_and_b32 vcc_lo, s0, vcc_lo
	v_cndmask_b32_e32 v8, 0, v8, vcc_lo
	v_cndmask_b32_e64 v9, 0xfff00000, v3, s0
	v_add_f64_e64 v[10:11], v[10:11], -v[16:17]
	v_mul_f64_e32 v[0:1], v[6:7], v[0:1]
	s_delay_alu instid0(VALU_DEP_1) | instskip(NEXT) | instid1(VALU_DEP_1)
	v_mul_f64_e32 v[0:1], v[8:9], v[0:1]
	v_fma_f64 v[0:1], v[10:11], 0.5, -v[0:1]
	s_delay_alu instid0(VALU_DEP_1)
	v_mul_f64_e32 v[0:1], v[6:7], v[0:1]
                                        ; implicit-def: $vgpr6_vgpr7
.LBB9_718:
	s_and_not1_saveexec_b32 s0, s25
	s_cbranch_execz .LBB9_720
; %bb.719:
	v_div_scale_f64 v[0:1], null, v[6:7], v[6:7], 0x40200000
	v_div_scale_f64 v[12:13], vcc_lo, 0x40200000, v[6:7], 0x40200000
	s_mov_b64 s[26:27], 0x3c5871a5cf8c9ee1
	v_rcp_f64_e32 v[8:9], v[0:1]
	v_nop
	s_delay_alu instid0(TRANS32_DEP_1) | instskip(NEXT) | instid1(VALU_DEP_1)
	v_fma_f64 v[10:11], -v[0:1], v[8:9], 1.0
	v_fmac_f64_e32 v[8:9], v[8:9], v[10:11]
	s_delay_alu instid0(VALU_DEP_1) | instskip(NEXT) | instid1(VALU_DEP_1)
	v_fma_f64 v[10:11], -v[0:1], v[8:9], 1.0
	v_fmac_f64_e32 v[8:9], v[8:9], v[10:11]
	s_delay_alu instid0(VALU_DEP_1) | instskip(NEXT) | instid1(VALU_DEP_1)
	v_mul_f64_e32 v[10:11], v[12:13], v[8:9]
	v_fma_f64 v[0:1], -v[0:1], v[10:11], v[12:13]
	s_delay_alu instid0(VALU_DEP_1) | instskip(SKIP_1) | instid1(VALU_DEP_2)
	v_div_fmas_f64 v[0:1], v[0:1], v[8:9], v[10:11]
	v_cmp_gt_f64_e32 vcc_lo, 0x10000000, v[6:7]
	v_div_fixup_f64 v[0:1], v[0:1], v[6:7], 0x40200000
	v_cndmask_b32_e64 v3, 0, 0x100, vcc_lo
	s_delay_alu instid0(VALU_DEP_1) | instskip(SKIP_1) | instid1(VALU_DEP_2)
	v_ldexp_f64 v[6:7], v[6:7], v3
	v_cndmask_b32_e64 v3, 0, 0xffffff80, vcc_lo
	v_cmp_class_f64_e64 vcc_lo, v[6:7], 0x260
	v_add_f64_e32 v[0:1], -2.0, v[0:1]
	v_rsq_f64_e32 v[12:13], v[6:7]
	s_delay_alu instid0(VALU_DEP_1) | instskip(NEXT) | instid1(TRANS32_DEP_1)
	v_fmaak_f64 v[8:9], s[26:27], v[0:1], 0xbc72fecc93812603
	v_mul_f64_e32 v[14:15], v[6:7], v[12:13]
	s_delay_alu instid0(VALU_DEP_2) | instskip(SKIP_1) | instid1(VALU_DEP_2)
	v_fmaak_f64 v[10:11], v[0:1], v[8:9], 0xbc5871a5cf8c9ee1
	v_mul_f64_e32 v[12:13], 0.5, v[12:13]
	v_add_f64_e32 v[10:11], 0x3c8e092e41a8cdf4, v[10:11]
	s_delay_alu instid0(VALU_DEP_2) | instskip(NEXT) | instid1(VALU_DEP_2)
	v_fma_f64 v[16:17], -v[12:13], v[14:15], 0.5
	v_fma_f64 v[8:9], v[0:1], v[10:11], -v[8:9]
	s_delay_alu instid0(VALU_DEP_2) | instskip(SKIP_1) | instid1(VALU_DEP_3)
	v_fmac_f64_e32 v[14:15], v[14:15], v[16:17]
	v_fmac_f64_e32 v[12:13], v[12:13], v[16:17]
	v_add_f64_e32 v[8:9], 0xbca82f9474d77641, v[8:9]
	s_delay_alu instid0(VALU_DEP_3) | instskip(NEXT) | instid1(VALU_DEP_2)
	v_fma_f64 v[16:17], -v[14:15], v[14:15], v[6:7]
	v_fma_f64 v[10:11], v[0:1], v[8:9], -v[10:11]
	s_delay_alu instid0(VALU_DEP_2) | instskip(NEXT) | instid1(VALU_DEP_2)
	v_fmac_f64_e32 v[14:15], v[16:17], v[12:13]
	v_add_f64_e32 v[10:11], 0x3cc3dbf96b94785b, v[10:11]
	s_delay_alu instid0(VALU_DEP_1) | instskip(NEXT) | instid1(VALU_DEP_1)
	v_fma_f64 v[8:9], v[0:1], v[10:11], -v[8:9]
	v_add_f64_e32 v[8:9], 0xbce0a690ecfadd36, v[8:9]
	s_delay_alu instid0(VALU_DEP_1) | instskip(NEXT) | instid1(VALU_DEP_1)
	v_fma_f64 v[10:11], v[0:1], v[8:9], -v[10:11]
	;; [unrolled: 3-line block ×19, first 2 shown]
	v_add_f64_e32 v[8:9], 0xbfa019f72d4ff71e, v[8:9]
	s_delay_alu instid0(VALU_DEP_1) | instskip(SKIP_1) | instid1(VALU_DEP_2)
	v_fma_f64 v[0:1], v[0:1], v[8:9], -v[10:11]
	v_fma_f64 v[8:9], -v[14:15], v[14:15], v[6:7]
	v_add_f64_e32 v[0:1], 0x400385bd9f4e6907, v[0:1]
	s_delay_alu instid0(VALU_DEP_2) | instskip(NEXT) | instid1(VALU_DEP_2)
	v_fmac_f64_e32 v[14:15], v[8:9], v[12:13]
	v_add_f64_e64 v[0:1], v[0:1], -v[10:11]
	s_delay_alu instid0(VALU_DEP_2) | instskip(NEXT) | instid1(VALU_DEP_1)
	v_ldexp_f64 v[8:9], v[14:15], v3
	v_dual_mul_f64 v[0:1], 0.5, v[0:1] :: v_dual_cndmask_b32 v7, v9, v7, vcc_lo
	s_delay_alu instid0(VALU_DEP_2) | instskip(NEXT) | instid1(VALU_DEP_1)
	v_cndmask_b32_e32 v6, v8, v6, vcc_lo
	v_div_scale_f64 v[8:9], null, v[6:7], v[6:7], v[0:1]
	s_delay_alu instid0(VALU_DEP_1) | instskip(SKIP_1) | instid1(TRANS32_DEP_1)
	v_rcp_f64_e32 v[10:11], v[8:9]
	v_nop
	v_fma_f64 v[12:13], -v[8:9], v[10:11], 1.0
	s_delay_alu instid0(VALU_DEP_1) | instskip(NEXT) | instid1(VALU_DEP_1)
	v_fmac_f64_e32 v[10:11], v[10:11], v[12:13]
	v_fma_f64 v[12:13], -v[8:9], v[10:11], 1.0
	s_delay_alu instid0(VALU_DEP_1) | instskip(SKIP_1) | instid1(VALU_DEP_1)
	v_fmac_f64_e32 v[10:11], v[10:11], v[12:13]
	v_div_scale_f64 v[12:13], vcc_lo, v[0:1], v[6:7], v[0:1]
	v_mul_f64_e32 v[14:15], v[12:13], v[10:11]
	s_delay_alu instid0(VALU_DEP_1) | instskip(NEXT) | instid1(VALU_DEP_1)
	v_fma_f64 v[8:9], -v[8:9], v[14:15], v[12:13]
	v_div_fmas_f64 v[8:9], v[8:9], v[10:11], v[14:15]
	s_delay_alu instid0(VALU_DEP_1)
	v_div_fixup_f64 v[0:1], v[8:9], v[6:7], v[0:1]
.LBB9_720:
	s_or_b32 exec_lo, exec_lo, s0
.LBB9_721:
	s_delay_alu instid0(SALU_CYCLE_1)
	s_or_b32 exec_lo, exec_lo, s24
.LBB9_722:
	s_delay_alu instid0(SALU_CYCLE_1) | instskip(SKIP_2) | instid1(SALU_CYCLE_1)
	s_or_b32 exec_lo, exec_lo, s23
	v_mov_b32_e32 v3, 0
	s_and_b32 s23, s34, 0xff
	s_cmp_lt_i32 s23, 11
	s_delay_alu instid0(VALU_DEP_1)
	v_add_nc_u64_e32 v[6:7], s[4:5], v[2:3]
	s_cbranch_scc1 .LBB9_730
; %bb.723:
	s_and_b32 s24, 0xffff, s23
	s_delay_alu instid0(SALU_CYCLE_1)
	s_cmp_gt_i32 s24, 25
	s_cbranch_scc0 .LBB9_731
; %bb.724:
	s_cmp_gt_i32 s24, 28
	s_cbranch_scc0 .LBB9_732
; %bb.725:
	;; [unrolled: 3-line block ×4, first 2 shown]
	s_mov_b32 s26, 0
	s_mov_b32 s0, -1
	s_cmp_eq_u32 s24, 46
	s_mov_b32 s25, 0
	s_cbranch_scc0 .LBB9_735
; %bb.728:
	s_delay_alu instid0(VALU_DEP_3) | instskip(SKIP_2) | instid1(VALU_DEP_1)
	v_cvt_f32_f64_e32 v2, v[0:1]
	s_mov_b32 s25, -1
	s_mov_b32 s0, 0
	v_bfe_u32 v3, v2, 16, 1
	v_cmp_o_f32_e32 vcc_lo, v2, v2
	s_delay_alu instid0(VALU_DEP_2) | instskip(NEXT) | instid1(VALU_DEP_1)
	v_add3_u32 v3, v2, v3, 0x7fff
	v_lshrrev_b32_e32 v3, 16, v3
	s_delay_alu instid0(VALU_DEP_1)
	v_cndmask_b32_e32 v2, 0x7fc0, v3, vcc_lo
	global_store_b32 v[6:7], v2, off
	s_branch .LBB9_735
.LBB9_729:
	s_mov_b32 s23, 0
	s_mov_b32 s0, s43
	s_branch .LBB9_846
.LBB9_730:
	s_mov_b32 s24, -1
	s_mov_b32 s25, 0
	s_mov_b32 s0, s43
	s_branch .LBB9_804
.LBB9_731:
	s_mov_b32 s26, -1
	s_mov_b32 s25, 0
	s_mov_b32 s0, s43
	s_branch .LBB9_762
.LBB9_732:
	s_mov_b32 s26, -1
	s_mov_b32 s25, 0
	s_mov_b32 s0, s43
	s_branch .LBB9_745
.LBB9_733:
	s_mov_b32 s26, -1
	s_mov_b32 s25, 0
	s_mov_b32 s0, s43
	s_branch .LBB9_741
.LBB9_734:
	s_mov_b32 s26, -1
	s_mov_b32 s25, 0
	s_mov_b32 s0, s43
.LBB9_735:
	s_and_b32 vcc_lo, exec_lo, s26
	s_cbranch_vccz .LBB9_740
; %bb.736:
	s_cmp_eq_u32 s24, 44
	s_mov_b32 s0, -1
	s_cbranch_scc0 .LBB9_740
; %bb.737:
	s_wait_xcnt 0x0
	s_delay_alu instid0(VALU_DEP_3) | instskip(SKIP_2) | instid1(VALU_DEP_2)
	v_cvt_f32_f64_e32 v2, v[0:1]
	v_mov_b32_e32 v3, 0xff
	s_mov_b32 s25, exec_lo
	v_bfe_u32 v5, v2, 23, 8
	s_delay_alu instid0(VALU_DEP_1)
	v_cmpx_ne_u32_e32 0xff, v5
	s_cbranch_execz .LBB9_739
; %bb.738:
	v_and_b32_e32 v3, 0x400000, v2
	v_and_or_b32 v5, 0x3fffff, v2, v5
	v_lshrrev_b32_e32 v2, 23, v2
	s_delay_alu instid0(VALU_DEP_3) | instskip(NEXT) | instid1(VALU_DEP_3)
	v_cmp_ne_u32_e32 vcc_lo, 0, v3
	v_cmp_ne_u32_e64 s0, 0, v5
	s_and_b32 s0, vcc_lo, s0
	s_delay_alu instid0(SALU_CYCLE_1) | instskip(NEXT) | instid1(VALU_DEP_1)
	v_cndmask_b32_e64 v3, 0, 1, s0
	v_add_nc_u32_e32 v3, v2, v3
.LBB9_739:
	s_or_b32 exec_lo, exec_lo, s25
	s_mov_b32 s25, -1
	s_mov_b32 s0, 0
	global_store_b8 v[6:7], v3, off
.LBB9_740:
	s_mov_b32 s26, 0
.LBB9_741:
	s_delay_alu instid0(SALU_CYCLE_1)
	s_and_b32 vcc_lo, exec_lo, s26
	s_cbranch_vccz .LBB9_744
; %bb.742:
	s_cmp_eq_u32 s24, 29
	s_mov_b32 s0, -1
	s_cbranch_scc0 .LBB9_744
; %bb.743:
	s_wait_xcnt 0x0
	s_delay_alu instid0(VALU_DEP_3) | instskip(SKIP_3) | instid1(VALU_DEP_1)
	v_trunc_f64_e32 v[2:3], v[0:1]
	s_mov_b32 s25, -1
	s_mov_b32 s0, 0
	s_mov_b32 s26, 0
	v_ldexp_f64 v[8:9], v[2:3], 0xffffffe0
	s_delay_alu instid0(VALU_DEP_1) | instskip(NEXT) | instid1(VALU_DEP_1)
	v_floor_f64_e32 v[8:9], v[8:9]
	v_fmamk_f64 v[2:3], v[8:9], 0xc1f00000, v[2:3]
	v_cvt_u32_f64_e32 v9, v[8:9]
	s_delay_alu instid0(VALU_DEP_2)
	v_cvt_u32_f64_e32 v8, v[2:3]
	global_store_b64 v[6:7], v[8:9], off
	s_branch .LBB9_745
.LBB9_744:
	s_mov_b32 s26, 0
.LBB9_745:
	s_delay_alu instid0(SALU_CYCLE_1)
	s_and_b32 vcc_lo, exec_lo, s26
	s_cbranch_vccz .LBB9_761
; %bb.746:
	s_cmp_lt_i32 s24, 27
	s_mov_b32 s25, -1
	s_cbranch_scc1 .LBB9_752
; %bb.747:
	s_wait_xcnt 0x0
	s_delay_alu instid0(VALU_DEP_3)
	v_cvt_u32_f64_e32 v2, v[0:1]
	s_cmp_gt_i32 s24, 27
	s_cbranch_scc0 .LBB9_749
; %bb.748:
	s_mov_b32 s25, 0
	global_store_b32 v[6:7], v2, off
.LBB9_749:
	s_and_not1_b32 vcc_lo, exec_lo, s25
	s_cbranch_vccnz .LBB9_751
; %bb.750:
	global_store_b16 v[6:7], v2, off
.LBB9_751:
	s_mov_b32 s25, 0
.LBB9_752:
	s_delay_alu instid0(SALU_CYCLE_1)
	s_and_not1_b32 vcc_lo, exec_lo, s25
	s_cbranch_vccnz .LBB9_760
; %bb.753:
	s_wait_xcnt 0x0
	s_delay_alu instid0(VALU_DEP_3) | instskip(SKIP_2) | instid1(VALU_DEP_2)
	v_cvt_f32_f64_e32 v2, v[0:1]
	v_mov_b32_e32 v5, 0x80
	s_mov_b32 s25, exec_lo
	v_and_b32_e32 v3, 0x7fffffff, v2
	s_delay_alu instid0(VALU_DEP_1)
	v_cmpx_gt_u32_e32 0x43800000, v3
	s_cbranch_execz .LBB9_759
; %bb.754:
	v_cmp_lt_u32_e32 vcc_lo, 0x3bffffff, v3
	s_mov_b32 s26, 0
                                        ; implicit-def: $vgpr3
	s_and_saveexec_b32 s27, vcc_lo
	s_delay_alu instid0(SALU_CYCLE_1)
	s_xor_b32 s27, exec_lo, s27
	s_cbranch_execz .LBB9_878
; %bb.755:
	v_bfe_u32 v3, v2, 20, 1
	s_mov_b32 s26, exec_lo
	s_delay_alu instid0(VALU_DEP_1) | instskip(NEXT) | instid1(VALU_DEP_1)
	v_add3_u32 v3, v2, v3, 0x487ffff
	v_lshrrev_b32_e32 v3, 20, v3
	s_and_not1_saveexec_b32 s27, s27
	s_cbranch_execnz .LBB9_879
.LBB9_756:
	s_or_b32 exec_lo, exec_lo, s27
	v_mov_b32_e32 v5, 0
	s_and_saveexec_b32 s27, s26
.LBB9_757:
	v_lshrrev_b32_e32 v2, 24, v2
	s_delay_alu instid0(VALU_DEP_1)
	v_and_or_b32 v5, 0x80, v2, v3
.LBB9_758:
	s_or_b32 exec_lo, exec_lo, s27
.LBB9_759:
	s_delay_alu instid0(SALU_CYCLE_1)
	s_or_b32 exec_lo, exec_lo, s25
	global_store_b8 v[6:7], v5, off
.LBB9_760:
	s_mov_b32 s25, -1
.LBB9_761:
	s_mov_b32 s26, 0
.LBB9_762:
	s_delay_alu instid0(SALU_CYCLE_1)
	s_and_b32 vcc_lo, exec_lo, s26
	s_cbranch_vccz .LBB9_803
; %bb.763:
	s_cmp_gt_i32 s24, 22
	s_mov_b32 s26, -1
	s_cbranch_scc0 .LBB9_795
; %bb.764:
	s_cmp_lt_i32 s24, 24
	s_mov_b32 s25, -1
	s_cbranch_scc1 .LBB9_784
; %bb.765:
	s_cmp_gt_i32 s24, 24
	s_cbranch_scc0 .LBB9_773
; %bb.766:
	s_wait_xcnt 0x0
	s_delay_alu instid0(VALU_DEP_3) | instskip(SKIP_2) | instid1(VALU_DEP_2)
	v_cvt_f32_f64_e32 v2, v[0:1]
	v_mov_b32_e32 v5, 0x80
	s_mov_b32 s25, exec_lo
	v_and_b32_e32 v3, 0x7fffffff, v2
	s_delay_alu instid0(VALU_DEP_1)
	v_cmpx_gt_u32_e32 0x47800000, v3
	s_cbranch_execz .LBB9_772
; %bb.767:
	v_cmp_lt_u32_e32 vcc_lo, 0x37ffffff, v3
	s_mov_b32 s26, 0
                                        ; implicit-def: $vgpr3
	s_and_saveexec_b32 s27, vcc_lo
	s_delay_alu instid0(SALU_CYCLE_1)
	s_xor_b32 s27, exec_lo, s27
	s_cbranch_execz .LBB9_881
; %bb.768:
	v_bfe_u32 v3, v2, 21, 1
	s_mov_b32 s26, exec_lo
	s_delay_alu instid0(VALU_DEP_1) | instskip(NEXT) | instid1(VALU_DEP_1)
	v_add3_u32 v3, v2, v3, 0x88fffff
	v_lshrrev_b32_e32 v3, 21, v3
	s_and_not1_saveexec_b32 s27, s27
	s_cbranch_execnz .LBB9_882
.LBB9_769:
	s_or_b32 exec_lo, exec_lo, s27
	v_mov_b32_e32 v5, 0
	s_and_saveexec_b32 s27, s26
.LBB9_770:
	v_lshrrev_b32_e32 v2, 24, v2
	s_delay_alu instid0(VALU_DEP_1)
	v_and_or_b32 v5, 0x80, v2, v3
.LBB9_771:
	s_or_b32 exec_lo, exec_lo, s27
.LBB9_772:
	s_delay_alu instid0(SALU_CYCLE_1)
	s_or_b32 exec_lo, exec_lo, s25
	s_mov_b32 s25, 0
	global_store_b8 v[6:7], v5, off
.LBB9_773:
	s_and_b32 vcc_lo, exec_lo, s25
	s_cbranch_vccz .LBB9_783
; %bb.774:
	s_wait_xcnt 0x0
	s_delay_alu instid0(VALU_DEP_3) | instskip(SKIP_1) | instid1(VALU_DEP_1)
	v_cvt_f32_f64_e32 v2, v[0:1]
	s_mov_b32 s25, exec_lo
                                        ; implicit-def: $vgpr3
	v_and_b32_e32 v5, 0x7fffffff, v2
	s_delay_alu instid0(VALU_DEP_1)
	v_cmpx_gt_u32_e32 0x43f00000, v5
	s_xor_b32 s25, exec_lo, s25
	s_cbranch_execz .LBB9_780
; %bb.775:
	s_mov_b32 s26, exec_lo
                                        ; implicit-def: $vgpr3
	v_cmpx_lt_u32_e32 0x3c7fffff, v5
	s_xor_b32 s26, exec_lo, s26
; %bb.776:
	v_bfe_u32 v3, v2, 20, 1
	s_delay_alu instid0(VALU_DEP_1) | instskip(NEXT) | instid1(VALU_DEP_1)
	v_add3_u32 v3, v2, v3, 0x407ffff
	v_and_b32_e32 v5, 0xff00000, v3
	v_lshrrev_b32_e32 v3, 20, v3
	s_delay_alu instid0(VALU_DEP_2) | instskip(NEXT) | instid1(VALU_DEP_2)
	v_cmp_ne_u32_e32 vcc_lo, 0x7f00000, v5
	v_cndmask_b32_e32 v3, 0x7e, v3, vcc_lo
; %bb.777:
	s_and_not1_saveexec_b32 s26, s26
; %bb.778:
	v_add_f32_e64 v3, 0x46800000, |v2|
; %bb.779:
	s_or_b32 exec_lo, exec_lo, s26
                                        ; implicit-def: $vgpr5
.LBB9_780:
	s_and_not1_saveexec_b32 s25, s25
; %bb.781:
	v_mov_b32_e32 v3, 0x7f
	v_cmp_lt_u32_e32 vcc_lo, 0x7f800000, v5
	s_delay_alu instid0(VALU_DEP_2)
	v_cndmask_b32_e32 v3, 0x7e, v3, vcc_lo
; %bb.782:
	s_or_b32 exec_lo, exec_lo, s25
	v_lshrrev_b32_e32 v2, 24, v2
	s_delay_alu instid0(VALU_DEP_1)
	v_and_or_b32 v2, 0x80, v2, v3
	global_store_b8 v[6:7], v2, off
.LBB9_783:
	s_mov_b32 s25, 0
.LBB9_784:
	s_delay_alu instid0(SALU_CYCLE_1)
	s_and_not1_b32 vcc_lo, exec_lo, s25
	s_cbranch_vccnz .LBB9_794
; %bb.785:
	s_wait_xcnt 0x0
	s_delay_alu instid0(VALU_DEP_3) | instskip(SKIP_1) | instid1(VALU_DEP_1)
	v_cvt_f32_f64_e32 v2, v[0:1]
	s_mov_b32 s25, exec_lo
                                        ; implicit-def: $vgpr3
	v_and_b32_e32 v5, 0x7fffffff, v2
	s_delay_alu instid0(VALU_DEP_1)
	v_cmpx_gt_u32_e32 0x47800000, v5
	s_xor_b32 s25, exec_lo, s25
	s_cbranch_execz .LBB9_791
; %bb.786:
	s_mov_b32 s26, exec_lo
                                        ; implicit-def: $vgpr3
	v_cmpx_lt_u32_e32 0x387fffff, v5
	s_xor_b32 s26, exec_lo, s26
; %bb.787:
	v_bfe_u32 v3, v2, 21, 1
	s_delay_alu instid0(VALU_DEP_1) | instskip(NEXT) | instid1(VALU_DEP_1)
	v_add3_u32 v3, v2, v3, 0x80fffff
	v_lshrrev_b32_e32 v3, 21, v3
; %bb.788:
	s_and_not1_saveexec_b32 s26, s26
; %bb.789:
	v_add_f32_e64 v3, 0x43000000, |v2|
; %bb.790:
	s_or_b32 exec_lo, exec_lo, s26
                                        ; implicit-def: $vgpr5
.LBB9_791:
	s_and_not1_saveexec_b32 s25, s25
; %bb.792:
	v_mov_b32_e32 v3, 0x7f
	v_cmp_lt_u32_e32 vcc_lo, 0x7f800000, v5
	s_delay_alu instid0(VALU_DEP_2)
	v_cndmask_b32_e32 v3, 0x7c, v3, vcc_lo
; %bb.793:
	s_or_b32 exec_lo, exec_lo, s25
	v_lshrrev_b32_e32 v2, 24, v2
	s_delay_alu instid0(VALU_DEP_1)
	v_and_or_b32 v2, 0x80, v2, v3
	global_store_b8 v[6:7], v2, off
.LBB9_794:
	s_mov_b32 s26, 0
	s_mov_b32 s25, -1
.LBB9_795:
	s_and_not1_b32 vcc_lo, exec_lo, s26
	s_cbranch_vccnz .LBB9_803
; %bb.796:
	s_cmp_gt_i32 s24, 14
	s_mov_b32 s26, -1
	s_cbranch_scc0 .LBB9_800
; %bb.797:
	s_cmp_eq_u32 s24, 15
	s_mov_b32 s0, -1
	s_cbranch_scc0 .LBB9_799
; %bb.798:
	s_wait_xcnt 0x0
	s_delay_alu instid0(VALU_DEP_3) | instskip(SKIP_2) | instid1(VALU_DEP_1)
	v_cvt_f32_f64_e32 v2, v[0:1]
	s_mov_b32 s25, -1
	s_mov_b32 s0, 0
	v_bfe_u32 v3, v2, 16, 1
	v_cmp_o_f32_e32 vcc_lo, v2, v2
	s_delay_alu instid0(VALU_DEP_2) | instskip(NEXT) | instid1(VALU_DEP_1)
	v_add3_u32 v3, v2, v3, 0x7fff
	v_lshrrev_b32_e32 v3, 16, v3
	s_delay_alu instid0(VALU_DEP_1)
	v_cndmask_b32_e32 v2, 0x7fc0, v3, vcc_lo
	global_store_b16 v[6:7], v2, off
.LBB9_799:
	s_mov_b32 s26, 0
.LBB9_800:
	s_delay_alu instid0(SALU_CYCLE_1)
	s_and_b32 vcc_lo, exec_lo, s26
	s_cbranch_vccz .LBB9_803
; %bb.801:
	s_cmp_eq_u32 s24, 11
	s_mov_b32 s0, -1
	s_cbranch_scc0 .LBB9_803
; %bb.802:
	s_delay_alu instid0(VALU_DEP_3)
	v_cmp_neq_f64_e32 vcc_lo, 0, v[0:1]
	s_mov_b32 s25, -1
	s_mov_b32 s0, 0
	s_wait_xcnt 0x0
	v_cndmask_b32_e64 v2, 0, 1, vcc_lo
	global_store_b8 v[6:7], v2, off
.LBB9_803:
	s_mov_b32 s24, 0
.LBB9_804:
	s_delay_alu instid0(SALU_CYCLE_1)
	s_and_b32 vcc_lo, exec_lo, s24
	s_cbranch_vccz .LBB9_843
; %bb.805:
	s_and_b32 s23, 0xffff, s23
	s_mov_b32 s24, -1
	s_cmp_lt_i32 s23, 5
	s_cbranch_scc1 .LBB9_826
; %bb.806:
	s_cmp_lt_i32 s23, 8
	s_cbranch_scc1 .LBB9_816
; %bb.807:
	;; [unrolled: 3-line block ×3, first 2 shown]
	s_cmp_gt_i32 s23, 9
	s_cbranch_scc0 .LBB9_810
; %bb.809:
	s_wait_xcnt 0x0
	v_mov_b32_e32 v2, 0
	s_mov_b32 s24, 0
	s_delay_alu instid0(VALU_DEP_1)
	v_mov_b32_e32 v3, v2
	global_store_b128 v[6:7], v[0:3], off
.LBB9_810:
	s_and_not1_b32 vcc_lo, exec_lo, s24
	s_cbranch_vccnz .LBB9_812
; %bb.811:
	s_wait_xcnt 0x0
	s_delay_alu instid0(VALU_DEP_3)
	v_cvt_f32_f64_e32 v2, v[0:1]
	v_mov_b32_e32 v3, 0
	global_store_b64 v[6:7], v[2:3], off
.LBB9_812:
	s_mov_b32 s24, 0
.LBB9_813:
	s_delay_alu instid0(SALU_CYCLE_1)
	s_and_not1_b32 vcc_lo, exec_lo, s24
	s_cbranch_vccnz .LBB9_815
; %bb.814:
	s_wait_xcnt 0x0
	s_delay_alu instid0(VALU_DEP_3) | instskip(SKIP_2) | instid1(VALU_DEP_3)
	v_and_or_b32 v2, 0x1ff, v1, v0
	v_lshrrev_b32_e32 v3, 8, v1
	v_bfe_u32 v5, v1, 20, 11
	v_cmp_ne_u32_e32 vcc_lo, 0, v2
	s_delay_alu instid0(VALU_DEP_2) | instskip(SKIP_2) | instid1(VALU_DEP_1)
	v_sub_nc_u32_e32 v8, 0x3f1, v5
	v_add_nc_u32_e32 v5, 0xfffffc10, v5
	v_cndmask_b32_e64 v2, 0, 1, vcc_lo
	v_and_or_b32 v2, 0xffe, v3, v2
	s_delay_alu instid0(VALU_DEP_4) | instskip(NEXT) | instid1(VALU_DEP_2)
	v_med3_i32 v3, v8, 0, 13
	v_or_b32_e32 v8, 0x1000, v2
	s_delay_alu instid0(VALU_DEP_1) | instskip(NEXT) | instid1(VALU_DEP_1)
	v_lshrrev_b32_e32 v9, v3, v8
	v_lshlrev_b32_e32 v3, v3, v9
	s_delay_alu instid0(VALU_DEP_1) | instskip(SKIP_3) | instid1(VALU_DEP_2)
	v_cmp_ne_u32_e32 vcc_lo, v3, v8
	v_lshl_or_b32 v8, v5, 12, v2
	v_cndmask_b32_e64 v3, 0, 1, vcc_lo
	v_cmp_gt_i32_e32 vcc_lo, 1, v5
	v_or_b32_e32 v3, v9, v3
	s_delay_alu instid0(VALU_DEP_1) | instskip(NEXT) | instid1(VALU_DEP_1)
	v_cndmask_b32_e32 v3, v8, v3, vcc_lo
	v_dual_lshrrev_b32 v3, 2, v3 :: v_dual_bitop2_b32 v8, 7, v3 bitop3:0x40
	s_delay_alu instid0(VALU_DEP_1) | instskip(SKIP_4) | instid1(VALU_DEP_2)
	v_cmp_lt_i32_e32 vcc_lo, 5, v8
	v_cndmask_b32_e64 v9, 0, 1, vcc_lo
	v_cmp_eq_u32_e32 vcc_lo, 3, v8
	v_cndmask_b32_e64 v8, 0, 1, vcc_lo
	v_cmp_ne_u32_e32 vcc_lo, 0, v2
	v_or_b32_e32 v8, v8, v9
	v_mov_b32_e32 v9, 0x7e00
	s_delay_alu instid0(VALU_DEP_1) | instskip(SKIP_1) | instid1(VALU_DEP_2)
	v_dual_cndmask_b32 v2, 0x7c00, v9 :: v_dual_add_nc_u32 v3, v3, v8
	v_cmp_gt_i32_e32 vcc_lo, 31, v5
	v_dual_cndmask_b32 v3, 0x7c00, v3 :: v_dual_lshrrev_b32 v8, 16, v1
	v_cmp_eq_u32_e32 vcc_lo, 0x40f, v5
	s_delay_alu instid0(VALU_DEP_2) | instskip(NEXT) | instid1(VALU_DEP_3)
	v_cndmask_b32_e32 v2, v3, v2, vcc_lo
	v_and_b32_e32 v3, 0x8000, v8
	s_delay_alu instid0(VALU_DEP_1)
	v_bitop3_b32 v2, v3, 0xffff, v2 bitop3:0xc8
	global_store_b32 v[6:7], v2, off
.LBB9_815:
	s_mov_b32 s24, 0
.LBB9_816:
	s_delay_alu instid0(SALU_CYCLE_1)
	s_and_not1_b32 vcc_lo, exec_lo, s24
	s_cbranch_vccnz .LBB9_825
; %bb.817:
	s_cmp_lt_i32 s23, 6
	s_mov_b32 s24, -1
	s_cbranch_scc1 .LBB9_823
; %bb.818:
	s_cmp_gt_i32 s23, 6
	s_cbranch_scc0 .LBB9_820
; %bb.819:
	s_mov_b32 s24, 0
	global_store_b64 v[6:7], v[0:1], off
.LBB9_820:
	s_and_not1_b32 vcc_lo, exec_lo, s24
	s_cbranch_vccnz .LBB9_822
; %bb.821:
	s_wait_xcnt 0x0
	s_delay_alu instid0(VALU_DEP_3)
	v_cvt_f32_f64_e32 v2, v[0:1]
	global_store_b32 v[6:7], v2, off
.LBB9_822:
	s_mov_b32 s24, 0
.LBB9_823:
	s_delay_alu instid0(SALU_CYCLE_1)
	s_and_not1_b32 vcc_lo, exec_lo, s24
	s_cbranch_vccnz .LBB9_825
; %bb.824:
	s_wait_xcnt 0x0
	s_delay_alu instid0(VALU_DEP_3) | instskip(SKIP_2) | instid1(VALU_DEP_3)
	v_and_or_b32 v2, 0x1ff, v1, v0
	v_lshrrev_b32_e32 v3, 8, v1
	v_bfe_u32 v5, v1, 20, 11
	v_cmp_ne_u32_e32 vcc_lo, 0, v2
	s_delay_alu instid0(VALU_DEP_2) | instskip(SKIP_2) | instid1(VALU_DEP_1)
	v_sub_nc_u32_e32 v8, 0x3f1, v5
	v_add_nc_u32_e32 v5, 0xfffffc10, v5
	v_cndmask_b32_e64 v2, 0, 1, vcc_lo
	v_and_or_b32 v2, 0xffe, v3, v2
	s_delay_alu instid0(VALU_DEP_4) | instskip(NEXT) | instid1(VALU_DEP_2)
	v_med3_i32 v3, v8, 0, 13
	v_or_b32_e32 v8, 0x1000, v2
	s_delay_alu instid0(VALU_DEP_1) | instskip(NEXT) | instid1(VALU_DEP_1)
	v_lshrrev_b32_e32 v9, v3, v8
	v_lshlrev_b32_e32 v3, v3, v9
	s_delay_alu instid0(VALU_DEP_1) | instskip(SKIP_3) | instid1(VALU_DEP_2)
	v_cmp_ne_u32_e32 vcc_lo, v3, v8
	v_lshl_or_b32 v8, v5, 12, v2
	v_cndmask_b32_e64 v3, 0, 1, vcc_lo
	v_cmp_gt_i32_e32 vcc_lo, 1, v5
	v_or_b32_e32 v3, v9, v3
	s_delay_alu instid0(VALU_DEP_1) | instskip(NEXT) | instid1(VALU_DEP_1)
	v_cndmask_b32_e32 v3, v8, v3, vcc_lo
	v_dual_lshrrev_b32 v3, 2, v3 :: v_dual_bitop2_b32 v8, 7, v3 bitop3:0x40
	s_delay_alu instid0(VALU_DEP_1) | instskip(SKIP_4) | instid1(VALU_DEP_2)
	v_cmp_lt_i32_e32 vcc_lo, 5, v8
	v_cndmask_b32_e64 v9, 0, 1, vcc_lo
	v_cmp_eq_u32_e32 vcc_lo, 3, v8
	v_cndmask_b32_e64 v8, 0, 1, vcc_lo
	v_cmp_ne_u32_e32 vcc_lo, 0, v2
	v_or_b32_e32 v8, v8, v9
	v_mov_b32_e32 v9, 0x7e00
	s_delay_alu instid0(VALU_DEP_1) | instskip(SKIP_1) | instid1(VALU_DEP_2)
	v_dual_cndmask_b32 v2, 0x7c00, v9 :: v_dual_add_nc_u32 v3, v3, v8
	v_cmp_gt_i32_e32 vcc_lo, 31, v5
	v_cndmask_b32_e32 v3, 0x7c00, v3, vcc_lo
	v_cmp_eq_u32_e32 vcc_lo, 0x40f, v5
	s_delay_alu instid0(VALU_DEP_2) | instskip(NEXT) | instid1(VALU_DEP_1)
	v_dual_cndmask_b32 v2, v3, v2 :: v_dual_lshrrev_b32 v3, 16, v1
	v_and_or_b32 v2, 0x8000, v3, v2
	global_store_b16 v[6:7], v2, off
.LBB9_825:
	s_mov_b32 s24, 0
.LBB9_826:
	s_delay_alu instid0(SALU_CYCLE_1)
	s_and_not1_b32 vcc_lo, exec_lo, s24
	s_cbranch_vccnz .LBB9_842
; %bb.827:
	s_cmp_lt_i32 s23, 2
	s_mov_b32 s24, -1
	s_cbranch_scc1 .LBB9_837
; %bb.828:
	s_cmp_lt_i32 s23, 3
	s_cbranch_scc1 .LBB9_834
; %bb.829:
	s_cmp_gt_i32 s23, 3
	s_cbranch_scc0 .LBB9_831
; %bb.830:
	s_wait_xcnt 0x0
	s_delay_alu instid0(VALU_DEP_3) | instskip(SKIP_1) | instid1(VALU_DEP_1)
	v_trunc_f64_e32 v[2:3], v[0:1]
	s_mov_b32 s24, 0
	v_ldexp_f64 v[8:9], v[2:3], 0xffffffe0
	s_delay_alu instid0(VALU_DEP_1) | instskip(NEXT) | instid1(VALU_DEP_1)
	v_floor_f64_e32 v[8:9], v[8:9]
	v_fmamk_f64 v[2:3], v[8:9], 0xc1f00000, v[2:3]
	v_cvt_i32_f64_e32 v9, v[8:9]
	s_delay_alu instid0(VALU_DEP_2)
	v_cvt_u32_f64_e32 v8, v[2:3]
	global_store_b64 v[6:7], v[8:9], off
.LBB9_831:
	s_and_not1_b32 vcc_lo, exec_lo, s24
	s_cbranch_vccnz .LBB9_833
; %bb.832:
	s_wait_xcnt 0x0
	s_delay_alu instid0(VALU_DEP_3)
	v_cvt_i32_f64_e32 v2, v[0:1]
	global_store_b32 v[6:7], v2, off
.LBB9_833:
	s_mov_b32 s24, 0
.LBB9_834:
	s_delay_alu instid0(SALU_CYCLE_1)
	s_and_not1_b32 vcc_lo, exec_lo, s24
	s_cbranch_vccnz .LBB9_836
; %bb.835:
	s_wait_xcnt 0x0
	s_delay_alu instid0(VALU_DEP_3)
	v_cvt_i32_f64_e32 v2, v[0:1]
	global_store_b16 v[6:7], v2, off
.LBB9_836:
	s_mov_b32 s24, 0
.LBB9_837:
	s_delay_alu instid0(SALU_CYCLE_1)
	s_and_not1_b32 vcc_lo, exec_lo, s24
	s_cbranch_vccnz .LBB9_842
; %bb.838:
	s_cmp_gt_i32 s23, 0
	s_mov_b32 s23, -1
	s_cbranch_scc0 .LBB9_840
; %bb.839:
	s_wait_xcnt 0x0
	s_delay_alu instid0(VALU_DEP_3)
	v_cvt_i32_f64_e32 v2, v[0:1]
	s_mov_b32 s23, 0
	global_store_b8 v[6:7], v2, off
.LBB9_840:
	s_and_not1_b32 vcc_lo, exec_lo, s23
	s_cbranch_vccnz .LBB9_842
; %bb.841:
	s_wait_xcnt 0x0
	v_trunc_f64_e32 v[0:1], v[0:1]
	s_delay_alu instid0(VALU_DEP_1) | instskip(NEXT) | instid1(VALU_DEP_1)
	v_ldexp_f64 v[2:3], v[0:1], 0xffffffe0
	v_floor_f64_e32 v[2:3], v[2:3]
	s_delay_alu instid0(VALU_DEP_1) | instskip(NEXT) | instid1(VALU_DEP_1)
	v_fmamk_f64 v[0:1], v[2:3], 0xc1f00000, v[0:1]
	v_cvt_u32_f64_e32 v0, v[0:1]
	global_store_b8 v[6:7], v0, off
.LBB9_842:
	s_mov_b32 s25, -1
.LBB9_843:
	s_delay_alu instid0(SALU_CYCLE_1)
	s_and_not1_b32 vcc_lo, exec_lo, s25
	s_cbranch_vccnz .LBB9_845
; %bb.844:
	v_add_nc_u32_e32 v4, 0x80, v4
	s_mov_b32 s23, -1
	s_branch .LBB9_847
.LBB9_845:
	s_mov_b32 s23, 0
.LBB9_846:
                                        ; implicit-def: $vgpr4
.LBB9_847:
	s_and_not1_b32 s24, s43, exec_lo
	s_and_b32 s0, s0, exec_lo
	s_and_not1_b32 s25, s42, exec_lo
	s_and_b32 s22, s22, exec_lo
	s_or_b32 s26, s24, s0
	s_or_b32 s0, s25, s22
	s_or_not1_b32 s25, s23, exec_lo
.LBB9_848:
	s_wait_xcnt 0x0
	s_or_b32 exec_lo, exec_lo, s45
	s_mov_b32 s23, 0
	s_mov_b32 s22, 0
	;; [unrolled: 1-line block ×3, first 2 shown]
                                        ; implicit-def: $vgpr0_vgpr1
                                        ; implicit-def: $vgpr2
                                        ; implicit-def: $vgpr6_vgpr7
	s_and_saveexec_b32 s27, s25
	s_cbranch_execz .LBB9_950
; %bb.849:
	v_cmp_gt_i32_e32 vcc_lo, s36, v4
	s_mov_b32 s25, s0
                                        ; implicit-def: $vgpr0_vgpr1
                                        ; implicit-def: $vgpr2
                                        ; implicit-def: $vgpr6_vgpr7
	s_and_saveexec_b32 s36, vcc_lo
	s_cbranch_execz .LBB9_949
; %bb.850:
	s_and_not1_b32 vcc_lo, exec_lo, s31
	s_cbranch_vccnz .LBB9_856
; %bb.851:
	s_and_not1_b32 vcc_lo, exec_lo, s38
	s_cbranch_vccnz .LBB9_857
; %bb.852:
	s_add_co_i32 s37, s37, 1
	s_cmp_eq_u32 s29, 2
	s_cbranch_scc1 .LBB9_858
; %bb.853:
	v_dual_mov_b32 v2, 0 :: v_dual_mov_b32 v0, 0
	v_mov_b32_e32 v1, v4
	s_and_b32 s22, s37, 28
	s_mov_b64 s[24:25], s[2:3]
.LBB9_854:                              ; =>This Inner Loop Header: Depth=1
	s_clause 0x1
	s_load_b256 s[48:55], s[24:25], 0x4
	s_load_b128 s[64:67], s[24:25], 0x24
	s_load_b256 s[56:63], s[20:21], 0x0
	s_add_co_i32 s23, s23, 4
	s_wait_xcnt 0x0
	s_add_nc_u64 s[24:25], s[24:25], 48
	s_cmp_eq_u32 s22, s23
	s_add_nc_u64 s[20:21], s[20:21], 32
	s_wait_kmcnt 0x0
	v_mul_hi_u32 v3, s49, v1
	s_delay_alu instid0(VALU_DEP_1) | instskip(NEXT) | instid1(VALU_DEP_1)
	v_add_nc_u32_e32 v3, v1, v3
	v_lshrrev_b32_e32 v3, s50, v3
	s_delay_alu instid0(VALU_DEP_1) | instskip(NEXT) | instid1(VALU_DEP_1)
	v_mul_hi_u32 v5, s52, v3
	v_add_nc_u32_e32 v5, v3, v5
	s_delay_alu instid0(VALU_DEP_1) | instskip(SKIP_1) | instid1(VALU_DEP_1)
	v_lshrrev_b32_e32 v5, s53, v5
	s_wait_loadcnt 0x0
	v_mul_hi_u32 v6, s55, v5
	s_delay_alu instid0(VALU_DEP_1) | instskip(SKIP_1) | instid1(VALU_DEP_1)
	v_add_nc_u32_e32 v6, v5, v6
	v_mul_lo_u32 v7, v3, s48
	v_sub_nc_u32_e32 v1, v1, v7
	v_mul_lo_u32 v7, v5, s51
	s_delay_alu instid0(VALU_DEP_4) | instskip(NEXT) | instid1(VALU_DEP_3)
	v_lshrrev_b32_e32 v6, s64, v6
	v_mad_u32 v0, v1, s57, v0
	v_mad_u32 v1, v1, s56, v2
	s_delay_alu instid0(VALU_DEP_4) | instskip(NEXT) | instid1(VALU_DEP_4)
	v_sub_nc_u32_e32 v2, v3, v7
	v_mul_hi_u32 v8, s66, v6
	v_mul_lo_u32 v3, v6, s54
	s_delay_alu instid0(VALU_DEP_3) | instskip(SKIP_1) | instid1(VALU_DEP_3)
	v_mad_u32 v0, v2, s59, v0
	v_mad_u32 v2, v2, s58, v1
	v_dual_add_nc_u32 v7, v6, v8 :: v_dual_sub_nc_u32 v3, v5, v3
	s_delay_alu instid0(VALU_DEP_1) | instskip(NEXT) | instid1(VALU_DEP_2)
	v_lshrrev_b32_e32 v1, s67, v7
	v_mad_u32 v0, v3, s61, v0
	s_delay_alu instid0(VALU_DEP_4) | instskip(NEXT) | instid1(VALU_DEP_3)
	v_mad_u32 v2, v3, s60, v2
	v_mul_lo_u32 v5, v1, s65
	s_delay_alu instid0(VALU_DEP_1) | instskip(NEXT) | instid1(VALU_DEP_1)
	v_sub_nc_u32_e32 v3, v6, v5
	v_mad_u32 v0, v3, s63, v0
	s_delay_alu instid0(VALU_DEP_4)
	v_mad_u32 v2, v3, s62, v2
	s_cbranch_scc0 .LBB9_854
; %bb.855:
	s_delay_alu instid0(VALU_DEP_2)
	v_mov_b32_e32 v3, v0
	s_branch .LBB9_859
.LBB9_856:
	s_mov_b32 s20, -1
                                        ; implicit-def: $vgpr0
                                        ; implicit-def: $vgpr2
	s_branch .LBB9_864
.LBB9_857:
	v_dual_mov_b32 v0, 0 :: v_dual_mov_b32 v2, 0
	s_branch .LBB9_863
.LBB9_858:
	v_mov_b64_e32 v[2:3], 0
	v_mov_b32_e32 v1, v4
                                        ; implicit-def: $vgpr0
.LBB9_859:
	s_and_b32 s24, s37, 3
	s_mov_b32 s23, 0
	s_cmp_eq_u32 s24, 0
	s_cbranch_scc1 .LBB9_863
; %bb.860:
	s_lshl_b32 s20, s22, 3
	s_mov_b32 s21, s23
	s_mul_u64 s[22:23], s[22:23], 12
	s_add_nc_u64 s[20:21], s[2:3], s[20:21]
	s_add_nc_u64 s[22:23], s[2:3], s[22:23]
	s_add_nc_u64 s[20:21], s[20:21], 0xc4
.LBB9_861:                              ; =>This Inner Loop Header: Depth=1
	s_load_b96 s[48:50], s[22:23], 0x4
	s_load_b64 s[46:47], s[20:21], 0x0
	s_add_co_i32 s24, s24, -1
	s_wait_xcnt 0x0
	s_add_nc_u64 s[22:23], s[22:23], 12
	s_cmp_lg_u32 s24, 0
	s_add_nc_u64 s[20:21], s[20:21], 8
	s_wait_kmcnt 0x0
	v_mul_hi_u32 v0, s49, v1
	s_delay_alu instid0(VALU_DEP_1) | instskip(NEXT) | instid1(VALU_DEP_1)
	v_add_nc_u32_e32 v0, v1, v0
	v_lshrrev_b32_e32 v0, s50, v0
	s_delay_alu instid0(VALU_DEP_1) | instskip(NEXT) | instid1(VALU_DEP_1)
	v_mul_lo_u32 v5, v0, s48
	v_sub_nc_u32_e32 v1, v1, v5
	s_delay_alu instid0(VALU_DEP_1)
	v_mad_u32 v3, v1, s47, v3
	v_mad_u32 v2, v1, s46, v2
	v_mov_b32_e32 v1, v0
	s_cbranch_scc1 .LBB9_861
; %bb.862:
	s_delay_alu instid0(VALU_DEP_3)
	v_mov_b32_e32 v0, v3
.LBB9_863:
	s_mov_b32 s20, 0
.LBB9_864:
	s_delay_alu instid0(SALU_CYCLE_1)
	s_and_not1_b32 vcc_lo, exec_lo, s20
	s_cbranch_vccnz .LBB9_867
; %bb.865:
	v_mov_b32_e32 v5, 0
	s_and_not1_b32 vcc_lo, exec_lo, s35
	s_delay_alu instid0(VALU_DEP_1) | instskip(NEXT) | instid1(VALU_DEP_1)
	v_mul_u64_e32 v[0:1], s[16:17], v[4:5]
	v_add_nc_u32_e32 v0, v4, v1
	s_wait_loadcnt 0x0
	s_delay_alu instid0(VALU_DEP_1) | instskip(NEXT) | instid1(VALU_DEP_1)
	v_lshrrev_b32_e32 v6, s14, v0
	v_mul_lo_u32 v0, v6, s12
	s_delay_alu instid0(VALU_DEP_1) | instskip(NEXT) | instid1(VALU_DEP_1)
	v_sub_nc_u32_e32 v1, v4, v0
	v_mul_lo_u32 v0, v1, s9
	v_mul_lo_u32 v2, v1, s8
	s_cbranch_vccnz .LBB9_867
; %bb.866:
	v_mov_b32_e32 v7, v5
	s_delay_alu instid0(VALU_DEP_1) | instskip(NEXT) | instid1(VALU_DEP_1)
	v_mul_u64_e32 v[4:5], s[18:19], v[6:7]
	v_add_nc_u32_e32 v1, v6, v5
	s_delay_alu instid0(VALU_DEP_1) | instskip(NEXT) | instid1(VALU_DEP_1)
	v_lshrrev_b32_e32 v1, s1, v1
	v_mul_lo_u32 v1, v1, s15
	s_delay_alu instid0(VALU_DEP_1) | instskip(NEXT) | instid1(VALU_DEP_1)
	v_sub_nc_u32_e32 v1, v6, v1
	v_mad_u32 v2, v1, s10, v2
	v_mad_u32 v0, v1, s11, v0
.LBB9_867:
	v_mov_b32_e32 v1, 0
	s_and_b32 s1, 0xffff, s13
	s_delay_alu instid0(SALU_CYCLE_1) | instskip(NEXT) | instid1(VALU_DEP_1)
	s_cmp_lt_i32 s1, 11
	v_add_nc_u64_e32 v[0:1], s[6:7], v[0:1]
	s_cbranch_scc1 .LBB9_874
; %bb.868:
	s_cmp_gt_i32 s1, 25
	s_mov_b32 s7, 0
	s_cbranch_scc0 .LBB9_875
; %bb.869:
	s_cmp_gt_i32 s1, 28
	s_cbranch_scc0 .LBB9_876
; %bb.870:
	s_cmp_gt_i32 s1, 43
	;; [unrolled: 3-line block ×3, first 2 shown]
	s_cbranch_scc0 .LBB9_880
; %bb.872:
	s_cmp_eq_u32 s1, 46
	s_mov_b32 s9, 0
	s_cbranch_scc0 .LBB9_883
; %bb.873:
	global_load_b32 v3, v[0:1], off
	s_mov_b32 s6, 0
	s_mov_b32 s8, -1
	s_wait_loadcnt 0x0
	v_lshlrev_b32_e32 v3, 16, v3
	s_delay_alu instid0(VALU_DEP_1)
	v_cvt_f64_f32_e32 v[6:7], v3
	s_branch .LBB9_885
.LBB9_874:
	s_mov_b32 s1, -1
	s_mov_b32 s8, 0
	s_mov_b32 s7, 0
	;; [unrolled: 1-line block ×3, first 2 shown]
                                        ; implicit-def: $vgpr6_vgpr7
	s_branch .LBB9_948
.LBB9_875:
	s_mov_b32 s9, -1
	s_mov_b32 s8, 0
	s_mov_b32 s6, s0
                                        ; implicit-def: $vgpr6_vgpr7
	s_branch .LBB9_914
.LBB9_876:
	s_mov_b32 s9, -1
	s_mov_b32 s8, 0
	s_mov_b32 s6, s0
                                        ; implicit-def: $vgpr6_vgpr7
	s_branch .LBB9_895
.LBB9_877:
	s_mov_b32 s9, -1
	s_mov_b32 s8, 0
	s_mov_b32 s6, s0
                                        ; implicit-def: $vgpr6_vgpr7
	s_branch .LBB9_890
.LBB9_878:
	s_and_not1_saveexec_b32 s27, s27
	s_cbranch_execz .LBB9_756
.LBB9_879:
	v_add_f32_e64 v3, 0x46000000, |v2|
	s_and_not1_b32 s26, s26, exec_lo
	s_delay_alu instid0(VALU_DEP_1) | instskip(NEXT) | instid1(VALU_DEP_1)
	v_and_b32_e32 v3, 0xff, v3
	v_cmp_ne_u32_e32 vcc_lo, 0, v3
	s_and_b32 s46, vcc_lo, exec_lo
	s_delay_alu instid0(SALU_CYCLE_1)
	s_or_b32 s26, s26, s46
	s_or_b32 exec_lo, exec_lo, s27
	v_mov_b32_e32 v5, 0
	s_and_saveexec_b32 s27, s26
	s_cbranch_execnz .LBB9_757
	s_branch .LBB9_758
.LBB9_880:
	s_mov_b32 s9, -1
	s_mov_b32 s8, 0
	s_mov_b32 s6, s0
	s_branch .LBB9_884
.LBB9_881:
	s_and_not1_saveexec_b32 s27, s27
	s_cbranch_execz .LBB9_769
.LBB9_882:
	v_add_f32_e64 v3, 0x42800000, |v2|
	s_and_not1_b32 s26, s26, exec_lo
	s_delay_alu instid0(VALU_DEP_1) | instskip(NEXT) | instid1(VALU_DEP_1)
	v_and_b32_e32 v3, 0xff, v3
	v_cmp_ne_u32_e32 vcc_lo, 0, v3
	s_and_b32 s46, vcc_lo, exec_lo
	s_delay_alu instid0(SALU_CYCLE_1)
	s_or_b32 s26, s26, s46
	s_or_b32 exec_lo, exec_lo, s27
	v_mov_b32_e32 v5, 0
	s_and_saveexec_b32 s27, s26
	s_cbranch_execnz .LBB9_770
	s_branch .LBB9_771
.LBB9_883:
	s_mov_b32 s6, -1
	s_mov_b32 s8, 0
.LBB9_884:
                                        ; implicit-def: $vgpr6_vgpr7
.LBB9_885:
	s_and_b32 vcc_lo, exec_lo, s9
	s_cbranch_vccz .LBB9_889
; %bb.886:
	s_cmp_eq_u32 s1, 44
	s_cbranch_scc0 .LBB9_888
; %bb.887:
	global_load_u8 v3, v[0:1], off
	s_mov_b32 s6, 0
	s_mov_b32 s8, -1
	s_wait_loadcnt 0x0
	v_cmp_ne_u32_e32 vcc_lo, 0xff, v3
	v_lshlrev_b32_e32 v4, 23, v3
	s_delay_alu instid0(VALU_DEP_1) | instskip(NEXT) | instid1(VALU_DEP_1)
	v_cvt_f64_f32_e32 v[4:5], v4
	v_cndmask_b32_e32 v4, 0x20000000, v4, vcc_lo
	s_delay_alu instid0(VALU_DEP_2) | instskip(SKIP_1) | instid1(VALU_DEP_2)
	v_cndmask_b32_e32 v5, 0x7ff80000, v5, vcc_lo
	v_cmp_ne_u32_e32 vcc_lo, 0, v3
	v_cndmask_b32_e32 v7, 0x38000000, v5, vcc_lo
	s_delay_alu instid0(VALU_DEP_4)
	v_cndmask_b32_e32 v6, 0, v4, vcc_lo
	s_branch .LBB9_889
.LBB9_888:
	s_mov_b32 s6, -1
                                        ; implicit-def: $vgpr6_vgpr7
.LBB9_889:
	s_mov_b32 s9, 0
.LBB9_890:
	s_delay_alu instid0(SALU_CYCLE_1)
	s_and_b32 vcc_lo, exec_lo, s9
	s_cbranch_vccz .LBB9_894
; %bb.891:
	s_cmp_eq_u32 s1, 29
	s_cbranch_scc0 .LBB9_893
; %bb.892:
	global_load_b64 v[4:5], v[0:1], off
	s_mov_b32 s6, 0
	s_mov_b32 s8, -1
	s_mov_b32 s9, 0
	s_wait_loadcnt 0x0
	v_cvt_f64_u32_e32 v[6:7], v5
	v_cvt_f64_u32_e32 v[4:5], v4
	s_delay_alu instid0(VALU_DEP_2) | instskip(NEXT) | instid1(VALU_DEP_1)
	v_ldexp_f64 v[6:7], v[6:7], 32
	v_add_f64_e32 v[6:7], v[6:7], v[4:5]
	s_branch .LBB9_895
.LBB9_893:
	s_mov_b32 s6, -1
                                        ; implicit-def: $vgpr6_vgpr7
.LBB9_894:
	s_mov_b32 s9, 0
.LBB9_895:
	s_delay_alu instid0(SALU_CYCLE_1)
	s_and_b32 vcc_lo, exec_lo, s9
	s_cbranch_vccz .LBB9_913
; %bb.896:
	s_cmp_lt_i32 s1, 27
	s_cbranch_scc1 .LBB9_899
; %bb.897:
	s_cmp_gt_i32 s1, 27
	s_cbranch_scc0 .LBB9_900
; %bb.898:
	global_load_b32 v3, v[0:1], off
	s_mov_b32 s8, 0
	s_wait_loadcnt 0x0
	v_cvt_f64_u32_e32 v[6:7], v3
	s_branch .LBB9_901
.LBB9_899:
	s_mov_b32 s8, -1
                                        ; implicit-def: $vgpr6_vgpr7
	s_branch .LBB9_904
.LBB9_900:
	s_mov_b32 s8, -1
                                        ; implicit-def: $vgpr6_vgpr7
.LBB9_901:
	s_delay_alu instid0(SALU_CYCLE_1)
	s_and_not1_b32 vcc_lo, exec_lo, s8
	s_cbranch_vccnz .LBB9_903
; %bb.902:
	global_load_u16 v3, v[0:1], off
	s_wait_loadcnt 0x0
	v_cvt_f64_u32_e32 v[6:7], v3
.LBB9_903:
	s_mov_b32 s8, 0
.LBB9_904:
	s_delay_alu instid0(SALU_CYCLE_1)
	s_and_not1_b32 vcc_lo, exec_lo, s8
	s_cbranch_vccnz .LBB9_912
; %bb.905:
	global_load_u8 v3, v[0:1], off
	s_mov_b32 s8, 0
	s_mov_b32 s9, exec_lo
	s_wait_loadcnt 0x0
	v_cmpx_lt_i16_e32 0x7f, v3
	s_xor_b32 s9, exec_lo, s9
	s_cbranch_execz .LBB9_926
; %bb.906:
	s_mov_b32 s8, -1
	s_mov_b32 s10, exec_lo
	v_cmpx_eq_u16_e32 0x80, v3
; %bb.907:
	s_xor_b32 s8, exec_lo, -1
; %bb.908:
	s_or_b32 exec_lo, exec_lo, s10
	s_delay_alu instid0(SALU_CYCLE_1)
	s_and_b32 s8, s8, exec_lo
	s_or_saveexec_b32 s9, s9
	v_mov_b64_e32 v[6:7], 0x7ff8000020000000
	s_xor_b32 exec_lo, exec_lo, s9
	s_cbranch_execnz .LBB9_927
.LBB9_909:
	s_or_b32 exec_lo, exec_lo, s9
	s_and_saveexec_b32 s9, s8
	s_cbranch_execz .LBB9_911
.LBB9_910:
	v_and_b32_e32 v4, 0xffff, v3
	s_delay_alu instid0(VALU_DEP_1) | instskip(SKIP_1) | instid1(VALU_DEP_2)
	v_and_b32_e32 v5, 7, v4
	v_bfe_u32 v8, v4, 3, 4
	v_clz_i32_u32_e32 v6, v5
	s_delay_alu instid0(VALU_DEP_2) | instskip(NEXT) | instid1(VALU_DEP_2)
	v_cmp_eq_u32_e32 vcc_lo, 0, v8
	v_min_u32_e32 v6, 32, v6
	s_delay_alu instid0(VALU_DEP_1) | instskip(NEXT) | instid1(VALU_DEP_1)
	v_subrev_nc_u32_e32 v7, 28, v6
	v_dual_lshlrev_b32 v4, v7, v4 :: v_dual_sub_nc_u32 v6, 29, v6
	s_delay_alu instid0(VALU_DEP_1) | instskip(NEXT) | instid1(VALU_DEP_1)
	v_dual_lshlrev_b32 v3, 24, v3 :: v_dual_bitop2_b32 v4, 7, v4 bitop3:0x40
	v_dual_cndmask_b32 v6, v8, v6, vcc_lo :: v_dual_cndmask_b32 v4, v5, v4, vcc_lo
	s_delay_alu instid0(VALU_DEP_2) | instskip(NEXT) | instid1(VALU_DEP_2)
	v_and_b32_e32 v3, 0x80000000, v3
	v_lshl_add_u32 v5, v6, 23, 0x3b800000
	s_delay_alu instid0(VALU_DEP_3) | instskip(NEXT) | instid1(VALU_DEP_1)
	v_lshlrev_b32_e32 v4, 20, v4
	v_or3_b32 v3, v3, v5, v4
	s_delay_alu instid0(VALU_DEP_1)
	v_cvt_f64_f32_e32 v[6:7], v3
.LBB9_911:
	s_or_b32 exec_lo, exec_lo, s9
.LBB9_912:
	s_mov_b32 s8, -1
.LBB9_913:
	s_mov_b32 s9, 0
.LBB9_914:
	s_delay_alu instid0(SALU_CYCLE_1)
	s_and_b32 vcc_lo, exec_lo, s9
	s_cbranch_vccz .LBB9_947
; %bb.915:
	s_cmp_gt_i32 s1, 22
	s_cbranch_scc0 .LBB9_925
; %bb.916:
	s_cmp_lt_i32 s1, 24
	s_cbranch_scc1 .LBB9_928
; %bb.917:
	s_cmp_gt_i32 s1, 24
	s_cbranch_scc0 .LBB9_929
; %bb.918:
	global_load_u8 v3, v[0:1], off
	s_mov_b32 s8, exec_lo
	s_wait_loadcnt 0x0
	v_cmpx_lt_i16_e32 0x7f, v3
	s_xor_b32 s8, exec_lo, s8
	s_cbranch_execz .LBB9_941
; %bb.919:
	s_mov_b32 s7, -1
	s_mov_b32 s9, exec_lo
	v_cmpx_eq_u16_e32 0x80, v3
; %bb.920:
	s_xor_b32 s7, exec_lo, -1
; %bb.921:
	s_or_b32 exec_lo, exec_lo, s9
	s_delay_alu instid0(SALU_CYCLE_1)
	s_and_b32 s7, s7, exec_lo
	s_or_saveexec_b32 s8, s8
	v_mov_b64_e32 v[6:7], 0x7ff8000020000000
	s_xor_b32 exec_lo, exec_lo, s8
	s_cbranch_execnz .LBB9_942
.LBB9_922:
	s_or_b32 exec_lo, exec_lo, s8
	s_and_saveexec_b32 s8, s7
	s_cbranch_execz .LBB9_924
.LBB9_923:
	v_and_b32_e32 v4, 0xffff, v3
	s_delay_alu instid0(VALU_DEP_1) | instskip(SKIP_1) | instid1(VALU_DEP_2)
	v_and_b32_e32 v5, 3, v4
	v_bfe_u32 v8, v4, 2, 5
	v_clz_i32_u32_e32 v6, v5
	s_delay_alu instid0(VALU_DEP_2) | instskip(NEXT) | instid1(VALU_DEP_2)
	v_cmp_eq_u32_e32 vcc_lo, 0, v8
	v_min_u32_e32 v6, 32, v6
	s_delay_alu instid0(VALU_DEP_1) | instskip(NEXT) | instid1(VALU_DEP_1)
	v_subrev_nc_u32_e32 v7, 29, v6
	v_dual_lshlrev_b32 v4, v7, v4 :: v_dual_sub_nc_u32 v6, 30, v6
	s_delay_alu instid0(VALU_DEP_1) | instskip(NEXT) | instid1(VALU_DEP_1)
	v_dual_lshlrev_b32 v3, 24, v3 :: v_dual_bitop2_b32 v4, 3, v4 bitop3:0x40
	v_dual_cndmask_b32 v6, v8, v6, vcc_lo :: v_dual_cndmask_b32 v4, v5, v4, vcc_lo
	s_delay_alu instid0(VALU_DEP_2) | instskip(NEXT) | instid1(VALU_DEP_2)
	v_and_b32_e32 v3, 0x80000000, v3
	v_lshl_add_u32 v5, v6, 23, 0x37800000
	s_delay_alu instid0(VALU_DEP_3) | instskip(NEXT) | instid1(VALU_DEP_1)
	v_lshlrev_b32_e32 v4, 21, v4
	v_or3_b32 v3, v3, v5, v4
	s_delay_alu instid0(VALU_DEP_1)
	v_cvt_f64_f32_e32 v[6:7], v3
.LBB9_924:
	s_or_b32 exec_lo, exec_lo, s8
	s_mov_b32 s7, 0
	s_branch .LBB9_930
.LBB9_925:
	s_mov_b32 s7, -1
                                        ; implicit-def: $vgpr6_vgpr7
	s_branch .LBB9_936
.LBB9_926:
	s_or_saveexec_b32 s9, s9
	v_mov_b64_e32 v[6:7], 0x7ff8000020000000
	s_xor_b32 exec_lo, exec_lo, s9
	s_cbranch_execz .LBB9_909
.LBB9_927:
	v_cmp_ne_u16_e32 vcc_lo, 0, v3
	v_mov_b64_e32 v[6:7], 0
	s_and_not1_b32 s8, s8, exec_lo
	s_and_b32 s10, vcc_lo, exec_lo
	s_delay_alu instid0(SALU_CYCLE_1)
	s_or_b32 s8, s8, s10
	s_or_b32 exec_lo, exec_lo, s9
	s_and_saveexec_b32 s9, s8
	s_cbranch_execnz .LBB9_910
	s_branch .LBB9_911
.LBB9_928:
	s_mov_b32 s7, -1
                                        ; implicit-def: $vgpr6_vgpr7
	s_branch .LBB9_933
.LBB9_929:
	s_mov_b32 s7, -1
                                        ; implicit-def: $vgpr6_vgpr7
.LBB9_930:
	s_delay_alu instid0(SALU_CYCLE_1)
	s_and_b32 vcc_lo, exec_lo, s7
	s_cbranch_vccz .LBB9_932
; %bb.931:
	global_load_u8 v3, v[0:1], off
	s_wait_loadcnt 0x0
	v_lshlrev_b32_e32 v3, 24, v3
	s_delay_alu instid0(VALU_DEP_1) | instskip(NEXT) | instid1(VALU_DEP_1)
	v_and_b32_e32 v4, 0x7f000000, v3
	v_clz_i32_u32_e32 v5, v4
	v_cmp_ne_u32_e32 vcc_lo, 0, v4
	v_add_nc_u32_e32 v7, 0x1000000, v4
	s_delay_alu instid0(VALU_DEP_3) | instskip(NEXT) | instid1(VALU_DEP_1)
	v_min_u32_e32 v5, 32, v5
	v_sub_nc_u32_e64 v5, v5, 4 clamp
	s_delay_alu instid0(VALU_DEP_1) | instskip(NEXT) | instid1(VALU_DEP_1)
	v_dual_lshlrev_b32 v6, v5, v4 :: v_dual_lshlrev_b32 v5, 23, v5
	v_lshrrev_b32_e32 v6, 4, v6
	s_delay_alu instid0(VALU_DEP_1) | instskip(NEXT) | instid1(VALU_DEP_1)
	v_dual_sub_nc_u32 v5, v6, v5 :: v_dual_ashrrev_i32 v6, 8, v7
	v_add_nc_u32_e32 v5, 0x3c000000, v5
	s_delay_alu instid0(VALU_DEP_1) | instskip(NEXT) | instid1(VALU_DEP_1)
	v_and_or_b32 v5, 0x7f800000, v6, v5
	v_cndmask_b32_e32 v4, 0, v5, vcc_lo
	s_delay_alu instid0(VALU_DEP_1) | instskip(NEXT) | instid1(VALU_DEP_1)
	v_and_or_b32 v3, 0x80000000, v3, v4
	v_cvt_f64_f32_e32 v[6:7], v3
.LBB9_932:
	s_mov_b32 s7, 0
.LBB9_933:
	s_delay_alu instid0(SALU_CYCLE_1)
	s_and_not1_b32 vcc_lo, exec_lo, s7
	s_cbranch_vccnz .LBB9_935
; %bb.934:
	global_load_u8 v3, v[0:1], off
	s_wait_loadcnt 0x0
	v_lshlrev_b32_e32 v4, 25, v3
	v_lshlrev_b16 v3, 8, v3
	s_delay_alu instid0(VALU_DEP_1) | instskip(SKIP_1) | instid1(VALU_DEP_2)
	v_and_or_b32 v6, 0x7f00, v3, 0.5
	v_bfe_i32 v3, v3, 0, 16
	v_dual_add_f32 v6, -0.5, v6 :: v_dual_lshrrev_b32 v5, 4, v4
	v_cmp_gt_u32_e32 vcc_lo, 0x8000000, v4
	s_delay_alu instid0(VALU_DEP_2) | instskip(NEXT) | instid1(VALU_DEP_1)
	v_or_b32_e32 v5, 0x70000000, v5
	v_mul_f32_e32 v5, 0x7800000, v5
	s_delay_alu instid0(VALU_DEP_1) | instskip(NEXT) | instid1(VALU_DEP_1)
	v_cndmask_b32_e32 v4, v5, v6, vcc_lo
	v_and_or_b32 v3, 0x80000000, v3, v4
	s_delay_alu instid0(VALU_DEP_1)
	v_cvt_f64_f32_e32 v[6:7], v3
.LBB9_935:
	s_mov_b32 s7, 0
	s_mov_b32 s8, -1
.LBB9_936:
	s_and_not1_b32 vcc_lo, exec_lo, s7
	s_mov_b32 s7, 0
	s_cbranch_vccnz .LBB9_947
; %bb.937:
	s_cmp_gt_i32 s1, 14
	s_cbranch_scc0 .LBB9_940
; %bb.938:
	s_cmp_eq_u32 s1, 15
	s_cbranch_scc0 .LBB9_943
; %bb.939:
	global_load_u16 v3, v[0:1], off
	s_mov_b32 s6, 0
	s_mov_b32 s8, -1
	s_wait_loadcnt 0x0
	v_lshlrev_b32_e32 v3, 16, v3
	s_delay_alu instid0(VALU_DEP_1)
	v_cvt_f64_f32_e32 v[6:7], v3
	s_branch .LBB9_945
.LBB9_940:
	s_mov_b32 s7, -1
	s_branch .LBB9_944
.LBB9_941:
	s_or_saveexec_b32 s8, s8
	v_mov_b64_e32 v[6:7], 0x7ff8000020000000
	s_xor_b32 exec_lo, exec_lo, s8
	s_cbranch_execz .LBB9_922
.LBB9_942:
	v_cmp_ne_u16_e32 vcc_lo, 0, v3
	v_mov_b64_e32 v[6:7], 0
	s_and_not1_b32 s7, s7, exec_lo
	s_and_b32 s9, vcc_lo, exec_lo
	s_delay_alu instid0(SALU_CYCLE_1)
	s_or_b32 s7, s7, s9
	s_or_b32 exec_lo, exec_lo, s8
	s_and_saveexec_b32 s8, s7
	s_cbranch_execnz .LBB9_923
	s_branch .LBB9_924
.LBB9_943:
	s_mov_b32 s6, -1
.LBB9_944:
                                        ; implicit-def: $vgpr6_vgpr7
.LBB9_945:
	s_and_b32 vcc_lo, exec_lo, s7
	s_mov_b32 s7, 0
	s_cbranch_vccz .LBB9_947
; %bb.946:
	s_cmp_lg_u32 s1, 11
	s_mov_b32 s7, -1
	s_cselect_b32 s1, -1, 0
	s_and_not1_b32 s6, s6, exec_lo
	s_and_b32 s1, s1, exec_lo
	s_delay_alu instid0(SALU_CYCLE_1)
	s_or_b32 s6, s6, s1
.LBB9_947:
	s_mov_b32 s1, 0
.LBB9_948:
	s_delay_alu instid0(SALU_CYCLE_1)
	s_and_b32 s22, s1, exec_lo
	s_and_not1_b32 s1, s0, exec_lo
	s_and_b32 s6, s6, exec_lo
	s_and_b32 s24, s8, exec_lo
	;; [unrolled: 1-line block ×3, first 2 shown]
	s_or_b32 s25, s1, s6
.LBB9_949:
	s_wait_xcnt 0x0
	s_or_b32 exec_lo, exec_lo, s36
	s_delay_alu instid0(SALU_CYCLE_1)
	s_and_not1_b32 s0, s0, exec_lo
	s_and_b32 s1, s25, exec_lo
	s_and_b32 s24, s24, exec_lo
	;; [unrolled: 1-line block ×4, first 2 shown]
	s_or_b32 s0, s0, s1
.LBB9_950:
	s_or_b32 exec_lo, exec_lo, s27
	s_delay_alu instid0(SALU_CYCLE_1)
	s_and_not1_b32 s1, s43, exec_lo
	s_and_b32 s6, s26, exec_lo
	s_and_b32 s0, s0, exec_lo
	s_or_b32 s43, s1, s6
	s_and_not1_b32 s1, s42, exec_lo
	s_and_b32 s24, s24, exec_lo
	s_and_b32 s22, s22, exec_lo
	;; [unrolled: 1-line block ×3, first 2 shown]
	s_or_b32 s42, s1, s0
.LBB9_951:
	s_or_b32 exec_lo, exec_lo, s44
	s_delay_alu instid0(SALU_CYCLE_1)
	s_and_not1_b32 s0, s39, exec_lo
	s_and_b32 s1, s43, exec_lo
	s_and_b32 s6, s42, exec_lo
	s_or_b32 s39, s0, s1
	s_and_not1_b32 s1, s40, exec_lo
	s_and_b32 s0, s24, exec_lo
	s_and_b32 s22, s22, exec_lo
	;; [unrolled: 1-line block ×3, first 2 shown]
	s_or_b32 s40, s1, s6
	s_or_b32 exec_lo, exec_lo, s41
	s_mov_b32 s1, 0
	s_and_saveexec_b32 s6, s40
	s_cbranch_execz .LBB9_284
.LBB9_952:
	s_mov_b32 s1, exec_lo
	s_and_not1_b32 s17, s17, exec_lo
	s_trap 2
	s_or_b32 exec_lo, exec_lo, s6
	s_and_saveexec_b32 s6, s17
	s_delay_alu instid0(SALU_CYCLE_1)
	s_xor_b32 s6, exec_lo, s6
	s_cbranch_execnz .LBB9_285
.LBB9_953:
	s_or_b32 exec_lo, exec_lo, s6
	s_and_saveexec_b32 s6, s22
	s_cbranch_execz .LBB9_999
.LBB9_954:
	s_sext_i32_i16 s7, s13
	s_delay_alu instid0(SALU_CYCLE_1)
	s_cmp_lt_i32 s7, 5
	s_cbranch_scc1 .LBB9_959
; %bb.955:
	s_cmp_lt_i32 s7, 8
	s_cbranch_scc1 .LBB9_960
; %bb.956:
	;; [unrolled: 3-line block ×3, first 2 shown]
	s_cmp_gt_i32 s7, 9
	s_cbranch_scc0 .LBB9_962
; %bb.958:
	s_wait_loadcnt 0x0
	global_load_b64 v[6:7], v[0:1], off
	s_mov_b32 s7, 0
	s_branch .LBB9_963
.LBB9_959:
                                        ; implicit-def: $vgpr6_vgpr7
	s_branch .LBB9_980
.LBB9_960:
                                        ; implicit-def: $vgpr6_vgpr7
	s_branch .LBB9_969
.LBB9_961:
	s_mov_b32 s7, -1
                                        ; implicit-def: $vgpr6_vgpr7
	s_branch .LBB9_966
.LBB9_962:
	s_mov_b32 s7, -1
                                        ; implicit-def: $vgpr6_vgpr7
.LBB9_963:
	s_delay_alu instid0(SALU_CYCLE_1)
	s_and_not1_b32 vcc_lo, exec_lo, s7
	s_cbranch_vccnz .LBB9_965
; %bb.964:
	global_load_b32 v3, v[0:1], off
	s_wait_loadcnt 0x0
	v_cvt_f64_f32_e32 v[6:7], v3
.LBB9_965:
	s_mov_b32 s7, 0
.LBB9_966:
	s_delay_alu instid0(SALU_CYCLE_1)
	s_and_not1_b32 vcc_lo, exec_lo, s7
	s_cbranch_vccnz .LBB9_968
; %bb.967:
	global_load_b32 v3, v[0:1], off
	s_wait_loadcnt 0x0
	v_cvt_f32_f16_e32 v3, v3
	s_delay_alu instid0(VALU_DEP_1)
	v_cvt_f64_f32_e32 v[6:7], v3
.LBB9_968:
	s_cbranch_execnz .LBB9_979
.LBB9_969:
	s_sext_i32_i16 s7, s13
	s_delay_alu instid0(SALU_CYCLE_1)
	s_cmp_lt_i32 s7, 6
	s_cbranch_scc1 .LBB9_972
; %bb.970:
	s_cmp_gt_i32 s7, 6
	s_cbranch_scc0 .LBB9_973
; %bb.971:
	s_wait_loadcnt 0x0
	global_load_b64 v[6:7], v[0:1], off
	s_mov_b32 s7, 0
	s_branch .LBB9_974
.LBB9_972:
	s_mov_b32 s7, -1
                                        ; implicit-def: $vgpr6_vgpr7
	s_branch .LBB9_977
.LBB9_973:
	s_mov_b32 s7, -1
                                        ; implicit-def: $vgpr6_vgpr7
.LBB9_974:
	s_delay_alu instid0(SALU_CYCLE_1)
	s_and_not1_b32 vcc_lo, exec_lo, s7
	s_cbranch_vccnz .LBB9_976
; %bb.975:
	global_load_b32 v3, v[0:1], off
	s_wait_loadcnt 0x0
	v_cvt_f64_f32_e32 v[6:7], v3
.LBB9_976:
	s_mov_b32 s7, 0
.LBB9_977:
	s_delay_alu instid0(SALU_CYCLE_1)
	s_and_not1_b32 vcc_lo, exec_lo, s7
	s_cbranch_vccnz .LBB9_979
; %bb.978:
	global_load_u16 v3, v[0:1], off
	s_wait_loadcnt 0x0
	v_cvt_f32_f16_e32 v3, v3
	s_delay_alu instid0(VALU_DEP_1)
	v_cvt_f64_f32_e32 v[6:7], v3
.LBB9_979:
	s_cbranch_execnz .LBB9_998
.LBB9_980:
	s_sext_i32_i16 s7, s13
	s_delay_alu instid0(SALU_CYCLE_1)
	s_cmp_lt_i32 s7, 2
	s_cbranch_scc1 .LBB9_984
; %bb.981:
	s_cmp_lt_i32 s7, 3
	s_cbranch_scc1 .LBB9_985
; %bb.982:
	s_cmp_gt_i32 s7, 3
	s_cbranch_scc0 .LBB9_986
; %bb.983:
	global_load_b64 v[4:5], v[0:1], off
	s_mov_b32 s7, 0
	s_wait_loadcnt 0x0
	v_cvt_f64_i32_e32 v[6:7], v5
	v_cvt_f64_u32_e32 v[4:5], v4
	s_delay_alu instid0(VALU_DEP_2) | instskip(NEXT) | instid1(VALU_DEP_1)
	v_ldexp_f64 v[6:7], v[6:7], 32
	v_add_f64_e32 v[6:7], v[6:7], v[4:5]
	s_branch .LBB9_987
.LBB9_984:
                                        ; implicit-def: $vgpr6_vgpr7
	s_branch .LBB9_993
.LBB9_985:
	s_mov_b32 s7, -1
                                        ; implicit-def: $vgpr6_vgpr7
	s_branch .LBB9_990
.LBB9_986:
	s_mov_b32 s7, -1
                                        ; implicit-def: $vgpr6_vgpr7
.LBB9_987:
	s_delay_alu instid0(SALU_CYCLE_1)
	s_and_not1_b32 vcc_lo, exec_lo, s7
	s_cbranch_vccnz .LBB9_989
; %bb.988:
	global_load_b32 v3, v[0:1], off
	s_wait_loadcnt 0x0
	v_cvt_f64_i32_e32 v[6:7], v3
.LBB9_989:
	s_mov_b32 s7, 0
.LBB9_990:
	s_delay_alu instid0(SALU_CYCLE_1)
	s_and_not1_b32 vcc_lo, exec_lo, s7
	s_cbranch_vccnz .LBB9_992
; %bb.991:
	global_load_i16 v3, v[0:1], off
	s_wait_loadcnt 0x0
	v_cvt_f64_i32_e32 v[6:7], v3
.LBB9_992:
	s_cbranch_execnz .LBB9_998
.LBB9_993:
	s_sext_i32_i16 s7, s13
	s_delay_alu instid0(SALU_CYCLE_1)
	s_cmp_gt_i32 s7, 0
	s_mov_b32 s7, 0
	s_cbranch_scc0 .LBB9_995
; %bb.994:
	global_load_i8 v3, v[0:1], off
	s_wait_loadcnt 0x0
	v_cvt_f64_i32_e32 v[6:7], v3
	s_branch .LBB9_996
.LBB9_995:
	s_mov_b32 s7, -1
                                        ; implicit-def: $vgpr6_vgpr7
.LBB9_996:
	s_delay_alu instid0(SALU_CYCLE_1)
	s_and_not1_b32 vcc_lo, exec_lo, s7
	s_cbranch_vccnz .LBB9_998
; %bb.997:
	global_load_u8 v0, v[0:1], off
	s_wait_loadcnt 0x0
	v_cvt_f64_u32_e32 v[6:7], v0
.LBB9_998:
	s_or_b32 s0, s0, exec_lo
.LBB9_999:
	s_wait_xcnt 0x0
	s_or_b32 exec_lo, exec_lo, s6
	s_mov_b32 s9, 0
	s_mov_b32 s8, 0
                                        ; implicit-def: $sgpr7
                                        ; implicit-def: $vgpr4_vgpr5
                                        ; implicit-def: $vgpr0_vgpr1
	s_and_saveexec_b32 s6, s0
	s_cbranch_execz .LBB9_1015
; %bb.1000:
	v_mov_b64_e32 v[0:1], 0x7ff0000000000000
	s_mov_b32 s7, exec_lo
	s_wait_loadcnt 0x0
	s_delay_alu instid0(VALU_DEP_2)
	v_cmpx_neq_f64_e32 0, v[6:7]
	s_cbranch_execz .LBB9_1008
; %bb.1001:
	v_mov_b64_e32 v[0:1], 0x7ff8000000000000
	s_mov_b32 s8, exec_lo
	v_cmpx_ngt_f64_e32 0, v[6:7]
	s_cbranch_execz .LBB9_1007
; %bb.1002:
                                        ; implicit-def: $vgpr0_vgpr1
	s_mov_b32 s0, exec_lo
	v_cmpx_ge_f64_e32 2.0, v[6:7]
	s_xor_b32 s9, exec_lo, s0
	s_cbranch_execz .LBB9_1004
; %bb.1003:
	v_fma_f64 v[0:1], v[6:7], 0.5, -2.0
	s_mov_b64 s[10:11], 0xbc545cb72134d0ef
	v_mul_f64_e32 v[10:11], 0.5, v[6:7]
	s_delay_alu instid0(VALU_DEP_2) | instskip(SKIP_1) | instid1(VALU_DEP_2)
	v_fmaak_f64 v[4:5], s[10:11], v[0:1], 0x3c833362977da589
	s_mov_b64 s[10:11], 0x3fe5555555555555
	v_frexp_mant_f64_e32 v[12:13], v[10:11]
	v_cmp_neq_f64_e64 s0, 0, v[10:11]
	s_delay_alu instid0(VALU_DEP_3) | instskip(NEXT) | instid1(VALU_DEP_1)
	v_fmaak_f64 v[8:9], v[0:1], v[4:5], 0x3c545cb72134d0ef
	v_add_f64_e32 v[8:9], 0xbcb184eb721ebbb4, v[8:9]
	s_delay_alu instid0(VALU_DEP_4) | instskip(SKIP_1) | instid1(VALU_DEP_2)
	v_cmp_gt_f64_e32 vcc_lo, s[10:11], v[12:13]
	s_mov_b64 s[10:11], 0x3fc3ab76bf559e2b
	v_fma_f64 v[4:5], v[0:1], v[8:9], -v[4:5]
	v_cndmask_b32_e64 v3, 0, 1, vcc_lo
	s_delay_alu instid0(VALU_DEP_1) | instskip(SKIP_1) | instid1(VALU_DEP_4)
	v_ldexp_f64 v[12:13], v[12:13], v3
	v_frexp_exp_i32_f64_e32 v3, v[10:11]
	v_add_f64_e32 v[4:5], 0x3cdee6d893f65eba, v[4:5]
	s_delay_alu instid0(VALU_DEP_3) | instskip(SKIP_1) | instid1(VALU_DEP_4)
	v_add_f64_e32 v[14:15], 1.0, v[12:13]
	v_add_f64_e32 v[20:21], -1.0, v[12:13]
	v_subrev_co_ci_u32_e64 v3, null, 0, v3, vcc_lo
	v_cmp_neq_f64_e32 vcc_lo, 0x7ff00000, v[10:11]
	v_fma_f64 v[8:9], v[0:1], v[4:5], -v[8:9]
	v_rcp_f64_e32 v[16:17], v[14:15]
	v_add_f64_e32 v[22:23], -1.0, v[14:15]
	s_delay_alu instid0(VALU_DEP_2) | instskip(NEXT) | instid1(VALU_DEP_2)
	v_add_f64_e32 v[8:9], 0xbd0a5022c297fbeb, v[8:9]
	v_add_f64_e64 v[12:13], v[12:13], -v[22:23]
	s_delay_alu instid0(TRANS32_DEP_1) | instskip(NEXT) | instid1(VALU_DEP_3)
	v_fma_f64 v[18:19], -v[14:15], v[16:17], 1.0
	v_fma_f64 v[4:5], v[0:1], v[8:9], -v[4:5]
	s_delay_alu instid0(VALU_DEP_2) | instskip(NEXT) | instid1(VALU_DEP_2)
	v_fmac_f64_e32 v[16:17], v[18:19], v[16:17]
	v_add_f64_e32 v[4:5], 0x3d359b464b262627, v[4:5]
	s_delay_alu instid0(VALU_DEP_2) | instskip(NEXT) | instid1(VALU_DEP_2)
	v_fma_f64 v[18:19], -v[14:15], v[16:17], 1.0
	v_fma_f64 v[8:9], v[0:1], v[4:5], -v[8:9]
	s_delay_alu instid0(VALU_DEP_2) | instskip(NEXT) | instid1(VALU_DEP_2)
	v_fmac_f64_e32 v[16:17], v[18:19], v[16:17]
	v_add_f64_e32 v[8:9], 0xbd61164c62ee1af0, v[8:9]
	s_delay_alu instid0(VALU_DEP_2) | instskip(NEXT) | instid1(VALU_DEP_2)
	v_mul_f64_e32 v[18:19], v[20:21], v[16:17]
	v_fma_f64 v[4:5], v[0:1], v[8:9], -v[4:5]
	s_delay_alu instid0(VALU_DEP_2) | instskip(NEXT) | instid1(VALU_DEP_2)
	v_mul_f64_e32 v[24:25], v[14:15], v[18:19]
	v_add_f64_e32 v[4:5], 0x3d89fe2fe19bd324, v[4:5]
	s_delay_alu instid0(VALU_DEP_2) | instskip(NEXT) | instid1(VALU_DEP_2)
	v_fma_f64 v[14:15], v[18:19], v[14:15], -v[24:25]
	v_fma_f64 v[8:9], v[0:1], v[4:5], -v[8:9]
	s_delay_alu instid0(VALU_DEP_2) | instskip(NEXT) | instid1(VALU_DEP_2)
	v_fmac_f64_e32 v[14:15], v[18:19], v[12:13]
	v_add_f64_e32 v[8:9], 0xbdb2fc957a946abc, v[8:9]
	s_delay_alu instid0(VALU_DEP_2) | instskip(NEXT) | instid1(VALU_DEP_2)
	v_add_f64_e32 v[12:13], v[24:25], v[14:15]
	v_fma_f64 v[4:5], v[0:1], v[8:9], -v[4:5]
	s_delay_alu instid0(VALU_DEP_2) | instskip(NEXT) | instid1(VALU_DEP_2)
	v_add_f64_e64 v[22:23], v[20:21], -v[12:13]
	v_add_f64_e32 v[4:5], 0x3dda98becc743c10, v[4:5]
	v_add_f64_e64 v[24:25], v[12:13], -v[24:25]
	s_delay_alu instid0(VALU_DEP_3) | instskip(NEXT) | instid1(VALU_DEP_3)
	v_add_f64_e64 v[20:21], v[20:21], -v[22:23]
	v_fma_f64 v[8:9], v[0:1], v[4:5], -v[8:9]
	s_delay_alu instid0(VALU_DEP_3) | instskip(SKIP_1) | instid1(VALU_DEP_4)
	v_add_f64_e64 v[14:15], v[24:25], -v[14:15]
	v_cvt_f64_i32_e32 v[24:25], v3
	v_add_f64_e64 v[12:13], v[20:21], -v[12:13]
	s_delay_alu instid0(VALU_DEP_4) | instskip(NEXT) | instid1(VALU_DEP_3)
	v_add_f64_e32 v[8:9], 0xbe01d4fe13ae9556, v[8:9]
	v_mul_f64_e32 v[26:27], 0x3fe62e42fefa39ef, v[24:25]
	s_delay_alu instid0(VALU_DEP_3) | instskip(NEXT) | instid1(VALU_DEP_3)
	v_add_f64_e32 v[12:13], v[14:15], v[12:13]
	v_fma_f64 v[4:5], v[0:1], v[8:9], -v[4:5]
	s_delay_alu instid0(VALU_DEP_2) | instskip(NEXT) | instid1(VALU_DEP_2)
	v_add_f64_e32 v[12:13], v[22:23], v[12:13]
	v_add_f64_e32 v[4:5], 0x3e26d903a454cb34, v[4:5]
	s_delay_alu instid0(VALU_DEP_2) | instskip(NEXT) | instid1(VALU_DEP_2)
	v_mul_f64_e32 v[12:13], v[16:17], v[12:13]
	v_fma_f64 v[8:9], v[0:1], v[4:5], -v[8:9]
	s_delay_alu instid0(VALU_DEP_2) | instskip(NEXT) | instid1(VALU_DEP_2)
	v_add_f64_e32 v[14:15], v[18:19], v[12:13]
	v_add_f64_e32 v[8:9], 0xbe4beaf68c0b30ab, v[8:9]
	s_delay_alu instid0(VALU_DEP_2) | instskip(NEXT) | instid1(VALU_DEP_2)
	v_mul_f64_e32 v[16:17], v[14:15], v[14:15]
	v_fma_f64 v[4:5], v[0:1], v[8:9], -v[4:5]
	s_delay_alu instid0(VALU_DEP_2) | instskip(NEXT) | instid1(VALU_DEP_2)
	v_fmaak_f64 v[20:21], s[10:11], v[16:17], 0x3fc385386b47b09a
	v_add_f64_e32 v[4:5], 0x3e703b769d4d6435, v[4:5]
	v_mul_f64_e32 v[22:23], v[14:15], v[16:17]
	s_mov_b64 s[10:11], 0x3ca3cee1e6a7fd77
	s_delay_alu instid0(VALU_DEP_3) | instskip(NEXT) | instid1(VALU_DEP_1)
	v_fmaak_f64 v[20:21], v[16:17], v[20:21], 0x3fc7474dd7f4df2e
	v_fmaak_f64 v[20:21], v[16:17], v[20:21], 0x3fcc71c016291751
	s_delay_alu instid0(VALU_DEP_1) | instskip(NEXT) | instid1(VALU_DEP_1)
	v_fmaak_f64 v[20:21], v[16:17], v[20:21], 0x3fd249249b27acf1
	v_fmaak_f64 v[20:21], v[16:17], v[20:21], 0x3fd99999998ef7b6
	v_fma_f64 v[8:9], v[0:1], v[4:5], -v[8:9]
	s_delay_alu instid0(VALU_DEP_2) | instskip(SKIP_2) | instid1(VALU_DEP_3)
	v_fmaak_f64 v[16:17], v[16:17], v[20:21], 0x3fe5555555555780
	v_ldexp_f64 v[20:21], v[14:15], 1
	v_add_f64_e64 v[14:15], v[14:15], -v[18:19]
	v_mul_f64_e32 v[16:17], v[22:23], v[16:17]
	v_fma_f64 v[22:23], v[6:7], v[6:7], -2.0
	v_add_f64_e32 v[8:9], 0xbe91ec638f227f8d, v[8:9]
	s_delay_alu instid0(VALU_DEP_4) | instskip(NEXT) | instid1(VALU_DEP_4)
	v_add_f64_e64 v[12:13], v[12:13], -v[14:15]
	v_add_f64_e32 v[18:19], v[20:21], v[16:17]
	s_delay_alu instid0(VALU_DEP_3) | instskip(NEXT) | instid1(VALU_DEP_3)
	v_fma_f64 v[4:5], v[0:1], v[8:9], -v[4:5]
	v_ldexp_f64 v[12:13], v[12:13], 1
	s_delay_alu instid0(VALU_DEP_3) | instskip(SKIP_2) | instid1(VALU_DEP_1)
	v_add_f64_e64 v[14:15], v[18:19], -v[20:21]
	v_fmaak_f64 v[20:21], s[10:11], v[22:23], 0x3d27fb0ac384c2aa
	s_mov_b64 s[10:11], 0x3fe62e42fefa39ef
	v_fmaak_f64 v[28:29], v[22:23], v[20:21], 0xbca3cee1e6a7fd77
	v_add_f64_e32 v[4:5], 0x3eb2bf24978cf4ac, v[4:5]
	s_delay_alu instid0(VALU_DEP_4) | instskip(NEXT) | instid1(VALU_DEP_3)
	v_add_f64_e64 v[14:15], v[16:17], -v[14:15]
	v_add_f64_e32 v[16:17], 0x3da6c25c47512144, v[28:29]
	v_fma_f64 v[28:29], v[24:25], s[10:11], -v[26:27]
	s_mov_b64 s[10:11], 0x3e5ade156a5dcb37
	s_delay_alu instid0(VALU_DEP_4) | instskip(NEXT) | instid1(VALU_DEP_4)
	v_fma_f64 v[8:9], v[0:1], v[4:5], -v[8:9]
	v_add_f64_e32 v[12:13], v[12:13], v[14:15]
	s_delay_alu instid0(VALU_DEP_4) | instskip(NEXT) | instid1(VALU_DEP_4)
	v_fma_f64 v[14:15], v[22:23], v[16:17], -v[20:21]
	v_fmamk_f64 v[20:21], v[24:25], 0x3c7abc9e3b39803f, v[28:29]
	s_delay_alu instid0(VALU_DEP_1) | instskip(SKIP_3) | instid1(VALU_DEP_4)
	v_add_f64_e32 v[28:29], v[26:27], v[20:21]
	v_add_f64_e32 v[8:9], 0xbed2866fcba56427, v[8:9]
	;; [unrolled: 1-line block ×4, first 2 shown]
	v_add_f64_e64 v[26:27], v[28:29], -v[26:27]
	s_delay_alu instid0(VALU_DEP_4) | instskip(NEXT) | instid1(VALU_DEP_4)
	v_fma_f64 v[4:5], v[0:1], v[8:9], -v[4:5]
	v_add_f64_e32 v[30:31], v[28:29], v[24:25]
	s_delay_alu instid0(VALU_DEP_4) | instskip(SKIP_1) | instid1(VALU_DEP_4)
	v_fma_f64 v[16:17], v[22:23], v[14:15], -v[16:17]
	v_add_f64_e64 v[18:19], v[24:25], -v[18:19]
	v_add_f64_e32 v[4:5], 0x3ef13f58be9a2859, v[4:5]
	s_delay_alu instid0(VALU_DEP_4) | instskip(NEXT) | instid1(VALU_DEP_4)
	v_add_f64_e64 v[32:33], v[30:31], -v[28:29]
	v_add_f64_e32 v[16:17], 0x3e9102bce7f95efc, v[16:17]
	s_delay_alu instid0(VALU_DEP_4)
	v_add_f64_e64 v[12:13], v[12:13], -v[18:19]
	v_add_f64_e64 v[18:19], v[20:21], -v[26:27]
	v_mul_f64_e32 v[26:27], 0x3ff71547652b82fe, v[6:7]
	v_fma_f64 v[8:9], v[0:1], v[4:5], -v[8:9]
	v_add_f64_e64 v[34:35], v[30:31], -v[32:33]
	v_fma_f64 v[14:15], v[22:23], v[16:17], -v[14:15]
	v_add_f64_e64 v[24:25], v[24:25], -v[32:33]
	s_delay_alu instid0(VALU_DEP_4) | instskip(NEXT) | instid1(VALU_DEP_4)
	v_add_f64_e32 v[8:9], 0xbf0e2b2659c41d5a, v[8:9]
	v_add_f64_e64 v[20:21], v[28:29], -v[34:35]
	s_delay_alu instid0(VALU_DEP_4) | instskip(SKIP_1) | instid1(VALU_DEP_4)
	v_add_f64_e32 v[14:15], 0x3ef7f900fe8cfca0, v[14:15]
	v_add_f64_e32 v[28:29], v[18:19], v[12:13]
	v_fma_f64 v[4:5], v[0:1], v[8:9], -v[4:5]
	s_delay_alu instid0(VALU_DEP_4) | instskip(NEXT) | instid1(VALU_DEP_4)
	v_add_f64_e32 v[20:21], v[24:25], v[20:21]
	v_fma_f64 v[16:17], v[22:23], v[14:15], -v[16:17]
	v_rndne_f64_e32 v[24:25], v[26:27]
	v_add_f64_e64 v[26:27], v[28:29], -v[18:19]
	v_add_f64_e32 v[4:5], 0x3f28b51b74107cab, v[4:5]
	v_add_f64_e32 v[20:21], v[28:29], v[20:21]
	;; [unrolled: 1-line block ×3, first 2 shown]
	v_fmamk_f64 v[6:7], v[24:25], 0xbfe62e42fefa39ef, v[6:7]
	v_add_f64_e64 v[28:29], v[28:29], -v[26:27]
	v_add_f64_e64 v[12:13], v[12:13], -v[26:27]
	v_cvt_i32_f64_e32 v3, v[24:25]
	s_delay_alu instid0(VALU_DEP_4) | instskip(NEXT) | instid1(VALU_DEP_1)
	v_fmamk_f64 v[6:7], v[24:25], 0xbc7abc9e3b39803f, v[6:7]
	v_fmaak_f64 v[34:35], s[10:11], v[6:7], 0x3e928af3fca7ab0c
	s_delay_alu instid0(VALU_DEP_1) | instskip(SKIP_1) | instid1(VALU_DEP_2)
	v_fmaak_f64 v[34:35], v[6:7], v[34:35], 0x3ec71dee623fde64
	v_fma_f64 v[8:9], v[0:1], v[4:5], -v[8:9]
	v_fmaak_f64 v[34:35], v[6:7], v[34:35], 0x3efa01997c89e6b0
	v_add_f64_e32 v[32:33], v[30:31], v[20:21]
	v_fma_f64 v[14:15], v[22:23], v[16:17], -v[14:15]
	v_add_f64_e64 v[18:19], v[18:19], -v[28:29]
	s_delay_alu instid0(VALU_DEP_4) | instskip(NEXT) | instid1(VALU_DEP_1)
	v_fmaak_f64 v[34:35], v[6:7], v[34:35], 0x3f2a01a014761f6e
	v_fmaak_f64 v[28:29], v[6:7], v[34:35], 0x3f56c16c1852b7b0
	v_add_f64_e32 v[8:9], 0xbf42e2fd1f15eb52, v[8:9]
	v_add_f64_e64 v[26:27], v[32:33], -v[30:31]
	v_add_f64_e32 v[14:15], 0x3fa26bf6554a9085, v[14:15]
	v_add_f64_e32 v[12:13], v[12:13], v[18:19]
	s_delay_alu instid0(VALU_DEP_4) | instskip(NEXT) | instid1(VALU_DEP_4)
	v_fma_f64 v[4:5], v[0:1], v[8:9], -v[4:5]
	v_add_f64_e64 v[18:19], v[20:21], -v[26:27]
	s_delay_alu instid0(VALU_DEP_4) | instskip(NEXT) | instid1(VALU_DEP_3)
	v_fma_f64 v[16:17], v[22:23], v[14:15], -v[16:17]
	v_add_f64_e32 v[4:5], 0x3f5adc758a12100e, v[4:5]
	s_delay_alu instid0(VALU_DEP_3) | instskip(NEXT) | instid1(VALU_DEP_3)
	v_add_f64_e32 v[12:13], v[12:13], v[18:19]
	v_add_f64_e32 v[16:17], 0x3fd608d881213db9, v[16:17]
	s_delay_alu instid0(VALU_DEP_3) | instskip(NEXT) | instid1(VALU_DEP_1)
	v_fma_f64 v[8:9], v[0:1], v[4:5], -v[8:9]
	v_add_f64_e32 v[8:9], 0xbf71b65e201aa849, v[8:9]
	s_delay_alu instid0(VALU_DEP_1) | instskip(NEXT) | instid1(VALU_DEP_1)
	v_fma_f64 v[4:5], v[0:1], v[8:9], -v[4:5]
	v_add_f64_e32 v[4:5], 0x3f859961f3dde3dd, v[4:5]
	s_delay_alu instid0(VALU_DEP_1) | instskip(NEXT) | instid1(VALU_DEP_1)
	;; [unrolled: 3-line block ×6, first 2 shown]
	v_fma_f64 v[8:9], v[0:1], v[4:5], -v[8:9]
	v_add_f64_e32 v[8:9], 0xbfd37febc057cd8d, v[8:9]
	s_delay_alu instid0(VALU_DEP_1) | instskip(SKIP_1) | instid1(VALU_DEP_1)
	v_fma_f64 v[0:1], v[0:1], v[8:9], -v[4:5]
	v_fmaak_f64 v[8:9], v[6:7], v[28:29], 0x3f81111111122322
	v_fmaak_f64 v[8:9], v[6:7], v[8:9], 0x3fa55555555502a1
	s_delay_alu instid0(VALU_DEP_1) | instskip(NEXT) | instid1(VALU_DEP_1)
	v_fmaak_f64 v[8:9], v[6:7], v[8:9], 0x3fc5555555555511
	v_fmaak_f64 v[8:9], v[6:7], v[8:9], 0x3fe000000000000b
	s_delay_alu instid0(VALU_DEP_1) | instskip(SKIP_1) | instid1(VALU_DEP_2)
	v_fma_f64 v[8:9], v[6:7], v[8:9], 1.0
	v_add_f64_e32 v[0:1], 0x3fe5a84e9035a22a, v[0:1]
	v_fma_f64 v[6:7], v[6:7], v[8:9], 1.0
	v_fma_f64 v[8:9], v[22:23], v[16:17], -v[14:15]
	s_delay_alu instid0(VALU_DEP_3) | instskip(SKIP_1) | instid1(VALU_DEP_4)
	v_add_f64_e64 v[0:1], v[0:1], -v[4:5]
	v_add_f64_e32 v[4:5], v[32:33], v[12:13]
	v_ldexp_f64 v[6:7], v[6:7], v3
	s_delay_alu instid0(VALU_DEP_4) | instskip(NEXT) | instid1(VALU_DEP_4)
	v_add_f64_e32 v[8:9], 0xbfe12166e9d2f61f, v[8:9]
	v_mul_f64_e32 v[0:1], 0.5, v[0:1]
	s_delay_alu instid0(VALU_DEP_4) | instskip(SKIP_2) | instid1(VALU_DEP_2)
	v_cndmask_b32_e32 v3, 0x7ff00000, v5, vcc_lo
	s_and_b32 vcc_lo, s0, vcc_lo
	v_cndmask_b32_e32 v4, 0, v4, vcc_lo
	v_cndmask_b32_e64 v5, 0xfff00000, v3, s0
	v_add_f64_e64 v[8:9], v[8:9], -v[14:15]
	v_mul_f64_e32 v[0:1], v[6:7], v[0:1]
	s_delay_alu instid0(VALU_DEP_1) | instskip(NEXT) | instid1(VALU_DEP_1)
	v_mul_f64_e32 v[0:1], v[4:5], v[0:1]
	v_fma_f64 v[0:1], v[8:9], 0.5, -v[0:1]
	s_delay_alu instid0(VALU_DEP_1)
	v_mul_f64_e32 v[0:1], v[6:7], v[0:1]
                                        ; implicit-def: $vgpr6_vgpr7
.LBB9_1004:
	s_and_not1_saveexec_b32 s0, s9
	s_cbranch_execz .LBB9_1006
; %bb.1005:
	v_div_scale_f64 v[0:1], null, v[6:7], v[6:7], 0x40200000
	v_div_scale_f64 v[10:11], vcc_lo, 0x40200000, v[6:7], 0x40200000
	s_mov_b64 s[10:11], 0x3c5871a5cf8c9ee1
	v_rcp_f64_e32 v[4:5], v[0:1]
	v_nop
	s_delay_alu instid0(TRANS32_DEP_1) | instskip(NEXT) | instid1(VALU_DEP_1)
	v_fma_f64 v[8:9], -v[0:1], v[4:5], 1.0
	v_fmac_f64_e32 v[4:5], v[4:5], v[8:9]
	s_delay_alu instid0(VALU_DEP_1) | instskip(NEXT) | instid1(VALU_DEP_1)
	v_fma_f64 v[8:9], -v[0:1], v[4:5], 1.0
	v_fmac_f64_e32 v[4:5], v[4:5], v[8:9]
	s_delay_alu instid0(VALU_DEP_1) | instskip(NEXT) | instid1(VALU_DEP_1)
	v_mul_f64_e32 v[8:9], v[10:11], v[4:5]
	v_fma_f64 v[0:1], -v[0:1], v[8:9], v[10:11]
	s_delay_alu instid0(VALU_DEP_1) | instskip(SKIP_1) | instid1(VALU_DEP_2)
	v_div_fmas_f64 v[0:1], v[0:1], v[4:5], v[8:9]
	v_cmp_gt_f64_e32 vcc_lo, 0x10000000, v[6:7]
	v_div_fixup_f64 v[0:1], v[0:1], v[6:7], 0x40200000
	v_cndmask_b32_e64 v3, 0, 0x100, vcc_lo
	s_delay_alu instid0(VALU_DEP_1) | instskip(SKIP_1) | instid1(VALU_DEP_2)
	v_ldexp_f64 v[6:7], v[6:7], v3
	v_cndmask_b32_e64 v3, 0, 0xffffff80, vcc_lo
	v_cmp_class_f64_e64 vcc_lo, v[6:7], 0x260
	v_add_f64_e32 v[0:1], -2.0, v[0:1]
	v_rsq_f64_e32 v[10:11], v[6:7]
	s_delay_alu instid0(VALU_DEP_1) | instskip(NEXT) | instid1(TRANS32_DEP_1)
	v_fmaak_f64 v[4:5], s[10:11], v[0:1], 0xbc72fecc93812603
	v_mul_f64_e32 v[12:13], v[6:7], v[10:11]
	s_delay_alu instid0(VALU_DEP_2) | instskip(SKIP_1) | instid1(VALU_DEP_2)
	v_fmaak_f64 v[8:9], v[0:1], v[4:5], 0xbc5871a5cf8c9ee1
	v_mul_f64_e32 v[10:11], 0.5, v[10:11]
	v_add_f64_e32 v[8:9], 0x3c8e092e41a8cdf4, v[8:9]
	s_delay_alu instid0(VALU_DEP_2) | instskip(NEXT) | instid1(VALU_DEP_2)
	v_fma_f64 v[14:15], -v[10:11], v[12:13], 0.5
	v_fma_f64 v[4:5], v[0:1], v[8:9], -v[4:5]
	s_delay_alu instid0(VALU_DEP_2) | instskip(SKIP_1) | instid1(VALU_DEP_3)
	v_fmac_f64_e32 v[12:13], v[12:13], v[14:15]
	v_fmac_f64_e32 v[10:11], v[10:11], v[14:15]
	v_add_f64_e32 v[4:5], 0xbca82f9474d77641, v[4:5]
	s_delay_alu instid0(VALU_DEP_3) | instskip(NEXT) | instid1(VALU_DEP_2)
	v_fma_f64 v[14:15], -v[12:13], v[12:13], v[6:7]
	v_fma_f64 v[8:9], v[0:1], v[4:5], -v[8:9]
	s_delay_alu instid0(VALU_DEP_2) | instskip(NEXT) | instid1(VALU_DEP_2)
	v_fmac_f64_e32 v[12:13], v[14:15], v[10:11]
	v_add_f64_e32 v[8:9], 0x3cc3dbf96b94785b, v[8:9]
	s_delay_alu instid0(VALU_DEP_1) | instskip(NEXT) | instid1(VALU_DEP_1)
	v_fma_f64 v[4:5], v[0:1], v[8:9], -v[4:5]
	v_add_f64_e32 v[4:5], 0xbce0a690ecfadd36, v[4:5]
	s_delay_alu instid0(VALU_DEP_1) | instskip(NEXT) | instid1(VALU_DEP_1)
	v_fma_f64 v[8:9], v[0:1], v[4:5], -v[8:9]
	;; [unrolled: 3-line block ×19, first 2 shown]
	v_add_f64_e32 v[4:5], 0xbfa019f72d4ff71e, v[4:5]
	s_delay_alu instid0(VALU_DEP_1) | instskip(SKIP_1) | instid1(VALU_DEP_2)
	v_fma_f64 v[0:1], v[0:1], v[4:5], -v[8:9]
	v_fma_f64 v[4:5], -v[12:13], v[12:13], v[6:7]
	v_add_f64_e32 v[0:1], 0x400385bd9f4e6907, v[0:1]
	s_delay_alu instid0(VALU_DEP_2) | instskip(NEXT) | instid1(VALU_DEP_2)
	v_fmac_f64_e32 v[12:13], v[4:5], v[10:11]
	v_add_f64_e64 v[0:1], v[0:1], -v[8:9]
	s_delay_alu instid0(VALU_DEP_2) | instskip(NEXT) | instid1(VALU_DEP_1)
	v_ldexp_f64 v[4:5], v[12:13], v3
	v_dual_mul_f64 v[0:1], 0.5, v[0:1] :: v_dual_cndmask_b32 v5, v5, v7, vcc_lo
	s_delay_alu instid0(VALU_DEP_2) | instskip(NEXT) | instid1(VALU_DEP_1)
	v_cndmask_b32_e32 v4, v4, v6, vcc_lo
	v_div_scale_f64 v[6:7], null, v[4:5], v[4:5], v[0:1]
	s_delay_alu instid0(VALU_DEP_1) | instskip(SKIP_1) | instid1(TRANS32_DEP_1)
	v_rcp_f64_e32 v[8:9], v[6:7]
	v_nop
	v_fma_f64 v[10:11], -v[6:7], v[8:9], 1.0
	s_delay_alu instid0(VALU_DEP_1) | instskip(NEXT) | instid1(VALU_DEP_1)
	v_fmac_f64_e32 v[8:9], v[8:9], v[10:11]
	v_fma_f64 v[10:11], -v[6:7], v[8:9], 1.0
	s_delay_alu instid0(VALU_DEP_1) | instskip(SKIP_1) | instid1(VALU_DEP_1)
	v_fmac_f64_e32 v[8:9], v[8:9], v[10:11]
	v_div_scale_f64 v[10:11], vcc_lo, v[0:1], v[4:5], v[0:1]
	v_mul_f64_e32 v[12:13], v[10:11], v[8:9]
	s_delay_alu instid0(VALU_DEP_1) | instskip(NEXT) | instid1(VALU_DEP_1)
	v_fma_f64 v[6:7], -v[6:7], v[12:13], v[10:11]
	v_div_fmas_f64 v[6:7], v[6:7], v[8:9], v[12:13]
	s_delay_alu instid0(VALU_DEP_1)
	v_div_fixup_f64 v[0:1], v[6:7], v[4:5], v[0:1]
.LBB9_1006:
	s_or_b32 exec_lo, exec_lo, s0
.LBB9_1007:
	s_delay_alu instid0(SALU_CYCLE_1)
	s_or_b32 exec_lo, exec_lo, s8
.LBB9_1008:
	s_delay_alu instid0(SALU_CYCLE_1) | instskip(SKIP_2) | instid1(SALU_CYCLE_1)
	s_or_b32 exec_lo, exec_lo, s7
	v_mov_b32_e32 v3, 0
	s_and_b32 s7, s34, 0xff
	s_cmp_lt_i32 s7, 11
	s_delay_alu instid0(VALU_DEP_1)
	v_add_nc_u64_e32 v[4:5], s[4:5], v[2:3]
	s_cbranch_scc1 .LBB9_1018
; %bb.1009:
	s_and_b32 s4, 0xffff, s7
	s_mov_b32 s5, -1
	s_cmp_gt_i32 s4, 25
	s_mov_b32 s0, s39
	s_cbranch_scc0 .LBB9_1046
; %bb.1010:
	s_cmp_gt_i32 s4, 28
	s_mov_b32 s0, s39
	s_cbranch_scc0 .LBB9_1030
; %bb.1011:
	;; [unrolled: 4-line block ×4, first 2 shown]
	s_cmp_eq_u32 s4, 46
	s_mov_b32 s0, -1
	s_cbranch_scc0 .LBB9_1019
; %bb.1014:
	s_delay_alu instid0(VALU_DEP_3) | instskip(SKIP_2) | instid1(VALU_DEP_1)
	v_cvt_f32_f64_e32 v2, v[0:1]
	s_mov_b32 s0, 0
	s_mov_b32 s5, 0
	v_bfe_u32 v3, v2, 16, 1
	v_cmp_o_f32_e32 vcc_lo, v2, v2
	s_delay_alu instid0(VALU_DEP_2) | instskip(NEXT) | instid1(VALU_DEP_1)
	v_add3_u32 v3, v2, v3, 0x7fff
	v_lshrrev_b32_e32 v3, 16, v3
	s_delay_alu instid0(VALU_DEP_1)
	v_cndmask_b32_e32 v2, 0x7fc0, v3, vcc_lo
	global_store_b32 v[4:5], v2, off
	s_branch .LBB9_1020
.LBB9_1015:
	s_or_b32 exec_lo, exec_lo, s6
	s_and_saveexec_b32 s0, s39
	s_cbranch_execnz .LBB9_1088
.LBB9_1016:
	s_or_b32 exec_lo, exec_lo, s0
	s_and_saveexec_b32 s0, s9
	s_delay_alu instid0(SALU_CYCLE_1)
	s_xor_b32 s0, exec_lo, s0
	s_cbranch_execz .LBB9_1089
.LBB9_1017:
	s_delay_alu instid0(VALU_DEP_3)
	v_cmp_neq_f64_e32 vcc_lo, 0, v[0:1]
	v_cndmask_b32_e64 v2, 0, 1, vcc_lo
	global_store_b8 v[4:5], v2, off
	s_wait_xcnt 0x0
	s_or_b32 exec_lo, exec_lo, s0
	s_and_saveexec_b32 s0, s8
	s_delay_alu instid0(SALU_CYCLE_1)
	s_xor_b32 s0, exec_lo, s0
	s_cbranch_execz .LBB9_1127
	s_branch .LBB9_1090
.LBB9_1018:
	s_mov_b32 s9, 0
	s_mov_b32 s5, -1
	s_mov_b32 s0, s39
	s_branch .LBB9_1087
.LBB9_1019:
	s_mov_b32 s5, 0
.LBB9_1020:
	s_delay_alu instid0(SALU_CYCLE_1)
	s_and_b32 vcc_lo, exec_lo, s5
	s_cbranch_vccz .LBB9_1025
; %bb.1021:
	s_cmp_eq_u32 s4, 44
	s_mov_b32 s0, -1
	s_cbranch_scc0 .LBB9_1025
; %bb.1022:
	s_wait_xcnt 0x0
	s_delay_alu instid0(VALU_DEP_3) | instskip(SKIP_2) | instid1(VALU_DEP_2)
	v_cvt_f32_f64_e32 v2, v[0:1]
	v_mov_b32_e32 v3, 0xff
	s_mov_b32 s5, exec_lo
	v_bfe_u32 v6, v2, 23, 8
	s_delay_alu instid0(VALU_DEP_1)
	v_cmpx_ne_u32_e32 0xff, v6
	s_cbranch_execz .LBB9_1024
; %bb.1023:
	v_and_b32_e32 v3, 0x400000, v2
	v_and_or_b32 v6, 0x3fffff, v2, v6
	v_lshrrev_b32_e32 v2, 23, v2
	s_delay_alu instid0(VALU_DEP_3) | instskip(NEXT) | instid1(VALU_DEP_3)
	v_cmp_ne_u32_e32 vcc_lo, 0, v3
	v_cmp_ne_u32_e64 s0, 0, v6
	s_and_b32 s0, vcc_lo, s0
	s_delay_alu instid0(SALU_CYCLE_1) | instskip(NEXT) | instid1(VALU_DEP_1)
	v_cndmask_b32_e64 v3, 0, 1, s0
	v_add_nc_u32_e32 v3, v2, v3
.LBB9_1024:
	s_or_b32 exec_lo, exec_lo, s5
	s_mov_b32 s0, 0
	global_store_b8 v[4:5], v3, off
.LBB9_1025:
	s_mov_b32 s5, 0
.LBB9_1026:
	s_delay_alu instid0(SALU_CYCLE_1)
	s_and_b32 vcc_lo, exec_lo, s5
	s_cbranch_vccz .LBB9_1029
; %bb.1027:
	s_cmp_eq_u32 s4, 29
	s_mov_b32 s0, -1
	s_cbranch_scc0 .LBB9_1029
; %bb.1028:
	s_wait_xcnt 0x0
	s_delay_alu instid0(VALU_DEP_3) | instskip(SKIP_2) | instid1(VALU_DEP_1)
	v_trunc_f64_e32 v[2:3], v[0:1]
	s_mov_b32 s0, 0
	s_mov_b32 s5, 0
	v_ldexp_f64 v[6:7], v[2:3], 0xffffffe0
	s_delay_alu instid0(VALU_DEP_1) | instskip(NEXT) | instid1(VALU_DEP_1)
	v_floor_f64_e32 v[6:7], v[6:7]
	v_fmamk_f64 v[2:3], v[6:7], 0xc1f00000, v[2:3]
	v_cvt_u32_f64_e32 v7, v[6:7]
	s_delay_alu instid0(VALU_DEP_2)
	v_cvt_u32_f64_e32 v6, v[2:3]
	global_store_b64 v[4:5], v[6:7], off
	s_branch .LBB9_1030
.LBB9_1029:
	s_mov_b32 s5, 0
.LBB9_1030:
	s_delay_alu instid0(SALU_CYCLE_1)
	s_and_b32 vcc_lo, exec_lo, s5
	s_cbranch_vccz .LBB9_1045
; %bb.1031:
	s_cmp_lt_i32 s4, 27
	s_mov_b32 s5, -1
	s_cbranch_scc1 .LBB9_1037
; %bb.1032:
	s_cmp_gt_i32 s4, 27
	s_cbranch_scc0 .LBB9_1034
; %bb.1033:
	s_wait_xcnt 0x0
	s_delay_alu instid0(VALU_DEP_3)
	v_cvt_u32_f64_e32 v2, v[0:1]
	s_mov_b32 s5, 0
	global_store_b32 v[4:5], v2, off
.LBB9_1034:
	s_and_not1_b32 vcc_lo, exec_lo, s5
	s_cbranch_vccnz .LBB9_1036
; %bb.1035:
	s_wait_xcnt 0x0
	s_delay_alu instid0(VALU_DEP_3)
	v_cvt_u32_f64_e32 v2, v[0:1]
	global_store_b16 v[4:5], v2, off
.LBB9_1036:
	s_mov_b32 s5, 0
.LBB9_1037:
	s_delay_alu instid0(SALU_CYCLE_1)
	s_and_not1_b32 vcc_lo, exec_lo, s5
	s_cbranch_vccnz .LBB9_1045
; %bb.1038:
	s_wait_xcnt 0x0
	s_delay_alu instid0(VALU_DEP_3) | instskip(SKIP_2) | instid1(VALU_DEP_2)
	v_cvt_f32_f64_e32 v2, v[0:1]
	v_mov_b32_e32 v6, 0x80
	s_mov_b32 s5, exec_lo
	v_and_b32_e32 v3, 0x7fffffff, v2
	s_delay_alu instid0(VALU_DEP_1)
	v_cmpx_gt_u32_e32 0x43800000, v3
	s_cbranch_execz .LBB9_1044
; %bb.1039:
	v_cmp_lt_u32_e32 vcc_lo, 0x3bffffff, v3
	s_mov_b32 s8, 0
                                        ; implicit-def: $vgpr3
	s_and_saveexec_b32 s9, vcc_lo
	s_delay_alu instid0(SALU_CYCLE_1)
	s_xor_b32 s9, exec_lo, s9
	s_cbranch_execz .LBB9_1202
; %bb.1040:
	v_bfe_u32 v3, v2, 20, 1
	s_mov_b32 s8, exec_lo
	s_delay_alu instid0(VALU_DEP_1) | instskip(NEXT) | instid1(VALU_DEP_1)
	v_add3_u32 v3, v2, v3, 0x487ffff
	v_lshrrev_b32_e32 v3, 20, v3
	s_and_not1_saveexec_b32 s9, s9
	s_cbranch_execnz .LBB9_1203
.LBB9_1041:
	s_or_b32 exec_lo, exec_lo, s9
	v_mov_b32_e32 v6, 0
	s_and_saveexec_b32 s9, s8
.LBB9_1042:
	v_lshrrev_b32_e32 v2, 24, v2
	s_delay_alu instid0(VALU_DEP_1)
	v_and_or_b32 v6, 0x80, v2, v3
.LBB9_1043:
	s_or_b32 exec_lo, exec_lo, s9
.LBB9_1044:
	s_delay_alu instid0(SALU_CYCLE_1)
	s_or_b32 exec_lo, exec_lo, s5
	global_store_b8 v[4:5], v6, off
.LBB9_1045:
	s_mov_b32 s5, 0
.LBB9_1046:
	s_delay_alu instid0(SALU_CYCLE_1)
	s_and_b32 vcc_lo, exec_lo, s5
	s_mov_b32 s5, 0
	s_cbranch_vccz .LBB9_1086
; %bb.1047:
	s_cmp_gt_i32 s4, 22
	s_mov_b32 s8, -1
	s_cbranch_scc0 .LBB9_1079
; %bb.1048:
	s_cmp_lt_i32 s4, 24
	s_cbranch_scc1 .LBB9_1068
; %bb.1049:
	s_cmp_gt_i32 s4, 24
	s_cbranch_scc0 .LBB9_1057
; %bb.1050:
	s_wait_xcnt 0x0
	s_delay_alu instid0(VALU_DEP_3) | instskip(SKIP_2) | instid1(VALU_DEP_2)
	v_cvt_f32_f64_e32 v2, v[0:1]
	v_mov_b32_e32 v6, 0x80
	s_mov_b32 s8, exec_lo
	v_and_b32_e32 v3, 0x7fffffff, v2
	s_delay_alu instid0(VALU_DEP_1)
	v_cmpx_gt_u32_e32 0x47800000, v3
	s_cbranch_execz .LBB9_1056
; %bb.1051:
	v_cmp_lt_u32_e32 vcc_lo, 0x37ffffff, v3
	s_mov_b32 s9, 0
                                        ; implicit-def: $vgpr3
	s_and_saveexec_b32 s10, vcc_lo
	s_delay_alu instid0(SALU_CYCLE_1)
	s_xor_b32 s10, exec_lo, s10
	s_cbranch_execz .LBB9_1336
; %bb.1052:
	v_bfe_u32 v3, v2, 21, 1
	s_mov_b32 s9, exec_lo
	s_delay_alu instid0(VALU_DEP_1) | instskip(NEXT) | instid1(VALU_DEP_1)
	v_add3_u32 v3, v2, v3, 0x88fffff
	v_lshrrev_b32_e32 v3, 21, v3
	s_and_not1_saveexec_b32 s10, s10
	s_cbranch_execnz .LBB9_1337
.LBB9_1053:
	s_or_b32 exec_lo, exec_lo, s10
	v_mov_b32_e32 v6, 0
	s_and_saveexec_b32 s10, s9
.LBB9_1054:
	v_lshrrev_b32_e32 v2, 24, v2
	s_delay_alu instid0(VALU_DEP_1)
	v_and_or_b32 v6, 0x80, v2, v3
.LBB9_1055:
	s_or_b32 exec_lo, exec_lo, s10
.LBB9_1056:
	s_delay_alu instid0(SALU_CYCLE_1)
	s_or_b32 exec_lo, exec_lo, s8
	s_mov_b32 s8, 0
	global_store_b8 v[4:5], v6, off
.LBB9_1057:
	s_and_b32 vcc_lo, exec_lo, s8
	s_cbranch_vccz .LBB9_1067
; %bb.1058:
	s_wait_xcnt 0x0
	s_delay_alu instid0(VALU_DEP_3) | instskip(SKIP_1) | instid1(VALU_DEP_1)
	v_cvt_f32_f64_e32 v2, v[0:1]
	s_mov_b32 s8, exec_lo
                                        ; implicit-def: $vgpr3
	v_and_b32_e32 v6, 0x7fffffff, v2
	s_delay_alu instid0(VALU_DEP_1)
	v_cmpx_gt_u32_e32 0x43f00000, v6
	s_xor_b32 s8, exec_lo, s8
	s_cbranch_execz .LBB9_1064
; %bb.1059:
	s_mov_b32 s9, exec_lo
                                        ; implicit-def: $vgpr3
	v_cmpx_lt_u32_e32 0x3c7fffff, v6
	s_xor_b32 s9, exec_lo, s9
; %bb.1060:
	v_bfe_u32 v3, v2, 20, 1
	s_delay_alu instid0(VALU_DEP_1) | instskip(NEXT) | instid1(VALU_DEP_1)
	v_add3_u32 v3, v2, v3, 0x407ffff
	v_and_b32_e32 v6, 0xff00000, v3
	v_lshrrev_b32_e32 v3, 20, v3
	s_delay_alu instid0(VALU_DEP_2) | instskip(NEXT) | instid1(VALU_DEP_2)
	v_cmp_ne_u32_e32 vcc_lo, 0x7f00000, v6
	v_cndmask_b32_e32 v3, 0x7e, v3, vcc_lo
; %bb.1061:
	s_and_not1_saveexec_b32 s9, s9
; %bb.1062:
	v_add_f32_e64 v3, 0x46800000, |v2|
; %bb.1063:
	s_or_b32 exec_lo, exec_lo, s9
                                        ; implicit-def: $vgpr6
.LBB9_1064:
	s_and_not1_saveexec_b32 s8, s8
; %bb.1065:
	v_mov_b32_e32 v3, 0x7f
	v_cmp_lt_u32_e32 vcc_lo, 0x7f800000, v6
	s_delay_alu instid0(VALU_DEP_2)
	v_cndmask_b32_e32 v3, 0x7e, v3, vcc_lo
; %bb.1066:
	s_or_b32 exec_lo, exec_lo, s8
	v_lshrrev_b32_e32 v2, 24, v2
	s_delay_alu instid0(VALU_DEP_1)
	v_and_or_b32 v2, 0x80, v2, v3
	global_store_b8 v[4:5], v2, off
.LBB9_1067:
	s_mov_b32 s8, 0
.LBB9_1068:
	s_delay_alu instid0(SALU_CYCLE_1)
	s_and_not1_b32 vcc_lo, exec_lo, s8
	s_cbranch_vccnz .LBB9_1078
; %bb.1069:
	s_wait_xcnt 0x0
	s_delay_alu instid0(VALU_DEP_3) | instskip(SKIP_1) | instid1(VALU_DEP_1)
	v_cvt_f32_f64_e32 v2, v[0:1]
	s_mov_b32 s8, exec_lo
                                        ; implicit-def: $vgpr3
	v_and_b32_e32 v6, 0x7fffffff, v2
	s_delay_alu instid0(VALU_DEP_1)
	v_cmpx_gt_u32_e32 0x47800000, v6
	s_xor_b32 s8, exec_lo, s8
	s_cbranch_execz .LBB9_1075
; %bb.1070:
	s_mov_b32 s9, exec_lo
                                        ; implicit-def: $vgpr3
	v_cmpx_lt_u32_e32 0x387fffff, v6
	s_xor_b32 s9, exec_lo, s9
; %bb.1071:
	v_bfe_u32 v3, v2, 21, 1
	s_delay_alu instid0(VALU_DEP_1) | instskip(NEXT) | instid1(VALU_DEP_1)
	v_add3_u32 v3, v2, v3, 0x80fffff
	v_lshrrev_b32_e32 v3, 21, v3
; %bb.1072:
	s_and_not1_saveexec_b32 s9, s9
; %bb.1073:
	v_add_f32_e64 v3, 0x43000000, |v2|
; %bb.1074:
	s_or_b32 exec_lo, exec_lo, s9
                                        ; implicit-def: $vgpr6
.LBB9_1075:
	s_and_not1_saveexec_b32 s8, s8
; %bb.1076:
	v_mov_b32_e32 v3, 0x7f
	v_cmp_lt_u32_e32 vcc_lo, 0x7f800000, v6
	s_delay_alu instid0(VALU_DEP_2)
	v_cndmask_b32_e32 v3, 0x7c, v3, vcc_lo
; %bb.1077:
	s_or_b32 exec_lo, exec_lo, s8
	v_lshrrev_b32_e32 v2, 24, v2
	s_delay_alu instid0(VALU_DEP_1)
	v_and_or_b32 v2, 0x80, v2, v3
	global_store_b8 v[4:5], v2, off
.LBB9_1078:
	s_mov_b32 s8, 0
.LBB9_1079:
	s_delay_alu instid0(SALU_CYCLE_1)
	s_and_not1_b32 vcc_lo, exec_lo, s8
	s_mov_b32 s9, 0
	s_cbranch_vccnz .LBB9_1087
; %bb.1080:
	s_cmp_gt_i32 s4, 14
	s_mov_b32 s8, -1
	s_cbranch_scc0 .LBB9_1084
; %bb.1081:
	s_cmp_eq_u32 s4, 15
	s_mov_b32 s0, -1
	s_cbranch_scc0 .LBB9_1083
; %bb.1082:
	s_wait_xcnt 0x0
	s_delay_alu instid0(VALU_DEP_3) | instskip(SKIP_1) | instid1(VALU_DEP_1)
	v_cvt_f32_f64_e32 v2, v[0:1]
	s_mov_b32 s0, 0
	v_bfe_u32 v3, v2, 16, 1
	v_cmp_o_f32_e32 vcc_lo, v2, v2
	s_delay_alu instid0(VALU_DEP_2) | instskip(NEXT) | instid1(VALU_DEP_1)
	v_add3_u32 v3, v2, v3, 0x7fff
	v_lshrrev_b32_e32 v3, 16, v3
	s_delay_alu instid0(VALU_DEP_1)
	v_cndmask_b32_e32 v2, 0x7fc0, v3, vcc_lo
	global_store_b16 v[4:5], v2, off
.LBB9_1083:
	s_mov_b32 s8, 0
.LBB9_1084:
	s_delay_alu instid0(SALU_CYCLE_1)
	s_and_b32 vcc_lo, exec_lo, s8
	s_cbranch_vccz .LBB9_1087
; %bb.1085:
	s_cmp_lg_u32 s4, 11
	s_mov_b32 s9, -1
	s_cselect_b32 s4, -1, 0
	s_and_not1_b32 s0, s0, exec_lo
	s_and_b32 s4, s4, exec_lo
	s_delay_alu instid0(SALU_CYCLE_1)
	s_or_b32 s0, s0, s4
	s_branch .LBB9_1087
.LBB9_1086:
	s_mov_b32 s9, 0
.LBB9_1087:
	s_and_not1_b32 s4, s39, exec_lo
	s_and_b32 s0, s0, exec_lo
	s_and_b32 s8, s5, exec_lo
	;; [unrolled: 1-line block ×3, first 2 shown]
	s_or_b32 s39, s4, s0
	s_wait_xcnt 0x0
	s_or_b32 exec_lo, exec_lo, s6
	s_and_saveexec_b32 s0, s39
	s_cbranch_execz .LBB9_1016
.LBB9_1088:
	s_or_b32 s1, s1, exec_lo
	s_and_not1_b32 s9, s9, exec_lo
	s_trap 2
	s_or_b32 exec_lo, exec_lo, s0
	s_and_saveexec_b32 s0, s9
	s_delay_alu instid0(SALU_CYCLE_1)
	s_xor_b32 s0, exec_lo, s0
	s_cbranch_execnz .LBB9_1017
.LBB9_1089:
	s_or_b32 exec_lo, exec_lo, s0
	s_and_saveexec_b32 s0, s8
	s_delay_alu instid0(SALU_CYCLE_1)
	s_xor_b32 s0, exec_lo, s0
	s_cbranch_execz .LBB9_1127
.LBB9_1090:
	s_sext_i32_i16 s5, s7
	s_mov_b32 s4, -1
	s_cmp_lt_i32 s5, 5
	s_cbranch_scc1 .LBB9_1111
; %bb.1091:
	s_cmp_lt_i32 s5, 8
	s_cbranch_scc1 .LBB9_1101
; %bb.1092:
	;; [unrolled: 3-line block ×3, first 2 shown]
	s_cmp_gt_i32 s5, 9
	s_cbranch_scc0 .LBB9_1095
; %bb.1094:
	v_mov_b32_e32 v2, 0
	s_mov_b32 s4, 0
	s_delay_alu instid0(VALU_DEP_1)
	v_mov_b32_e32 v3, v2
	global_store_b128 v[4:5], v[0:3], off
.LBB9_1095:
	s_and_not1_b32 vcc_lo, exec_lo, s4
	s_cbranch_vccnz .LBB9_1097
; %bb.1096:
	s_wait_xcnt 0x0
	v_cvt_f32_f64_e32 v2, v[0:1]
	v_mov_b32_e32 v3, 0
	global_store_b64 v[4:5], v[2:3], off
.LBB9_1097:
	s_mov_b32 s4, 0
.LBB9_1098:
	s_delay_alu instid0(SALU_CYCLE_1)
	s_and_not1_b32 vcc_lo, exec_lo, s4
	s_cbranch_vccnz .LBB9_1100
; %bb.1099:
	s_wait_xcnt 0x0
	v_and_or_b32 v2, 0x1ff, v1, v0
	v_lshrrev_b32_e32 v3, 8, v1
	s_wait_loadcnt 0x0
	v_bfe_u32 v6, v1, 20, 11
	s_delay_alu instid0(VALU_DEP_3) | instskip(NEXT) | instid1(VALU_DEP_2)
	v_cmp_ne_u32_e32 vcc_lo, 0, v2
	v_sub_nc_u32_e32 v7, 0x3f1, v6
	v_cndmask_b32_e64 v2, 0, 1, vcc_lo
	s_delay_alu instid0(VALU_DEP_1) | instskip(NEXT) | instid1(VALU_DEP_3)
	v_and_or_b32 v2, 0xffe, v3, v2
	v_med3_i32 v3, v7, 0, 13
	s_delay_alu instid0(VALU_DEP_2) | instskip(NEXT) | instid1(VALU_DEP_1)
	v_or_b32_e32 v7, 0x1000, v2
	v_lshrrev_b32_e32 v8, v3, v7
	s_delay_alu instid0(VALU_DEP_1) | instskip(NEXT) | instid1(VALU_DEP_1)
	v_lshlrev_b32_e32 v3, v3, v8
	v_cmp_ne_u32_e32 vcc_lo, v3, v7
	v_cndmask_b32_e64 v3, 0, 1, vcc_lo
	s_delay_alu instid0(VALU_DEP_1) | instskip(SKIP_1) | instid1(VALU_DEP_1)
	v_or_b32_e32 v3, v8, v3
	v_add_nc_u32_e32 v6, 0xfffffc10, v6
	v_lshl_or_b32 v7, v6, 12, v2
	v_cmp_gt_i32_e32 vcc_lo, 1, v6
	s_delay_alu instid0(VALU_DEP_2) | instskip(NEXT) | instid1(VALU_DEP_1)
	v_cndmask_b32_e32 v3, v7, v3, vcc_lo
	v_dual_lshrrev_b32 v3, 2, v3 :: v_dual_bitop2_b32 v7, 7, v3 bitop3:0x40
	s_delay_alu instid0(VALU_DEP_1) | instskip(SKIP_4) | instid1(VALU_DEP_2)
	v_cmp_lt_i32_e32 vcc_lo, 5, v7
	v_cndmask_b32_e64 v8, 0, 1, vcc_lo
	v_cmp_eq_u32_e32 vcc_lo, 3, v7
	v_cndmask_b32_e64 v7, 0, 1, vcc_lo
	v_cmp_ne_u32_e32 vcc_lo, 0, v2
	v_or_b32_e32 v7, v7, v8
	s_delay_alu instid0(VALU_DEP_1) | instskip(NEXT) | instid1(VALU_DEP_1)
	v_dual_mov_b32 v8, 0x7e00 :: v_dual_add_nc_u32 v3, v3, v7
	v_cndmask_b32_e32 v2, 0x7c00, v8, vcc_lo
	v_cmp_gt_i32_e32 vcc_lo, 31, v6
	v_lshrrev_b32_e32 v7, 16, v1
	s_delay_alu instid0(VALU_DEP_4) | instskip(SKIP_1) | instid1(VALU_DEP_2)
	v_cndmask_b32_e32 v3, 0x7c00, v3, vcc_lo
	v_cmp_eq_u32_e32 vcc_lo, 0x40f, v6
	v_cndmask_b32_e32 v2, v3, v2, vcc_lo
	s_delay_alu instid0(VALU_DEP_4) | instskip(NEXT) | instid1(VALU_DEP_1)
	v_and_b32_e32 v3, 0x8000, v7
	v_bitop3_b32 v2, v3, 0xffff, v2 bitop3:0xc8
	global_store_b32 v[4:5], v2, off
.LBB9_1100:
	s_mov_b32 s4, 0
.LBB9_1101:
	s_delay_alu instid0(SALU_CYCLE_1)
	s_and_not1_b32 vcc_lo, exec_lo, s4
	s_cbranch_vccnz .LBB9_1110
; %bb.1102:
	s_sext_i32_i16 s5, s7
	s_mov_b32 s4, -1
	s_cmp_lt_i32 s5, 6
	s_cbranch_scc1 .LBB9_1108
; %bb.1103:
	s_cmp_gt_i32 s5, 6
	s_cbranch_scc0 .LBB9_1105
; %bb.1104:
	s_mov_b32 s4, 0
	global_store_b64 v[4:5], v[0:1], off
.LBB9_1105:
	s_and_not1_b32 vcc_lo, exec_lo, s4
	s_cbranch_vccnz .LBB9_1107
; %bb.1106:
	s_wait_xcnt 0x0
	v_cvt_f32_f64_e32 v2, v[0:1]
	global_store_b32 v[4:5], v2, off
.LBB9_1107:
	s_mov_b32 s4, 0
.LBB9_1108:
	s_delay_alu instid0(SALU_CYCLE_1)
	s_and_not1_b32 vcc_lo, exec_lo, s4
	s_cbranch_vccnz .LBB9_1110
; %bb.1109:
	s_wait_xcnt 0x0
	v_and_or_b32 v2, 0x1ff, v1, v0
	v_lshrrev_b32_e32 v3, 8, v1
	s_wait_loadcnt 0x0
	v_bfe_u32 v6, v1, 20, 11
	s_delay_alu instid0(VALU_DEP_3) | instskip(NEXT) | instid1(VALU_DEP_2)
	v_cmp_ne_u32_e32 vcc_lo, 0, v2
	v_sub_nc_u32_e32 v7, 0x3f1, v6
	v_cndmask_b32_e64 v2, 0, 1, vcc_lo
	s_delay_alu instid0(VALU_DEP_1) | instskip(NEXT) | instid1(VALU_DEP_3)
	v_and_or_b32 v2, 0xffe, v3, v2
	v_med3_i32 v3, v7, 0, 13
	s_delay_alu instid0(VALU_DEP_2) | instskip(NEXT) | instid1(VALU_DEP_1)
	v_or_b32_e32 v7, 0x1000, v2
	v_lshrrev_b32_e32 v8, v3, v7
	s_delay_alu instid0(VALU_DEP_1) | instskip(NEXT) | instid1(VALU_DEP_1)
	v_lshlrev_b32_e32 v3, v3, v8
	v_cmp_ne_u32_e32 vcc_lo, v3, v7
	v_cndmask_b32_e64 v3, 0, 1, vcc_lo
	s_delay_alu instid0(VALU_DEP_1) | instskip(SKIP_1) | instid1(VALU_DEP_1)
	v_or_b32_e32 v3, v8, v3
	v_add_nc_u32_e32 v6, 0xfffffc10, v6
	v_lshl_or_b32 v7, v6, 12, v2
	v_cmp_gt_i32_e32 vcc_lo, 1, v6
	s_delay_alu instid0(VALU_DEP_2) | instskip(NEXT) | instid1(VALU_DEP_1)
	v_cndmask_b32_e32 v3, v7, v3, vcc_lo
	v_dual_lshrrev_b32 v3, 2, v3 :: v_dual_bitop2_b32 v7, 7, v3 bitop3:0x40
	s_delay_alu instid0(VALU_DEP_1) | instskip(SKIP_4) | instid1(VALU_DEP_2)
	v_cmp_lt_i32_e32 vcc_lo, 5, v7
	v_cndmask_b32_e64 v8, 0, 1, vcc_lo
	v_cmp_eq_u32_e32 vcc_lo, 3, v7
	v_cndmask_b32_e64 v7, 0, 1, vcc_lo
	v_cmp_ne_u32_e32 vcc_lo, 0, v2
	v_or_b32_e32 v7, v7, v8
	s_delay_alu instid0(VALU_DEP_1) | instskip(NEXT) | instid1(VALU_DEP_1)
	v_dual_mov_b32 v8, 0x7e00 :: v_dual_add_nc_u32 v3, v3, v7
	v_cndmask_b32_e32 v2, 0x7c00, v8, vcc_lo
	v_cmp_gt_i32_e32 vcc_lo, 31, v6
	s_delay_alu instid0(VALU_DEP_3) | instskip(SKIP_1) | instid1(VALU_DEP_2)
	v_cndmask_b32_e32 v3, 0x7c00, v3, vcc_lo
	v_cmp_eq_u32_e32 vcc_lo, 0x40f, v6
	v_dual_cndmask_b32 v2, v3, v2 :: v_dual_lshrrev_b32 v3, 16, v1
	s_delay_alu instid0(VALU_DEP_1)
	v_and_or_b32 v2, 0x8000, v3, v2
	global_store_b16 v[4:5], v2, off
.LBB9_1110:
	s_mov_b32 s4, 0
.LBB9_1111:
	s_delay_alu instid0(SALU_CYCLE_1)
	s_and_not1_b32 vcc_lo, exec_lo, s4
	s_cbranch_vccnz .LBB9_1127
; %bb.1112:
	s_sext_i32_i16 s5, s7
	s_mov_b32 s4, -1
	s_cmp_lt_i32 s5, 2
	s_cbranch_scc1 .LBB9_1122
; %bb.1113:
	s_cmp_lt_i32 s5, 3
	s_cbranch_scc1 .LBB9_1119
; %bb.1114:
	s_cmp_gt_i32 s5, 3
	s_cbranch_scc0 .LBB9_1116
; %bb.1115:
	s_wait_xcnt 0x0
	v_trunc_f64_e32 v[2:3], v[0:1]
	s_mov_b32 s4, 0
	s_wait_loadcnt 0x0
	s_delay_alu instid0(VALU_DEP_1) | instskip(NEXT) | instid1(VALU_DEP_1)
	v_ldexp_f64 v[6:7], v[2:3], 0xffffffe0
	v_floor_f64_e32 v[6:7], v[6:7]
	s_delay_alu instid0(VALU_DEP_1) | instskip(SKIP_1) | instid1(VALU_DEP_2)
	v_fmamk_f64 v[2:3], v[6:7], 0xc1f00000, v[2:3]
	v_cvt_i32_f64_e32 v7, v[6:7]
	v_cvt_u32_f64_e32 v6, v[2:3]
	global_store_b64 v[4:5], v[6:7], off
.LBB9_1116:
	s_and_not1_b32 vcc_lo, exec_lo, s4
	s_cbranch_vccnz .LBB9_1118
; %bb.1117:
	s_wait_xcnt 0x0
	v_cvt_i32_f64_e32 v2, v[0:1]
	global_store_b32 v[4:5], v2, off
.LBB9_1118:
	s_mov_b32 s4, 0
.LBB9_1119:
	s_delay_alu instid0(SALU_CYCLE_1)
	s_and_not1_b32 vcc_lo, exec_lo, s4
	s_cbranch_vccnz .LBB9_1121
; %bb.1120:
	s_wait_xcnt 0x0
	v_cvt_i32_f64_e32 v2, v[0:1]
	global_store_b16 v[4:5], v2, off
.LBB9_1121:
	s_mov_b32 s4, 0
.LBB9_1122:
	s_delay_alu instid0(SALU_CYCLE_1)
	s_and_not1_b32 vcc_lo, exec_lo, s4
	s_cbranch_vccnz .LBB9_1127
; %bb.1123:
	s_sext_i32_i16 s4, s7
	s_delay_alu instid0(SALU_CYCLE_1)
	s_cmp_gt_i32 s4, 0
	s_mov_b32 s4, -1
	s_cbranch_scc0 .LBB9_1125
; %bb.1124:
	s_wait_xcnt 0x0
	v_cvt_i32_f64_e32 v2, v[0:1]
	s_mov_b32 s4, 0
	global_store_b8 v[4:5], v2, off
.LBB9_1125:
	s_and_not1_b32 vcc_lo, exec_lo, s4
	s_cbranch_vccnz .LBB9_1127
; %bb.1126:
	s_wait_xcnt 0x0
	v_trunc_f64_e32 v[0:1], v[0:1]
	s_delay_alu instid0(VALU_DEP_1) | instskip(NEXT) | instid1(VALU_DEP_1)
	v_ldexp_f64 v[2:3], v[0:1], 0xffffffe0
	v_floor_f64_e32 v[2:3], v[2:3]
	s_delay_alu instid0(VALU_DEP_1) | instskip(NEXT) | instid1(VALU_DEP_1)
	v_fmamk_f64 v[0:1], v[2:3], 0xc1f00000, v[0:1]
	v_cvt_u32_f64_e32 v0, v[0:1]
	global_store_b8 v[4:5], v0, off
.LBB9_1127:
	s_wait_xcnt 0x0
	s_or_b32 exec_lo, exec_lo, s0
	s_delay_alu instid0(SALU_CYCLE_1)
	s_and_b32 s8, s1, exec_lo
                                        ; implicit-def: $vgpr5
                                        ; implicit-def: $vgpr4
.LBB9_1128:
	s_or_saveexec_b32 s9, s33
	s_mov_b32 s0, 0
                                        ; implicit-def: $vgpr0_vgpr1
                                        ; implicit-def: $sgpr6
                                        ; implicit-def: $vgpr12_vgpr13
	s_xor_b32 exec_lo, exec_lo, s9
	s_cbranch_execz .LBB9_1817
; %bb.1129:
	v_cndmask_b32_e64 v1, 0, 1, s31
	s_and_not1_b32 vcc_lo, exec_lo, s31
	s_cbranch_vccnz .LBB9_1135
; %bb.1130:
	s_cmp_lg_u32 s28, 0
	s_mov_b32 s10, 0
	s_cbranch_scc0 .LBB9_1136
; %bb.1131:
	s_min_u32 s1, s29, 15
	s_delay_alu instid0(SALU_CYCLE_1)
	s_add_co_i32 s1, s1, 1
	s_cmp_eq_u32 s29, 2
	s_cbranch_scc1 .LBB9_1137
; %bb.1132:
	v_dual_mov_b32 v2, 0 :: v_dual_mov_b32 v0, 0
	s_wait_loadcnt 0x0
	v_mov_b32_e32 v6, v4
	s_and_b32 s0, s1, 28
	s_add_nc_u64 s[4:5], s[2:3], 0xc4
	s_mov_b32 s11, 0
	s_mov_b64 s[6:7], s[2:3]
.LBB9_1133:                             ; =>This Inner Loop Header: Depth=1
	s_clause 0x1
	s_load_b256 s[12:19], s[6:7], 0x4
	s_load_b128 s[36:39], s[6:7], 0x24
	s_load_b256 s[20:27], s[4:5], 0x0
	s_add_co_i32 s11, s11, 4
	s_wait_xcnt 0x0
	s_add_nc_u64 s[6:7], s[6:7], 48
	s_cmp_lg_u32 s0, s11
	s_add_nc_u64 s[4:5], s[4:5], 32
	s_wait_kmcnt 0x0
	v_mul_hi_u32 v3, s13, v6
	s_delay_alu instid0(VALU_DEP_1) | instskip(NEXT) | instid1(VALU_DEP_1)
	v_add_nc_u32_e32 v3, v6, v3
	v_lshrrev_b32_e32 v3, s14, v3
	s_delay_alu instid0(VALU_DEP_1) | instskip(NEXT) | instid1(VALU_DEP_1)
	v_mul_lo_u32 v9, v3, s12
	v_sub_nc_u32_e32 v6, v6, v9
	v_mul_hi_u32 v7, s16, v3
	s_delay_alu instid0(VALU_DEP_2) | instskip(SKIP_1) | instid1(VALU_DEP_3)
	v_mad_u32 v0, v6, s21, v0
	v_mad_u32 v2, v6, s20, v2
	v_add_nc_u32_e32 v7, v3, v7
	s_delay_alu instid0(VALU_DEP_1) | instskip(NEXT) | instid1(VALU_DEP_1)
	v_lshrrev_b32_e32 v7, s17, v7
	v_mul_lo_u32 v9, v7, s15
	s_delay_alu instid0(VALU_DEP_1) | instskip(SKIP_1) | instid1(VALU_DEP_2)
	v_sub_nc_u32_e32 v3, v3, v9
	v_mul_hi_u32 v8, s19, v7
	v_mad_u32 v0, v3, s23, v0
	v_mad_u32 v2, v3, s22, v2
	s_delay_alu instid0(VALU_DEP_3) | instskip(NEXT) | instid1(VALU_DEP_1)
	v_add_nc_u32_e32 v8, v7, v8
	v_lshrrev_b32_e32 v8, s36, v8
	s_delay_alu instid0(VALU_DEP_1) | instskip(SKIP_1) | instid1(VALU_DEP_1)
	v_mul_hi_u32 v10, s38, v8
	v_mul_lo_u32 v9, v8, s18
	v_dual_add_nc_u32 v6, v8, v10 :: v_dual_sub_nc_u32 v3, v7, v9
	s_delay_alu instid0(VALU_DEP_1) | instskip(NEXT) | instid1(VALU_DEP_2)
	v_lshrrev_b32_e32 v6, s39, v6
	v_mad_u32 v0, v3, s25, v0
	v_mad_u32 v2, v3, s24, v2
	s_delay_alu instid0(VALU_DEP_3) | instskip(NEXT) | instid1(VALU_DEP_1)
	v_mul_lo_u32 v7, v6, s37
	v_sub_nc_u32_e32 v3, v8, v7
	s_delay_alu instid0(VALU_DEP_1) | instskip(NEXT) | instid1(VALU_DEP_4)
	v_mad_u32 v0, v3, s27, v0
	v_mad_u32 v2, v3, s26, v2
	s_cbranch_scc1 .LBB9_1133
; %bb.1134:
	s_delay_alu instid0(VALU_DEP_2)
	v_mov_b32_e32 v3, v0
	s_and_b32 s6, s1, 3
	s_mov_b32 s1, 0
	s_cmp_eq_u32 s6, 0
	s_cbranch_scc0 .LBB9_1138
	s_branch .LBB9_1141
.LBB9_1135:
	s_mov_b32 s10, -1
                                        ; implicit-def: $vgpr0
                                        ; implicit-def: $vgpr2
	s_branch .LBB9_1141
.LBB9_1136:
	v_dual_mov_b32 v0, 0 :: v_dual_mov_b32 v2, 0
	s_branch .LBB9_1141
.LBB9_1137:
	v_mov_b64_e32 v[2:3], 0
	s_wait_loadcnt 0x0
	v_mov_b32_e32 v6, v4
                                        ; implicit-def: $vgpr0
	s_and_b32 s6, s1, 3
	s_mov_b32 s1, 0
	s_cmp_eq_u32 s6, 0
	s_cbranch_scc1 .LBB9_1141
.LBB9_1138:
	s_lshl_b32 s4, s0, 3
	s_mov_b32 s5, s1
	s_mul_u64 s[12:13], s[0:1], 12
	s_add_nc_u64 s[4:5], s[2:3], s[4:5]
	s_delay_alu instid0(SALU_CYCLE_1)
	s_add_nc_u64 s[0:1], s[4:5], 0xc4
	s_add_nc_u64 s[4:5], s[2:3], s[12:13]
.LBB9_1139:                             ; =>This Inner Loop Header: Depth=1
	s_load_b96 s[12:14], s[4:5], 0x4
	s_add_co_i32 s6, s6, -1
	s_wait_xcnt 0x0
	s_add_nc_u64 s[4:5], s[4:5], 12
	s_cmp_lg_u32 s6, 0
	s_wait_kmcnt 0x0
	v_mul_hi_u32 v0, s13, v6
	s_delay_alu instid0(VALU_DEP_1) | instskip(NEXT) | instid1(VALU_DEP_1)
	v_add_nc_u32_e32 v0, v6, v0
	v_lshrrev_b32_e32 v0, s14, v0
	s_load_b64 s[14:15], s[0:1], 0x0
	s_wait_xcnt 0x0
	s_add_nc_u64 s[0:1], s[0:1], 8
	s_delay_alu instid0(VALU_DEP_1) | instskip(NEXT) | instid1(VALU_DEP_1)
	v_mul_lo_u32 v7, v0, s12
	v_sub_nc_u32_e32 v6, v6, v7
	s_wait_kmcnt 0x0
	s_delay_alu instid0(VALU_DEP_1)
	v_mad_u32 v3, v6, s15, v3
	v_mad_u32 v2, v6, s14, v2
	v_mov_b32_e32 v6, v0
	s_cbranch_scc1 .LBB9_1139
; %bb.1140:
	s_delay_alu instid0(VALU_DEP_3)
	v_mov_b32_e32 v0, v3
.LBB9_1141:
	s_and_not1_b32 vcc_lo, exec_lo, s10
	s_cbranch_vccnz .LBB9_1144
; %bb.1142:
	s_clause 0x1
	s_load_b96 s[4:6], s[2:3], 0x4
	s_load_b64 s[0:1], s[2:3], 0xc4
	s_cmp_lt_u32 s28, 2
	s_wait_kmcnt 0x0
	v_mul_hi_u32 v0, s5, v4
	s_delay_alu instid0(VALU_DEP_1) | instskip(NEXT) | instid1(VALU_DEP_1)
	v_add_nc_u32_e32 v0, v4, v0
	v_lshrrev_b32_e32 v3, s6, v0
	s_delay_alu instid0(VALU_DEP_1) | instskip(NEXT) | instid1(VALU_DEP_1)
	v_mul_lo_u32 v0, v3, s4
	v_sub_nc_u32_e32 v2, v4, v0
	s_delay_alu instid0(VALU_DEP_1)
	v_mul_lo_u32 v0, v2, s1
	v_mul_lo_u32 v2, v2, s0
	s_cbranch_scc1 .LBB9_1144
; %bb.1143:
	s_clause 0x1
	s_load_b96 s[4:6], s[2:3], 0x10
	s_load_b64 s[0:1], s[2:3], 0xcc
	s_wait_loadcnt 0x0
	s_wait_kmcnt 0x0
	v_mul_hi_u32 v6, s5, v3
	s_delay_alu instid0(VALU_DEP_1) | instskip(NEXT) | instid1(VALU_DEP_1)
	v_add_nc_u32_e32 v6, v3, v6
	v_lshrrev_b32_e32 v6, s6, v6
	s_delay_alu instid0(VALU_DEP_1) | instskip(NEXT) | instid1(VALU_DEP_1)
	v_mul_lo_u32 v6, v6, s4
	v_sub_nc_u32_e32 v3, v3, v6
	s_delay_alu instid0(VALU_DEP_1)
	v_mad_u32 v2, v3, s0, v2
	v_mad_u32 v0, v3, s1, v0
.LBB9_1144:
	v_cmp_ne_u32_e32 vcc_lo, 1, v1
	v_add_nc_u32_e32 v3, 0x80, v4
	s_cbranch_vccnz .LBB9_1150
; %bb.1145:
	s_cmp_lg_u32 s28, 0
	s_mov_b32 s10, 0
	s_cbranch_scc0 .LBB9_1151
; %bb.1146:
	s_min_u32 s1, s29, 15
	s_delay_alu instid0(SALU_CYCLE_1)
	s_add_co_i32 s1, s1, 1
	s_cmp_eq_u32 s29, 2
	s_cbranch_scc1 .LBB9_1152
; %bb.1147:
	s_wait_loadcnt 0x0
	v_dual_mov_b32 v6, 0 :: v_dual_mov_b32 v16, 0
	v_mov_b32_e32 v8, v3
	s_and_b32 s0, s1, 28
	s_add_nc_u64 s[4:5], s[2:3], 0xc4
	s_mov_b32 s11, 0
	s_mov_b64 s[6:7], s[2:3]
.LBB9_1148:                             ; =>This Inner Loop Header: Depth=1
	s_clause 0x1
	s_load_b256 s[12:19], s[6:7], 0x4
	s_load_b128 s[36:39], s[6:7], 0x24
	s_load_b256 s[20:27], s[4:5], 0x0
	s_add_co_i32 s11, s11, 4
	s_wait_xcnt 0x0
	s_add_nc_u64 s[6:7], s[6:7], 48
	s_cmp_lg_u32 s0, s11
	s_add_nc_u64 s[4:5], s[4:5], 32
	s_wait_kmcnt 0x0
	v_mul_hi_u32 v7, s13, v8
	s_delay_alu instid0(VALU_DEP_1) | instskip(NEXT) | instid1(VALU_DEP_1)
	v_add_nc_u32_e32 v7, v8, v7
	v_lshrrev_b32_e32 v7, s14, v7
	s_delay_alu instid0(VALU_DEP_1) | instskip(NEXT) | instid1(VALU_DEP_1)
	v_mul_hi_u32 v9, s16, v7
	v_add_nc_u32_e32 v9, v7, v9
	s_delay_alu instid0(VALU_DEP_1) | instskip(NEXT) | instid1(VALU_DEP_1)
	v_lshrrev_b32_e32 v9, s17, v9
	v_mul_hi_u32 v10, s19, v9
	s_delay_alu instid0(VALU_DEP_1) | instskip(SKIP_1) | instid1(VALU_DEP_1)
	v_add_nc_u32_e32 v10, v9, v10
	v_mul_lo_u32 v11, v7, s12
	v_sub_nc_u32_e32 v8, v8, v11
	v_mul_lo_u32 v11, v9, s15
	s_delay_alu instid0(VALU_DEP_4) | instskip(NEXT) | instid1(VALU_DEP_3)
	v_lshrrev_b32_e32 v10, s36, v10
	v_mad_u32 v13, v8, s21, v16
	v_mad_u32 v6, v8, s20, v6
	s_delay_alu instid0(VALU_DEP_4) | instskip(NEXT) | instid1(VALU_DEP_4)
	v_sub_nc_u32_e32 v7, v7, v11
	v_mul_hi_u32 v12, s38, v10
	v_mul_lo_u32 v11, v10, s18
	s_delay_alu instid0(VALU_DEP_3) | instskip(NEXT) | instid1(VALU_DEP_3)
	v_mad_u32 v6, v7, s22, v6
	v_add_nc_u32_e32 v8, v10, v12
	v_mad_u32 v12, v7, s23, v13
	s_delay_alu instid0(VALU_DEP_2) | instskip(NEXT) | instid1(VALU_DEP_1)
	v_dual_sub_nc_u32 v7, v9, v11 :: v_dual_lshrrev_b32 v8, s39, v8
	v_mad_u32 v6, v7, s24, v6
	s_delay_alu instid0(VALU_DEP_2) | instskip(NEXT) | instid1(VALU_DEP_4)
	v_mul_lo_u32 v9, v8, s37
	v_mad_u32 v11, v7, s25, v12
	s_delay_alu instid0(VALU_DEP_2) | instskip(NEXT) | instid1(VALU_DEP_1)
	v_sub_nc_u32_e32 v7, v10, v9
	v_mad_u32 v16, v7, s27, v11
	v_mad_u32 v6, v7, s26, v6
	s_cbranch_scc1 .LBB9_1148
; %bb.1149:
	s_delay_alu instid0(VALU_DEP_2)
	v_mov_b32_e32 v7, v16
	s_and_b32 s6, s1, 3
	s_mov_b32 s1, 0
	s_cmp_eq_u32 s6, 0
	s_cbranch_scc0 .LBB9_1153
	s_branch .LBB9_1156
.LBB9_1150:
	s_mov_b32 s10, -1
                                        ; implicit-def: $vgpr16
                                        ; implicit-def: $vgpr6
	s_branch .LBB9_1156
.LBB9_1151:
	s_wait_loadcnt 0x0
	v_dual_mov_b32 v16, 0 :: v_dual_mov_b32 v6, 0
	s_branch .LBB9_1156
.LBB9_1152:
	s_wait_loadcnt 0x0
	v_mov_b64_e32 v[6:7], 0
	v_mov_b32_e32 v8, v3
	s_mov_b32 s0, 0
                                        ; implicit-def: $vgpr16
	s_and_b32 s6, s1, 3
	s_mov_b32 s1, 0
	s_cmp_eq_u32 s6, 0
	s_cbranch_scc1 .LBB9_1156
.LBB9_1153:
	s_lshl_b32 s4, s0, 3
	s_mov_b32 s5, s1
	s_mul_u64 s[12:13], s[0:1], 12
	s_add_nc_u64 s[4:5], s[2:3], s[4:5]
	s_delay_alu instid0(SALU_CYCLE_1)
	s_add_nc_u64 s[0:1], s[4:5], 0xc4
	s_add_nc_u64 s[4:5], s[2:3], s[12:13]
.LBB9_1154:                             ; =>This Inner Loop Header: Depth=1
	s_load_b96 s[12:14], s[4:5], 0x4
	s_add_co_i32 s6, s6, -1
	s_wait_xcnt 0x0
	s_add_nc_u64 s[4:5], s[4:5], 12
	s_cmp_lg_u32 s6, 0
	s_wait_kmcnt 0x0
	v_mul_hi_u32 v9, s13, v8
	s_delay_alu instid0(VALU_DEP_1) | instskip(NEXT) | instid1(VALU_DEP_1)
	v_add_nc_u32_e32 v9, v8, v9
	v_lshrrev_b32_e32 v9, s14, v9
	s_load_b64 s[14:15], s[0:1], 0x0
	s_wait_xcnt 0x0
	s_add_nc_u64 s[0:1], s[0:1], 8
	s_delay_alu instid0(VALU_DEP_1) | instskip(NEXT) | instid1(VALU_DEP_1)
	v_mul_lo_u32 v10, v9, s12
	v_sub_nc_u32_e32 v8, v8, v10
	s_wait_kmcnt 0x0
	s_delay_alu instid0(VALU_DEP_1)
	v_mad_u32 v7, v8, s15, v7
	v_mad_u32 v6, v8, s14, v6
	v_mov_b32_e32 v8, v9
	s_cbranch_scc1 .LBB9_1154
; %bb.1155:
	s_delay_alu instid0(VALU_DEP_3)
	v_mov_b32_e32 v16, v7
.LBB9_1156:
	s_and_not1_b32 vcc_lo, exec_lo, s10
	s_cbranch_vccnz .LBB9_1159
; %bb.1157:
	s_clause 0x1
	s_load_b96 s[4:6], s[2:3], 0x4
	s_load_b64 s[0:1], s[2:3], 0xc4
	s_cmp_lt_u32 s28, 2
	s_wait_loadcnt 0x0
	s_wait_kmcnt 0x0
	v_mul_hi_u32 v6, s5, v3
	s_delay_alu instid0(VALU_DEP_1) | instskip(NEXT) | instid1(VALU_DEP_1)
	v_add_nc_u32_e32 v6, v3, v6
	v_lshrrev_b32_e32 v7, s6, v6
	s_delay_alu instid0(VALU_DEP_1) | instskip(NEXT) | instid1(VALU_DEP_1)
	v_mul_lo_u32 v6, v7, s4
	v_sub_nc_u32_e32 v3, v3, v6
	s_delay_alu instid0(VALU_DEP_1)
	v_mul_lo_u32 v16, v3, s1
	v_mul_lo_u32 v6, v3, s0
	s_cbranch_scc1 .LBB9_1159
; %bb.1158:
	s_clause 0x1
	s_load_b96 s[4:6], s[2:3], 0x10
	s_load_b64 s[0:1], s[2:3], 0xcc
	s_wait_kmcnt 0x0
	v_mul_hi_u32 v3, s5, v7
	s_delay_alu instid0(VALU_DEP_1) | instskip(NEXT) | instid1(VALU_DEP_1)
	v_add_nc_u32_e32 v3, v7, v3
	v_lshrrev_b32_e32 v3, s6, v3
	s_delay_alu instid0(VALU_DEP_1) | instskip(NEXT) | instid1(VALU_DEP_1)
	v_mul_lo_u32 v3, v3, s4
	v_sub_nc_u32_e32 v3, v7, v3
	s_delay_alu instid0(VALU_DEP_1)
	v_mad_u32 v6, v3, s0, v6
	v_mad_u32 v16, v3, s1, v16
.LBB9_1159:
	v_cmp_ne_u32_e32 vcc_lo, 1, v1
	v_add_nc_u32_e32 v3, 0x100, v4
	s_cbranch_vccnz .LBB9_1165
; %bb.1160:
	s_cmp_lg_u32 s28, 0
	s_mov_b32 s10, 0
	s_cbranch_scc0 .LBB9_1166
; %bb.1161:
	s_min_u32 s1, s29, 15
	s_delay_alu instid0(SALU_CYCLE_1)
	s_add_co_i32 s1, s1, 1
	s_cmp_eq_u32 s29, 2
	s_cbranch_scc1 .LBB9_1167
; %bb.1162:
	v_dual_mov_b32 v10, 0 :: v_dual_mov_b32 v8, 0
	v_mov_b32_e32 v4, v3
	s_and_b32 s0, s1, 28
	s_add_nc_u64 s[4:5], s[2:3], 0xc4
	s_mov_b32 s11, 0
	s_mov_b64 s[6:7], s[2:3]
.LBB9_1163:                             ; =>This Inner Loop Header: Depth=1
	s_clause 0x1
	s_load_b256 s[12:19], s[6:7], 0x4
	s_load_b128 s[36:39], s[6:7], 0x24
	s_load_b256 s[20:27], s[4:5], 0x0
	s_add_co_i32 s11, s11, 4
	s_wait_xcnt 0x0
	s_add_nc_u64 s[6:7], s[6:7], 48
	s_cmp_lg_u32 s0, s11
	s_add_nc_u64 s[4:5], s[4:5], 32
	s_wait_loadcnt 0x0
	s_wait_kmcnt 0x0
	v_mul_hi_u32 v7, s13, v4
	s_delay_alu instid0(VALU_DEP_1) | instskip(NEXT) | instid1(VALU_DEP_1)
	v_add_nc_u32_e32 v7, v4, v7
	v_lshrrev_b32_e32 v7, s14, v7
	s_delay_alu instid0(VALU_DEP_1) | instskip(NEXT) | instid1(VALU_DEP_1)
	v_mul_lo_u32 v12, v7, s12
	v_sub_nc_u32_e32 v4, v4, v12
	v_mul_hi_u32 v9, s16, v7
	s_delay_alu instid0(VALU_DEP_2) | instskip(SKIP_1) | instid1(VALU_DEP_3)
	v_mad_u32 v8, v4, s21, v8
	v_mad_u32 v4, v4, s20, v10
	v_add_nc_u32_e32 v9, v7, v9
	s_delay_alu instid0(VALU_DEP_1) | instskip(NEXT) | instid1(VALU_DEP_1)
	v_lshrrev_b32_e32 v9, s17, v9
	v_mul_hi_u32 v11, s19, v9
	v_mul_lo_u32 v12, v9, s15
	s_delay_alu instid0(VALU_DEP_1) | instskip(NEXT) | instid1(VALU_DEP_1)
	v_dual_add_nc_u32 v11, v9, v11 :: v_dual_sub_nc_u32 v7, v7, v12
	v_lshrrev_b32_e32 v11, s36, v11
	s_delay_alu instid0(VALU_DEP_2) | instskip(SKIP_1) | instid1(VALU_DEP_3)
	v_mad_u32 v8, v7, s23, v8
	v_mad_u32 v7, v7, s22, v4
	v_mul_hi_u32 v13, s38, v11
	v_mul_lo_u32 v10, v11, s18
	s_delay_alu instid0(VALU_DEP_1) | instskip(NEXT) | instid1(VALU_DEP_1)
	v_dual_add_nc_u32 v12, v11, v13 :: v_dual_sub_nc_u32 v9, v9, v10
	v_lshrrev_b32_e32 v4, s39, v12
	s_delay_alu instid0(VALU_DEP_2) | instskip(SKIP_1) | instid1(VALU_DEP_3)
	v_mad_u32 v8, v9, s25, v8
	v_mad_u32 v7, v9, s24, v7
	v_mul_lo_u32 v10, v4, s37
	s_delay_alu instid0(VALU_DEP_1) | instskip(NEXT) | instid1(VALU_DEP_1)
	v_sub_nc_u32_e32 v9, v11, v10
	v_mad_u32 v8, v9, s27, v8
	s_delay_alu instid0(VALU_DEP_4)
	v_mad_u32 v10, v9, s26, v7
	s_cbranch_scc1 .LBB9_1163
; %bb.1164:
	s_delay_alu instid0(VALU_DEP_2)
	v_mov_b32_e32 v11, v8
	s_and_b32 s6, s1, 3
	s_mov_b32 s1, 0
	s_cmp_eq_u32 s6, 0
	s_cbranch_scc0 .LBB9_1168
	s_branch .LBB9_1171
.LBB9_1165:
	s_mov_b32 s10, -1
                                        ; implicit-def: $vgpr8
                                        ; implicit-def: $vgpr10
	s_branch .LBB9_1171
.LBB9_1166:
	v_dual_mov_b32 v8, 0 :: v_dual_mov_b32 v10, 0
	s_branch .LBB9_1171
.LBB9_1167:
	v_mov_b64_e32 v[10:11], 0
	v_mov_b32_e32 v4, v3
	s_mov_b32 s0, 0
                                        ; implicit-def: $vgpr8
	s_and_b32 s6, s1, 3
	s_mov_b32 s1, 0
	s_cmp_eq_u32 s6, 0
	s_cbranch_scc1 .LBB9_1171
.LBB9_1168:
	s_lshl_b32 s4, s0, 3
	s_mov_b32 s5, s1
	s_mul_u64 s[12:13], s[0:1], 12
	s_add_nc_u64 s[4:5], s[2:3], s[4:5]
	s_delay_alu instid0(SALU_CYCLE_1)
	s_add_nc_u64 s[0:1], s[4:5], 0xc4
	s_add_nc_u64 s[4:5], s[2:3], s[12:13]
.LBB9_1169:                             ; =>This Inner Loop Header: Depth=1
	s_load_b96 s[12:14], s[4:5], 0x4
	s_add_co_i32 s6, s6, -1
	s_wait_xcnt 0x0
	s_add_nc_u64 s[4:5], s[4:5], 12
	s_cmp_lg_u32 s6, 0
	s_wait_loadcnt 0x0
	s_wait_kmcnt 0x0
	v_mul_hi_u32 v7, s13, v4
	s_delay_alu instid0(VALU_DEP_1) | instskip(NEXT) | instid1(VALU_DEP_1)
	v_add_nc_u32_e32 v7, v4, v7
	v_lshrrev_b32_e32 v7, s14, v7
	s_load_b64 s[14:15], s[0:1], 0x0
	s_wait_xcnt 0x0
	s_add_nc_u64 s[0:1], s[0:1], 8
	s_delay_alu instid0(VALU_DEP_1) | instskip(NEXT) | instid1(VALU_DEP_1)
	v_mul_lo_u32 v8, v7, s12
	v_sub_nc_u32_e32 v4, v4, v8
	s_wait_kmcnt 0x0
	s_delay_alu instid0(VALU_DEP_1)
	v_mad_u32 v11, v4, s15, v11
	v_mad_u32 v10, v4, s14, v10
	v_mov_b32_e32 v4, v7
	s_cbranch_scc1 .LBB9_1169
; %bb.1170:
	s_delay_alu instid0(VALU_DEP_3)
	v_mov_b32_e32 v8, v11
.LBB9_1171:
	s_and_not1_b32 vcc_lo, exec_lo, s10
	s_cbranch_vccnz .LBB9_1174
; %bb.1172:
	s_clause 0x1
	s_load_b96 s[4:6], s[2:3], 0x4
	s_load_b64 s[0:1], s[2:3], 0xc4
	s_cmp_lt_u32 s28, 2
	s_wait_kmcnt 0x0
	v_mul_hi_u32 v4, s5, v3
	s_delay_alu instid0(VALU_DEP_1) | instskip(NEXT) | instid1(VALU_DEP_1)
	v_add_nc_u32_e32 v4, v3, v4
	v_lshrrev_b32_e32 v4, s6, v4
	s_wait_loadcnt 0x0
	s_delay_alu instid0(VALU_DEP_1) | instskip(NEXT) | instid1(VALU_DEP_1)
	v_mul_lo_u32 v7, v4, s4
	v_sub_nc_u32_e32 v3, v3, v7
	s_delay_alu instid0(VALU_DEP_1)
	v_mul_lo_u32 v8, v3, s1
	v_mul_lo_u32 v10, v3, s0
	s_cbranch_scc1 .LBB9_1174
; %bb.1173:
	s_clause 0x1
	s_load_b96 s[4:6], s[2:3], 0x10
	s_load_b64 s[0:1], s[2:3], 0xcc
	s_wait_kmcnt 0x0
	v_mul_hi_u32 v3, s5, v4
	s_delay_alu instid0(VALU_DEP_1) | instskip(NEXT) | instid1(VALU_DEP_1)
	v_add_nc_u32_e32 v3, v4, v3
	v_lshrrev_b32_e32 v3, s6, v3
	s_delay_alu instid0(VALU_DEP_1) | instskip(NEXT) | instid1(VALU_DEP_1)
	v_mul_lo_u32 v3, v3, s4
	v_sub_nc_u32_e32 v3, v4, v3
	s_delay_alu instid0(VALU_DEP_1)
	v_mad_u32 v10, v3, s0, v10
	v_mad_u32 v8, v3, s1, v8
.LBB9_1174:
	v_cmp_ne_u32_e32 vcc_lo, 1, v1
	s_cbranch_vccnz .LBB9_1180
; %bb.1175:
	s_cmp_lg_u32 s28, 0
	s_mov_b32 s10, 0
	s_cbranch_scc0 .LBB9_1181
; %bb.1176:
	s_min_u32 s1, s29, 15
	s_delay_alu instid0(SALU_CYCLE_1)
	s_add_co_i32 s1, s1, 1
	s_cmp_eq_u32 s29, 2
	s_cbranch_scc1 .LBB9_1182
; %bb.1177:
	v_dual_mov_b32 v14, 0 :: v_dual_mov_b32 v12, 0
	v_mov_b32_e32 v1, v5
	s_and_b32 s0, s1, 28
	s_add_nc_u64 s[4:5], s[2:3], 0xc4
	s_mov_b32 s11, 0
	s_mov_b64 s[6:7], s[2:3]
.LBB9_1178:                             ; =>This Inner Loop Header: Depth=1
	s_clause 0x1
	s_load_b256 s[12:19], s[6:7], 0x4
	s_load_b128 s[36:39], s[6:7], 0x24
	s_load_b256 s[20:27], s[4:5], 0x0
	s_add_co_i32 s11, s11, 4
	s_wait_xcnt 0x0
	s_add_nc_u64 s[6:7], s[6:7], 48
	s_cmp_lg_u32 s0, s11
	s_add_nc_u64 s[4:5], s[4:5], 32
	s_wait_kmcnt 0x0
	v_mul_hi_u32 v3, s13, v1
	s_delay_alu instid0(VALU_DEP_1) | instskip(NEXT) | instid1(VALU_DEP_1)
	v_add_nc_u32_e32 v3, v1, v3
	v_lshrrev_b32_e32 v3, s14, v3
	s_delay_alu instid0(VALU_DEP_1) | instskip(NEXT) | instid1(VALU_DEP_1)
	v_mul_lo_u32 v9, v3, s12
	v_sub_nc_u32_e32 v1, v1, v9
	v_mul_hi_u32 v4, s16, v3
	s_delay_alu instid0(VALU_DEP_2) | instskip(SKIP_1) | instid1(VALU_DEP_3)
	v_mad_u32 v12, v1, s21, v12
	v_mad_u32 v1, v1, s20, v14
	v_add_nc_u32_e32 v4, v3, v4
	s_delay_alu instid0(VALU_DEP_1) | instskip(SKIP_1) | instid1(VALU_DEP_1)
	v_lshrrev_b32_e32 v4, s17, v4
	s_wait_loadcnt 0x0
	v_mul_hi_u32 v7, s19, v4
	v_mul_lo_u32 v9, v4, s15
	s_delay_alu instid0(VALU_DEP_1) | instskip(NEXT) | instid1(VALU_DEP_1)
	v_dual_add_nc_u32 v7, v4, v7 :: v_dual_sub_nc_u32 v3, v3, v9
	v_lshrrev_b32_e32 v7, s36, v7
	s_delay_alu instid0(VALU_DEP_2) | instskip(SKIP_1) | instid1(VALU_DEP_3)
	v_mad_u32 v12, v3, s23, v12
	v_mad_u32 v3, v3, s22, v1
	v_mul_hi_u32 v11, s38, v7
	v_mul_lo_u32 v9, v7, s18
	s_delay_alu instid0(VALU_DEP_1) | instskip(NEXT) | instid1(VALU_DEP_1)
	v_dual_add_nc_u32 v11, v7, v11 :: v_dual_sub_nc_u32 v4, v4, v9
	v_lshrrev_b32_e32 v1, s39, v11
	s_delay_alu instid0(VALU_DEP_2) | instskip(SKIP_1) | instid1(VALU_DEP_3)
	v_mad_u32 v11, v4, s25, v12
	v_mad_u32 v3, v4, s24, v3
	v_mul_lo_u32 v9, v1, s37
	s_delay_alu instid0(VALU_DEP_1) | instskip(NEXT) | instid1(VALU_DEP_1)
	v_sub_nc_u32_e32 v4, v7, v9
	v_mad_u32 v12, v4, s27, v11
	s_delay_alu instid0(VALU_DEP_4)
	v_mad_u32 v14, v4, s26, v3
	s_cbranch_scc1 .LBB9_1178
; %bb.1179:
	s_delay_alu instid0(VALU_DEP_2)
	v_mov_b32_e32 v15, v12
	s_and_b32 s6, s1, 3
	s_mov_b32 s1, 0
	s_cmp_eq_u32 s6, 0
	s_cbranch_scc0 .LBB9_1183
	s_branch .LBB9_1186
.LBB9_1180:
	s_mov_b32 s10, -1
                                        ; implicit-def: $vgpr12
                                        ; implicit-def: $vgpr14
	s_branch .LBB9_1186
.LBB9_1181:
	v_dual_mov_b32 v12, 0 :: v_dual_mov_b32 v14, 0
	s_branch .LBB9_1186
.LBB9_1182:
	v_mov_b64_e32 v[14:15], 0
	v_mov_b32_e32 v1, v5
	s_mov_b32 s0, 0
                                        ; implicit-def: $vgpr12
	s_and_b32 s6, s1, 3
	s_mov_b32 s1, 0
	s_cmp_eq_u32 s6, 0
	s_cbranch_scc1 .LBB9_1186
.LBB9_1183:
	s_lshl_b32 s4, s0, 3
	s_mov_b32 s5, s1
	s_mul_u64 s[12:13], s[0:1], 12
	s_add_nc_u64 s[4:5], s[2:3], s[4:5]
	s_delay_alu instid0(SALU_CYCLE_1)
	s_add_nc_u64 s[0:1], s[4:5], 0xc4
	s_add_nc_u64 s[4:5], s[2:3], s[12:13]
.LBB9_1184:                             ; =>This Inner Loop Header: Depth=1
	s_load_b96 s[12:14], s[4:5], 0x4
	s_add_co_i32 s6, s6, -1
	s_wait_xcnt 0x0
	s_add_nc_u64 s[4:5], s[4:5], 12
	s_cmp_lg_u32 s6, 0
	s_wait_kmcnt 0x0
	v_mul_hi_u32 v3, s13, v1
	s_delay_alu instid0(VALU_DEP_1) | instskip(NEXT) | instid1(VALU_DEP_1)
	v_add_nc_u32_e32 v3, v1, v3
	v_lshrrev_b32_e32 v3, s14, v3
	s_load_b64 s[14:15], s[0:1], 0x0
	s_wait_xcnt 0x0
	s_add_nc_u64 s[0:1], s[0:1], 8
	s_delay_alu instid0(VALU_DEP_1) | instskip(NEXT) | instid1(VALU_DEP_1)
	v_mul_lo_u32 v4, v3, s12
	v_sub_nc_u32_e32 v1, v1, v4
	s_wait_kmcnt 0x0
	s_delay_alu instid0(VALU_DEP_1)
	v_mad_u32 v15, v1, s15, v15
	v_mad_u32 v14, v1, s14, v14
	v_mov_b32_e32 v1, v3
	s_cbranch_scc1 .LBB9_1184
; %bb.1185:
	s_delay_alu instid0(VALU_DEP_3)
	v_mov_b32_e32 v12, v15
.LBB9_1186:
	s_and_not1_b32 vcc_lo, exec_lo, s10
	s_cbranch_vccnz .LBB9_1189
; %bb.1187:
	s_clause 0x1
	s_load_b96 s[4:6], s[2:3], 0x4
	s_load_b64 s[0:1], s[2:3], 0xc4
	s_cmp_lt_u32 s28, 2
	s_wait_kmcnt 0x0
	v_mul_hi_u32 v1, s5, v5
	s_delay_alu instid0(VALU_DEP_1) | instskip(NEXT) | instid1(VALU_DEP_1)
	v_add_nc_u32_e32 v1, v5, v1
	v_lshrrev_b32_e32 v1, s6, v1
	s_delay_alu instid0(VALU_DEP_1) | instskip(NEXT) | instid1(VALU_DEP_1)
	v_mul_lo_u32 v3, v1, s4
	v_sub_nc_u32_e32 v3, v5, v3
	s_delay_alu instid0(VALU_DEP_1)
	v_mul_lo_u32 v12, v3, s1
	v_mul_lo_u32 v14, v3, s0
	s_cbranch_scc1 .LBB9_1189
; %bb.1188:
	s_clause 0x1
	s_load_b96 s[4:6], s[2:3], 0x10
	s_load_b64 s[0:1], s[2:3], 0xcc
	s_wait_kmcnt 0x0
	v_mul_hi_u32 v3, s5, v1
	s_delay_alu instid0(VALU_DEP_1) | instskip(NEXT) | instid1(VALU_DEP_1)
	v_add_nc_u32_e32 v3, v1, v3
	v_lshrrev_b32_e32 v3, s6, v3
	s_delay_alu instid0(VALU_DEP_1) | instskip(NEXT) | instid1(VALU_DEP_1)
	v_mul_lo_u32 v3, v3, s4
	v_sub_nc_u32_e32 v1, v1, v3
	s_delay_alu instid0(VALU_DEP_1)
	v_mad_u32 v14, v1, s0, v14
	v_mad_u32 v12, v1, s1, v12
.LBB9_1189:
	v_mov_b32_e32 v1, 0
	s_load_b128 s[4:7], s[2:3], 0x148
	global_load_u8 v3, v1, s[2:3] offset:346
	s_wait_kmcnt 0x0
	v_add_nc_u64_e32 v[0:1], s[6:7], v[0:1]
	s_wait_loadcnt 0x0
	v_and_b32_e32 v4, 0xffff, v3
	v_readfirstlane_b32 s10, v3
	s_delay_alu instid0(VALU_DEP_2)
	v_cmp_gt_i32_e32 vcc_lo, 11, v4
	s_cbranch_vccnz .LBB9_1196
; %bb.1190:
	s_and_b32 s0, 0xffff, s10
	s_mov_b32 s11, 0
	s_cmp_gt_i32 s0, 25
	s_cbranch_scc0 .LBB9_1198
; %bb.1191:
	s_cmp_gt_i32 s0, 28
	s_cbranch_scc0 .LBB9_1199
; %bb.1192:
	;; [unrolled: 3-line block ×4, first 2 shown]
	s_cmp_eq_u32 s0, 46
	s_mov_b32 s13, 0
	s_cbranch_scc0 .LBB9_1204
; %bb.1195:
	global_load_b32 v3, v[0:1], off
	s_mov_b32 s1, 0
	s_mov_b32 s12, -1
	s_wait_loadcnt 0x0
	v_lshlrev_b32_e32 v3, 16, v3
	s_delay_alu instid0(VALU_DEP_1)
	v_cvt_f64_f32_e32 v[4:5], v3
	s_branch .LBB9_1206
.LBB9_1196:
	s_mov_b32 s12, 0
	s_mov_b32 s1, s8
                                        ; implicit-def: $vgpr4_vgpr5
	s_cbranch_execnz .LBB9_1269
.LBB9_1197:
	s_and_not1_b32 vcc_lo, exec_lo, s12
	s_cbranch_vccz .LBB9_1314
	s_branch .LBB9_1815
.LBB9_1198:
	s_mov_b32 s12, 0
	s_mov_b32 s1, 0
                                        ; implicit-def: $vgpr4_vgpr5
	s_cbranch_execnz .LBB9_1234
	s_branch .LBB9_1265
.LBB9_1199:
	s_mov_b32 s13, -1
	s_mov_b32 s12, 0
	s_mov_b32 s1, 0
                                        ; implicit-def: $vgpr4_vgpr5
	s_branch .LBB9_1215
.LBB9_1200:
	s_mov_b32 s12, 0
	s_mov_b32 s1, 0
                                        ; implicit-def: $vgpr4_vgpr5
	s_cbranch_execnz .LBB9_1211
	s_branch .LBB9_1214
.LBB9_1201:
	s_mov_b32 s13, -1
	s_mov_b32 s12, 0
	s_mov_b32 s1, 0
	s_branch .LBB9_1205
.LBB9_1202:
	s_and_not1_saveexec_b32 s9, s9
	s_cbranch_execz .LBB9_1041
.LBB9_1203:
	v_add_f32_e64 v3, 0x46000000, |v2|
	s_and_not1_b32 s8, s8, exec_lo
	s_delay_alu instid0(VALU_DEP_1) | instskip(NEXT) | instid1(VALU_DEP_1)
	v_and_b32_e32 v3, 0xff, v3
	v_cmp_ne_u32_e32 vcc_lo, 0, v3
	s_and_b32 s10, vcc_lo, exec_lo
	s_delay_alu instid0(SALU_CYCLE_1)
	s_or_b32 s8, s8, s10
	s_or_b32 exec_lo, exec_lo, s9
	v_mov_b32_e32 v6, 0
	s_and_saveexec_b32 s9, s8
	s_cbranch_execnz .LBB9_1042
	s_branch .LBB9_1043
.LBB9_1204:
	s_mov_b32 s1, -1
	s_mov_b32 s12, 0
.LBB9_1205:
                                        ; implicit-def: $vgpr4_vgpr5
.LBB9_1206:
	s_and_b32 vcc_lo, exec_lo, s13
	s_cbranch_vccz .LBB9_1209
; %bb.1207:
	s_cmp_eq_u32 s0, 44
	s_cbranch_scc0 .LBB9_1210
; %bb.1208:
	global_load_u8 v3, v[0:1], off
	s_mov_b32 s1, 0
	s_mov_b32 s12, -1
	s_wait_loadcnt 0x0
	v_cmp_ne_u32_e32 vcc_lo, 0xff, v3
	v_lshlrev_b32_e32 v4, 23, v3
	s_delay_alu instid0(VALU_DEP_1) | instskip(NEXT) | instid1(VALU_DEP_1)
	v_cvt_f64_f32_e32 v[4:5], v4
	v_cndmask_b32_e32 v4, 0x20000000, v4, vcc_lo
	s_delay_alu instid0(VALU_DEP_2) | instskip(SKIP_1) | instid1(VALU_DEP_2)
	v_cndmask_b32_e32 v5, 0x7ff80000, v5, vcc_lo
	v_cmp_ne_u32_e32 vcc_lo, 0, v3
	v_cndmask_b32_e32 v5, 0x38000000, v5, vcc_lo
	s_delay_alu instid0(VALU_DEP_4)
	v_cndmask_b32_e32 v4, 0, v4, vcc_lo
.LBB9_1209:
	s_branch .LBB9_1214
.LBB9_1210:
	s_mov_b32 s1, -1
                                        ; implicit-def: $vgpr4_vgpr5
	s_branch .LBB9_1214
.LBB9_1211:
	s_cmp_eq_u32 s0, 29
	s_cbranch_scc0 .LBB9_1213
; %bb.1212:
	global_load_b64 v[4:5], v[0:1], off
	s_mov_b32 s1, 0
	s_mov_b32 s12, -1
	s_mov_b32 s13, 0
	s_wait_loadcnt 0x0
	v_cvt_f64_u32_e32 v[18:19], v5
	v_cvt_f64_u32_e32 v[4:5], v4
	s_delay_alu instid0(VALU_DEP_2) | instskip(NEXT) | instid1(VALU_DEP_1)
	v_ldexp_f64 v[18:19], v[18:19], 32
	v_add_f64_e32 v[4:5], v[18:19], v[4:5]
	s_branch .LBB9_1215
.LBB9_1213:
	s_mov_b32 s1, -1
                                        ; implicit-def: $vgpr4_vgpr5
.LBB9_1214:
	s_mov_b32 s13, 0
.LBB9_1215:
	s_delay_alu instid0(SALU_CYCLE_1)
	s_and_b32 vcc_lo, exec_lo, s13
	s_cbranch_vccz .LBB9_1233
; %bb.1216:
	s_cmp_lt_i32 s0, 27
	s_cbranch_scc1 .LBB9_1219
; %bb.1217:
	s_cmp_gt_i32 s0, 27
	s_cbranch_scc0 .LBB9_1220
; %bb.1218:
	global_load_b32 v3, v[0:1], off
	s_mov_b32 s12, 0
	s_wait_loadcnt 0x0
	v_cvt_f64_u32_e32 v[4:5], v3
	s_branch .LBB9_1221
.LBB9_1219:
	s_mov_b32 s12, -1
                                        ; implicit-def: $vgpr4_vgpr5
	s_branch .LBB9_1224
.LBB9_1220:
	s_mov_b32 s12, -1
                                        ; implicit-def: $vgpr4_vgpr5
.LBB9_1221:
	s_delay_alu instid0(SALU_CYCLE_1)
	s_and_not1_b32 vcc_lo, exec_lo, s12
	s_cbranch_vccnz .LBB9_1223
; %bb.1222:
	global_load_u16 v3, v[0:1], off
	s_wait_loadcnt 0x0
	v_cvt_f64_u32_e32 v[4:5], v3
.LBB9_1223:
	s_mov_b32 s12, 0
.LBB9_1224:
	s_delay_alu instid0(SALU_CYCLE_1)
	s_and_not1_b32 vcc_lo, exec_lo, s12
	s_cbranch_vccnz .LBB9_1232
; %bb.1225:
	global_load_u8 v3, v[0:1], off
	s_mov_b32 s12, 0
	s_mov_b32 s13, exec_lo
	s_wait_loadcnt 0x0
	v_cmpx_lt_i16_e32 0x7f, v3
	s_xor_b32 s13, exec_lo, s13
	s_cbranch_execz .LBB9_1245
; %bb.1226:
	s_mov_b32 s12, -1
	s_mov_b32 s14, exec_lo
	v_cmpx_eq_u16_e32 0x80, v3
; %bb.1227:
	s_xor_b32 s12, exec_lo, -1
; %bb.1228:
	s_or_b32 exec_lo, exec_lo, s14
	s_delay_alu instid0(SALU_CYCLE_1)
	s_and_b32 s12, s12, exec_lo
	s_or_saveexec_b32 s13, s13
	v_mov_b64_e32 v[4:5], 0x7ff8000020000000
	s_xor_b32 exec_lo, exec_lo, s13
	s_cbranch_execnz .LBB9_1246
.LBB9_1229:
	s_or_b32 exec_lo, exec_lo, s13
	s_and_saveexec_b32 s13, s12
	s_cbranch_execz .LBB9_1231
.LBB9_1230:
	v_and_b32_e32 v4, 0xffff, v3
	s_delay_alu instid0(VALU_DEP_1) | instskip(SKIP_1) | instid1(VALU_DEP_2)
	v_and_b32_e32 v5, 7, v4
	v_bfe_u32 v11, v4, 3, 4
	v_clz_i32_u32_e32 v7, v5
	s_delay_alu instid0(VALU_DEP_2) | instskip(NEXT) | instid1(VALU_DEP_2)
	v_cmp_eq_u32_e32 vcc_lo, 0, v11
	v_min_u32_e32 v7, 32, v7
	s_delay_alu instid0(VALU_DEP_1) | instskip(NEXT) | instid1(VALU_DEP_1)
	v_subrev_nc_u32_e32 v9, 28, v7
	v_dual_lshlrev_b32 v4, v9, v4 :: v_dual_sub_nc_u32 v7, 29, v7
	s_delay_alu instid0(VALU_DEP_1) | instskip(NEXT) | instid1(VALU_DEP_1)
	v_dual_lshlrev_b32 v3, 24, v3 :: v_dual_bitop2_b32 v4, 7, v4 bitop3:0x40
	v_dual_cndmask_b32 v4, v5, v4 :: v_dual_cndmask_b32 v7, v11, v7
	s_delay_alu instid0(VALU_DEP_2) | instskip(NEXT) | instid1(VALU_DEP_2)
	v_and_b32_e32 v3, 0x80000000, v3
	v_lshlrev_b32_e32 v4, 20, v4
	s_delay_alu instid0(VALU_DEP_3) | instskip(NEXT) | instid1(VALU_DEP_1)
	v_lshl_add_u32 v5, v7, 23, 0x3b800000
	v_or3_b32 v3, v3, v5, v4
	s_delay_alu instid0(VALU_DEP_1)
	v_cvt_f64_f32_e32 v[4:5], v3
.LBB9_1231:
	s_or_b32 exec_lo, exec_lo, s13
.LBB9_1232:
	s_mov_b32 s12, -1
.LBB9_1233:
	s_branch .LBB9_1265
.LBB9_1234:
	s_cmp_gt_i32 s0, 22
	s_cbranch_scc0 .LBB9_1244
; %bb.1235:
	s_cmp_lt_i32 s0, 24
	s_cbranch_scc1 .LBB9_1247
; %bb.1236:
	s_cmp_gt_i32 s0, 24
	s_cbranch_scc0 .LBB9_1248
; %bb.1237:
	global_load_u8 v3, v[0:1], off
	s_mov_b32 s12, exec_lo
	s_wait_loadcnt 0x0
	v_cmpx_lt_i16_e32 0x7f, v3
	s_xor_b32 s12, exec_lo, s12
	s_cbranch_execz .LBB9_1259
; %bb.1238:
	s_mov_b32 s11, -1
	s_mov_b32 s13, exec_lo
	v_cmpx_eq_u16_e32 0x80, v3
; %bb.1239:
	s_xor_b32 s11, exec_lo, -1
; %bb.1240:
	s_or_b32 exec_lo, exec_lo, s13
	s_delay_alu instid0(SALU_CYCLE_1)
	s_and_b32 s11, s11, exec_lo
	s_or_saveexec_b32 s12, s12
	v_mov_b64_e32 v[4:5], 0x7ff8000020000000
	s_xor_b32 exec_lo, exec_lo, s12
	s_cbranch_execnz .LBB9_1260
.LBB9_1241:
	s_or_b32 exec_lo, exec_lo, s12
	s_and_saveexec_b32 s12, s11
	s_cbranch_execz .LBB9_1243
.LBB9_1242:
	v_and_b32_e32 v4, 0xffff, v3
	s_delay_alu instid0(VALU_DEP_1) | instskip(SKIP_1) | instid1(VALU_DEP_2)
	v_and_b32_e32 v5, 3, v4
	v_bfe_u32 v11, v4, 2, 5
	v_clz_i32_u32_e32 v7, v5
	s_delay_alu instid0(VALU_DEP_2) | instskip(NEXT) | instid1(VALU_DEP_2)
	v_cmp_eq_u32_e32 vcc_lo, 0, v11
	v_min_u32_e32 v7, 32, v7
	s_delay_alu instid0(VALU_DEP_1) | instskip(NEXT) | instid1(VALU_DEP_1)
	v_subrev_nc_u32_e32 v9, 29, v7
	v_dual_lshlrev_b32 v4, v9, v4 :: v_dual_sub_nc_u32 v7, 30, v7
	s_delay_alu instid0(VALU_DEP_1) | instskip(NEXT) | instid1(VALU_DEP_1)
	v_dual_lshlrev_b32 v3, 24, v3 :: v_dual_bitop2_b32 v4, 3, v4 bitop3:0x40
	v_dual_cndmask_b32 v4, v5, v4 :: v_dual_cndmask_b32 v7, v11, v7
	s_delay_alu instid0(VALU_DEP_2) | instskip(NEXT) | instid1(VALU_DEP_2)
	v_and_b32_e32 v3, 0x80000000, v3
	v_lshlrev_b32_e32 v4, 21, v4
	s_delay_alu instid0(VALU_DEP_3) | instskip(NEXT) | instid1(VALU_DEP_1)
	v_lshl_add_u32 v5, v7, 23, 0x37800000
	v_or3_b32 v3, v3, v5, v4
	s_delay_alu instid0(VALU_DEP_1)
	v_cvt_f64_f32_e32 v[4:5], v3
.LBB9_1243:
	s_or_b32 exec_lo, exec_lo, s12
	s_mov_b32 s11, 0
	s_branch .LBB9_1249
.LBB9_1244:
                                        ; implicit-def: $vgpr4_vgpr5
	s_mov_b32 s11, 0
	s_branch .LBB9_1255
.LBB9_1245:
	s_or_saveexec_b32 s13, s13
	v_mov_b64_e32 v[4:5], 0x7ff8000020000000
	s_xor_b32 exec_lo, exec_lo, s13
	s_cbranch_execz .LBB9_1229
.LBB9_1246:
	v_cmp_ne_u16_e32 vcc_lo, 0, v3
	v_mov_b64_e32 v[4:5], 0
	s_and_not1_b32 s12, s12, exec_lo
	s_and_b32 s14, vcc_lo, exec_lo
	s_delay_alu instid0(SALU_CYCLE_1)
	s_or_b32 s12, s12, s14
	s_or_b32 exec_lo, exec_lo, s13
	s_and_saveexec_b32 s13, s12
	s_cbranch_execnz .LBB9_1230
	s_branch .LBB9_1231
.LBB9_1247:
	s_mov_b32 s11, -1
                                        ; implicit-def: $vgpr4_vgpr5
	s_branch .LBB9_1252
.LBB9_1248:
	s_mov_b32 s11, -1
                                        ; implicit-def: $vgpr4_vgpr5
.LBB9_1249:
	s_delay_alu instid0(SALU_CYCLE_1)
	s_and_b32 vcc_lo, exec_lo, s11
	s_cbranch_vccz .LBB9_1251
; %bb.1250:
	global_load_u8 v3, v[0:1], off
	s_wait_loadcnt 0x0
	v_lshlrev_b32_e32 v3, 24, v3
	s_delay_alu instid0(VALU_DEP_1) | instskip(NEXT) | instid1(VALU_DEP_1)
	v_and_b32_e32 v4, 0x7f000000, v3
	v_clz_i32_u32_e32 v5, v4
	v_cmp_ne_u32_e32 vcc_lo, 0, v4
	v_add_nc_u32_e32 v9, 0x1000000, v4
	s_delay_alu instid0(VALU_DEP_3) | instskip(NEXT) | instid1(VALU_DEP_1)
	v_min_u32_e32 v5, 32, v5
	v_sub_nc_u32_e64 v5, v5, 4 clamp
	s_delay_alu instid0(VALU_DEP_1) | instskip(NEXT) | instid1(VALU_DEP_1)
	v_dual_lshlrev_b32 v7, v5, v4 :: v_dual_lshlrev_b32 v5, 23, v5
	v_lshrrev_b32_e32 v7, 4, v7
	s_delay_alu instid0(VALU_DEP_1) | instskip(SKIP_1) | instid1(VALU_DEP_2)
	v_sub_nc_u32_e32 v5, v7, v5
	v_ashrrev_i32_e32 v7, 8, v9
	v_add_nc_u32_e32 v5, 0x3c000000, v5
	s_delay_alu instid0(VALU_DEP_1) | instskip(NEXT) | instid1(VALU_DEP_1)
	v_and_or_b32 v5, 0x7f800000, v7, v5
	v_cndmask_b32_e32 v4, 0, v5, vcc_lo
	s_delay_alu instid0(VALU_DEP_1) | instskip(NEXT) | instid1(VALU_DEP_1)
	v_and_or_b32 v3, 0x80000000, v3, v4
	v_cvt_f64_f32_e32 v[4:5], v3
.LBB9_1251:
	s_mov_b32 s11, 0
.LBB9_1252:
	s_delay_alu instid0(SALU_CYCLE_1)
	s_and_not1_b32 vcc_lo, exec_lo, s11
	s_cbranch_vccnz .LBB9_1254
; %bb.1253:
	global_load_u8 v3, v[0:1], off
	s_wait_loadcnt 0x0
	v_lshlrev_b32_e32 v4, 25, v3
	v_lshlrev_b16 v3, 8, v3
	s_delay_alu instid0(VALU_DEP_1) | instskip(NEXT) | instid1(VALU_DEP_3)
	v_and_or_b32 v7, 0x7f00, v3, 0.5
	v_lshrrev_b32_e32 v5, 4, v4
	v_bfe_i32 v3, v3, 0, 16
	s_delay_alu instid0(VALU_DEP_3) | instskip(NEXT) | instid1(VALU_DEP_3)
	v_add_f32_e32 v7, -0.5, v7
	v_or_b32_e32 v5, 0x70000000, v5
	s_delay_alu instid0(VALU_DEP_1) | instskip(SKIP_1) | instid1(VALU_DEP_2)
	v_mul_f32_e32 v5, 0x7800000, v5
	v_cmp_gt_u32_e32 vcc_lo, 0x8000000, v4
	v_cndmask_b32_e32 v4, v5, v7, vcc_lo
	s_delay_alu instid0(VALU_DEP_1) | instskip(NEXT) | instid1(VALU_DEP_1)
	v_and_or_b32 v3, 0x80000000, v3, v4
	v_cvt_f64_f32_e32 v[4:5], v3
.LBB9_1254:
	s_mov_b32 s12, -1
	s_mov_b32 s11, 0
	s_cbranch_execnz .LBB9_1265
.LBB9_1255:
	s_cmp_gt_i32 s0, 14
	s_cbranch_scc0 .LBB9_1258
; %bb.1256:
	s_cmp_eq_u32 s0, 15
	s_cbranch_scc0 .LBB9_1261
; %bb.1257:
	global_load_u16 v3, v[0:1], off
	s_mov_b32 s1, 0
	s_mov_b32 s12, -1
	s_wait_loadcnt 0x0
	v_lshlrev_b32_e32 v3, 16, v3
	s_delay_alu instid0(VALU_DEP_1)
	v_cvt_f64_f32_e32 v[4:5], v3
	s_branch .LBB9_1263
.LBB9_1258:
	s_mov_b32 s11, -1
	s_branch .LBB9_1262
.LBB9_1259:
	s_or_saveexec_b32 s12, s12
	v_mov_b64_e32 v[4:5], 0x7ff8000020000000
	s_xor_b32 exec_lo, exec_lo, s12
	s_cbranch_execz .LBB9_1241
.LBB9_1260:
	v_cmp_ne_u16_e32 vcc_lo, 0, v3
	v_mov_b64_e32 v[4:5], 0
	s_and_not1_b32 s11, s11, exec_lo
	s_and_b32 s13, vcc_lo, exec_lo
	s_delay_alu instid0(SALU_CYCLE_1)
	s_or_b32 s11, s11, s13
	s_or_b32 exec_lo, exec_lo, s12
	s_and_saveexec_b32 s12, s11
	s_cbranch_execnz .LBB9_1242
	s_branch .LBB9_1243
.LBB9_1261:
	s_mov_b32 s1, -1
.LBB9_1262:
                                        ; implicit-def: $vgpr4_vgpr5
.LBB9_1263:
	s_and_b32 vcc_lo, exec_lo, s11
	s_mov_b32 s11, 0
	s_cbranch_vccz .LBB9_1265
; %bb.1264:
	s_cmp_lg_u32 s0, 11
	s_mov_b32 s11, -1
	s_cselect_b32 s1, -1, 0
.LBB9_1265:
	s_delay_alu instid0(SALU_CYCLE_1)
	s_and_b32 vcc_lo, exec_lo, s1
	s_mov_b32 s1, s8
	s_cbranch_vccnz .LBB9_1334
; %bb.1266:
	s_and_not1_b32 vcc_lo, exec_lo, s11
	s_cbranch_vccnz .LBB9_1268
.LBB9_1267:
	global_load_u8 v3, v[0:1], off
	v_mov_b32_e32 v4, 0
	s_mov_b32 s12, -1
	s_wait_loadcnt 0x0
	v_cmp_ne_u16_e32 vcc_lo, 0, v3
	v_cndmask_b32_e64 v5, 0, 0x3ff00000, vcc_lo
.LBB9_1268:
	s_branch .LBB9_1197
.LBB9_1269:
	s_and_b32 s0, 0xffff, s10
	s_delay_alu instid0(SALU_CYCLE_1)
	s_cmp_lt_i32 s0, 5
	s_cbranch_scc1 .LBB9_1274
; %bb.1270:
	s_cmp_lt_i32 s0, 8
	s_cbranch_scc1 .LBB9_1275
; %bb.1271:
	;; [unrolled: 3-line block ×3, first 2 shown]
	s_cmp_gt_i32 s0, 9
	s_cbranch_scc0 .LBB9_1277
; %bb.1273:
	global_load_b64 v[4:5], v[0:1], off
	s_mov_b32 s11, 0
	s_branch .LBB9_1278
.LBB9_1274:
                                        ; implicit-def: $vgpr4_vgpr5
	s_branch .LBB9_1295
.LBB9_1275:
                                        ; implicit-def: $vgpr4_vgpr5
	s_branch .LBB9_1284
.LBB9_1276:
	s_mov_b32 s11, -1
                                        ; implicit-def: $vgpr4_vgpr5
	s_branch .LBB9_1281
.LBB9_1277:
	s_mov_b32 s11, -1
                                        ; implicit-def: $vgpr4_vgpr5
.LBB9_1278:
	s_delay_alu instid0(SALU_CYCLE_1)
	s_and_not1_b32 vcc_lo, exec_lo, s11
	s_cbranch_vccnz .LBB9_1280
; %bb.1279:
	global_load_b32 v3, v[0:1], off
	s_wait_loadcnt 0x0
	v_cvt_f64_f32_e32 v[4:5], v3
.LBB9_1280:
	s_mov_b32 s11, 0
.LBB9_1281:
	s_delay_alu instid0(SALU_CYCLE_1)
	s_and_not1_b32 vcc_lo, exec_lo, s11
	s_cbranch_vccnz .LBB9_1283
; %bb.1282:
	global_load_b32 v3, v[0:1], off
	s_wait_loadcnt 0x0
	v_cvt_f32_f16_e32 v3, v3
	s_delay_alu instid0(VALU_DEP_1)
	v_cvt_f64_f32_e32 v[4:5], v3
.LBB9_1283:
	s_cbranch_execnz .LBB9_1294
.LBB9_1284:
	s_cmp_lt_i32 s0, 6
	s_cbranch_scc1 .LBB9_1287
; %bb.1285:
	s_cmp_gt_i32 s0, 6
	s_cbranch_scc0 .LBB9_1288
; %bb.1286:
	s_wait_loadcnt 0x0
	global_load_b64 v[4:5], v[0:1], off
	s_mov_b32 s11, 0
	s_branch .LBB9_1289
.LBB9_1287:
	s_mov_b32 s11, -1
                                        ; implicit-def: $vgpr4_vgpr5
	s_branch .LBB9_1292
.LBB9_1288:
	s_mov_b32 s11, -1
                                        ; implicit-def: $vgpr4_vgpr5
.LBB9_1289:
	s_delay_alu instid0(SALU_CYCLE_1)
	s_and_not1_b32 vcc_lo, exec_lo, s11
	s_cbranch_vccnz .LBB9_1291
; %bb.1290:
	global_load_b32 v3, v[0:1], off
	s_wait_loadcnt 0x0
	v_cvt_f64_f32_e32 v[4:5], v3
.LBB9_1291:
	s_mov_b32 s11, 0
.LBB9_1292:
	s_delay_alu instid0(SALU_CYCLE_1)
	s_and_not1_b32 vcc_lo, exec_lo, s11
	s_cbranch_vccnz .LBB9_1294
; %bb.1293:
	global_load_u16 v3, v[0:1], off
	s_wait_loadcnt 0x0
	v_cvt_f32_f16_e32 v3, v3
	s_delay_alu instid0(VALU_DEP_1)
	v_cvt_f64_f32_e32 v[4:5], v3
.LBB9_1294:
	s_cbranch_execnz .LBB9_1313
.LBB9_1295:
	s_cmp_lt_i32 s0, 2
	s_cbranch_scc1 .LBB9_1299
; %bb.1296:
	s_cmp_lt_i32 s0, 3
	s_cbranch_scc1 .LBB9_1300
; %bb.1297:
	s_cmp_gt_i32 s0, 3
	s_cbranch_scc0 .LBB9_1301
; %bb.1298:
	s_wait_loadcnt 0x0
	global_load_b64 v[4:5], v[0:1], off
	s_mov_b32 s11, 0
	s_wait_loadcnt 0x0
	v_cvt_f64_i32_e32 v[18:19], v5
	v_cvt_f64_u32_e32 v[4:5], v4
	s_delay_alu instid0(VALU_DEP_2) | instskip(NEXT) | instid1(VALU_DEP_1)
	v_ldexp_f64 v[18:19], v[18:19], 32
	v_add_f64_e32 v[4:5], v[18:19], v[4:5]
	s_branch .LBB9_1302
.LBB9_1299:
                                        ; implicit-def: $vgpr4_vgpr5
	s_branch .LBB9_1308
.LBB9_1300:
	s_mov_b32 s11, -1
                                        ; implicit-def: $vgpr4_vgpr5
	s_branch .LBB9_1305
.LBB9_1301:
	s_mov_b32 s11, -1
                                        ; implicit-def: $vgpr4_vgpr5
.LBB9_1302:
	s_delay_alu instid0(SALU_CYCLE_1)
	s_and_not1_b32 vcc_lo, exec_lo, s11
	s_cbranch_vccnz .LBB9_1304
; %bb.1303:
	global_load_b32 v3, v[0:1], off
	s_wait_loadcnt 0x0
	v_cvt_f64_i32_e32 v[4:5], v3
.LBB9_1304:
	s_mov_b32 s11, 0
.LBB9_1305:
	s_delay_alu instid0(SALU_CYCLE_1)
	s_and_not1_b32 vcc_lo, exec_lo, s11
	s_cbranch_vccnz .LBB9_1307
; %bb.1306:
	global_load_i16 v3, v[0:1], off
	s_wait_loadcnt 0x0
	v_cvt_f64_i32_e32 v[4:5], v3
.LBB9_1307:
	s_cbranch_execnz .LBB9_1313
.LBB9_1308:
	s_cmp_gt_i32 s0, 0
	s_mov_b32 s0, 0
	s_cbranch_scc0 .LBB9_1310
; %bb.1309:
	global_load_i8 v3, v[0:1], off
	s_wait_loadcnt 0x0
	v_cvt_f64_i32_e32 v[4:5], v3
	s_branch .LBB9_1311
.LBB9_1310:
	s_mov_b32 s0, -1
                                        ; implicit-def: $vgpr4_vgpr5
.LBB9_1311:
	s_delay_alu instid0(SALU_CYCLE_1)
	s_and_not1_b32 vcc_lo, exec_lo, s0
	s_cbranch_vccnz .LBB9_1313
; %bb.1312:
	global_load_u8 v0, v[0:1], off
	s_wait_loadcnt 0x0
	v_cvt_f64_u32_e32 v[4:5], v0
.LBB9_1313:
.LBB9_1314:
	s_wait_xcnt 0x0
	v_mov_b64_e32 v[0:1], 0x7ff0000000000000
	s_mov_b32 s11, exec_lo
	s_wait_loadcnt 0x0
	s_delay_alu instid0(VALU_DEP_2)
	v_cmpx_neq_f64_e32 0, v[4:5]
	s_cbranch_execz .LBB9_1322
; %bb.1315:
	v_mov_b64_e32 v[0:1], 0x7ff8000000000000
	s_mov_b32 s12, exec_lo
	v_cmpx_ngt_f64_e32 0, v[4:5]
	s_cbranch_execz .LBB9_1321
; %bb.1316:
                                        ; implicit-def: $vgpr0_vgpr1
	s_mov_b32 s0, exec_lo
	v_cmpx_ge_f64_e32 2.0, v[4:5]
	s_xor_b32 s13, exec_lo, s0
	s_cbranch_execz .LBB9_1318
; %bb.1317:
	v_fma_f64 v[0:1], v[4:5], 0.5, -2.0
	s_mov_b64 s[14:15], 0xbc545cb72134d0ef
	v_mul_f64_e32 v[22:23], 0.5, v[4:5]
	s_delay_alu instid0(VALU_DEP_2) | instskip(SKIP_1) | instid1(VALU_DEP_2)
	v_fmaak_f64 v[18:19], s[14:15], v[0:1], 0x3c833362977da589
	s_mov_b64 s[14:15], 0x3fe5555555555555
	v_frexp_mant_f64_e32 v[24:25], v[22:23]
	v_cmp_neq_f64_e64 s0, 0, v[22:23]
	s_delay_alu instid0(VALU_DEP_3) | instskip(NEXT) | instid1(VALU_DEP_1)
	v_fmaak_f64 v[20:21], v[0:1], v[18:19], 0x3c545cb72134d0ef
	v_add_f64_e32 v[20:21], 0xbcb184eb721ebbb4, v[20:21]
	s_delay_alu instid0(VALU_DEP_4) | instskip(SKIP_1) | instid1(VALU_DEP_2)
	v_cmp_gt_f64_e32 vcc_lo, s[14:15], v[24:25]
	s_mov_b64 s[14:15], 0x3fc3ab76bf559e2b
	v_fma_f64 v[18:19], v[0:1], v[20:21], -v[18:19]
	v_cndmask_b32_e64 v3, 0, 1, vcc_lo
	s_delay_alu instid0(VALU_DEP_1) | instskip(SKIP_1) | instid1(VALU_DEP_4)
	v_ldexp_f64 v[24:25], v[24:25], v3
	v_frexp_exp_i32_f64_e32 v3, v[22:23]
	v_add_f64_e32 v[18:19], 0x3cdee6d893f65eba, v[18:19]
	s_delay_alu instid0(VALU_DEP_3) | instskip(SKIP_1) | instid1(VALU_DEP_4)
	v_add_f64_e32 v[26:27], 1.0, v[24:25]
	v_add_f64_e32 v[32:33], -1.0, v[24:25]
	v_subrev_co_ci_u32_e64 v3, null, 0, v3, vcc_lo
	v_cmp_neq_f64_e32 vcc_lo, 0x7ff00000, v[22:23]
	v_fma_f64 v[20:21], v[0:1], v[18:19], -v[20:21]
	v_rcp_f64_e32 v[28:29], v[26:27]
	v_add_f64_e32 v[34:35], -1.0, v[26:27]
	s_delay_alu instid0(VALU_DEP_2) | instskip(NEXT) | instid1(VALU_DEP_2)
	v_add_f64_e32 v[20:21], 0xbd0a5022c297fbeb, v[20:21]
	v_add_f64_e64 v[24:25], v[24:25], -v[34:35]
	s_delay_alu instid0(TRANS32_DEP_1) | instskip(NEXT) | instid1(VALU_DEP_3)
	v_fma_f64 v[30:31], -v[26:27], v[28:29], 1.0
	v_fma_f64 v[18:19], v[0:1], v[20:21], -v[18:19]
	s_delay_alu instid0(VALU_DEP_2) | instskip(NEXT) | instid1(VALU_DEP_2)
	v_fmac_f64_e32 v[28:29], v[30:31], v[28:29]
	v_add_f64_e32 v[18:19], 0x3d359b464b262627, v[18:19]
	s_delay_alu instid0(VALU_DEP_2) | instskip(NEXT) | instid1(VALU_DEP_2)
	v_fma_f64 v[30:31], -v[26:27], v[28:29], 1.0
	v_fma_f64 v[20:21], v[0:1], v[18:19], -v[20:21]
	s_delay_alu instid0(VALU_DEP_2) | instskip(NEXT) | instid1(VALU_DEP_2)
	v_fmac_f64_e32 v[28:29], v[30:31], v[28:29]
	v_add_f64_e32 v[20:21], 0xbd61164c62ee1af0, v[20:21]
	s_delay_alu instid0(VALU_DEP_2) | instskip(NEXT) | instid1(VALU_DEP_2)
	v_mul_f64_e32 v[30:31], v[32:33], v[28:29]
	v_fma_f64 v[18:19], v[0:1], v[20:21], -v[18:19]
	s_delay_alu instid0(VALU_DEP_2) | instskip(NEXT) | instid1(VALU_DEP_2)
	v_mul_f64_e32 v[36:37], v[26:27], v[30:31]
	v_add_f64_e32 v[18:19], 0x3d89fe2fe19bd324, v[18:19]
	s_delay_alu instid0(VALU_DEP_2) | instskip(NEXT) | instid1(VALU_DEP_2)
	v_fma_f64 v[26:27], v[30:31], v[26:27], -v[36:37]
	v_fma_f64 v[20:21], v[0:1], v[18:19], -v[20:21]
	s_delay_alu instid0(VALU_DEP_2) | instskip(NEXT) | instid1(VALU_DEP_2)
	v_fmac_f64_e32 v[26:27], v[30:31], v[24:25]
	v_add_f64_e32 v[20:21], 0xbdb2fc957a946abc, v[20:21]
	s_delay_alu instid0(VALU_DEP_2) | instskip(NEXT) | instid1(VALU_DEP_2)
	v_add_f64_e32 v[24:25], v[36:37], v[26:27]
	v_fma_f64 v[18:19], v[0:1], v[20:21], -v[18:19]
	s_delay_alu instid0(VALU_DEP_2) | instskip(NEXT) | instid1(VALU_DEP_2)
	v_add_f64_e64 v[34:35], v[32:33], -v[24:25]
	v_add_f64_e32 v[18:19], 0x3dda98becc743c10, v[18:19]
	v_add_f64_e64 v[36:37], v[24:25], -v[36:37]
	s_delay_alu instid0(VALU_DEP_3) | instskip(NEXT) | instid1(VALU_DEP_3)
	v_add_f64_e64 v[32:33], v[32:33], -v[34:35]
	v_fma_f64 v[20:21], v[0:1], v[18:19], -v[20:21]
	s_delay_alu instid0(VALU_DEP_3) | instskip(SKIP_1) | instid1(VALU_DEP_4)
	v_add_f64_e64 v[26:27], v[36:37], -v[26:27]
	v_cvt_f64_i32_e32 v[36:37], v3
	v_add_f64_e64 v[24:25], v[32:33], -v[24:25]
	s_delay_alu instid0(VALU_DEP_4) | instskip(NEXT) | instid1(VALU_DEP_3)
	v_add_f64_e32 v[20:21], 0xbe01d4fe13ae9556, v[20:21]
	v_mul_f64_e32 v[38:39], 0x3fe62e42fefa39ef, v[36:37]
	s_delay_alu instid0(VALU_DEP_3) | instskip(NEXT) | instid1(VALU_DEP_3)
	v_add_f64_e32 v[24:25], v[26:27], v[24:25]
	v_fma_f64 v[18:19], v[0:1], v[20:21], -v[18:19]
	s_delay_alu instid0(VALU_DEP_2) | instskip(NEXT) | instid1(VALU_DEP_2)
	v_add_f64_e32 v[24:25], v[34:35], v[24:25]
	v_add_f64_e32 v[18:19], 0x3e26d903a454cb34, v[18:19]
	s_delay_alu instid0(VALU_DEP_2) | instskip(NEXT) | instid1(VALU_DEP_2)
	v_mul_f64_e32 v[24:25], v[28:29], v[24:25]
	v_fma_f64 v[20:21], v[0:1], v[18:19], -v[20:21]
	s_delay_alu instid0(VALU_DEP_2) | instskip(NEXT) | instid1(VALU_DEP_2)
	v_add_f64_e32 v[26:27], v[30:31], v[24:25]
	v_add_f64_e32 v[20:21], 0xbe4beaf68c0b30ab, v[20:21]
	s_delay_alu instid0(VALU_DEP_2) | instskip(NEXT) | instid1(VALU_DEP_2)
	v_mul_f64_e32 v[28:29], v[26:27], v[26:27]
	v_fma_f64 v[18:19], v[0:1], v[20:21], -v[18:19]
	s_delay_alu instid0(VALU_DEP_2) | instskip(NEXT) | instid1(VALU_DEP_2)
	v_fmaak_f64 v[32:33], s[14:15], v[28:29], 0x3fc385386b47b09a
	v_add_f64_e32 v[18:19], 0x3e703b769d4d6435, v[18:19]
	v_mul_f64_e32 v[34:35], v[26:27], v[28:29]
	s_mov_b64 s[14:15], 0x3ca3cee1e6a7fd77
	s_delay_alu instid0(VALU_DEP_3) | instskip(NEXT) | instid1(VALU_DEP_1)
	v_fmaak_f64 v[32:33], v[28:29], v[32:33], 0x3fc7474dd7f4df2e
	v_fmaak_f64 v[32:33], v[28:29], v[32:33], 0x3fcc71c016291751
	s_delay_alu instid0(VALU_DEP_1) | instskip(NEXT) | instid1(VALU_DEP_1)
	v_fmaak_f64 v[32:33], v[28:29], v[32:33], 0x3fd249249b27acf1
	v_fmaak_f64 v[32:33], v[28:29], v[32:33], 0x3fd99999998ef7b6
	v_fma_f64 v[20:21], v[0:1], v[18:19], -v[20:21]
	s_delay_alu instid0(VALU_DEP_2) | instskip(SKIP_2) | instid1(VALU_DEP_3)
	v_fmaak_f64 v[28:29], v[28:29], v[32:33], 0x3fe5555555555780
	v_ldexp_f64 v[32:33], v[26:27], 1
	v_add_f64_e64 v[26:27], v[26:27], -v[30:31]
	v_mul_f64_e32 v[28:29], v[34:35], v[28:29]
	v_fma_f64 v[34:35], v[4:5], v[4:5], -2.0
	v_add_f64_e32 v[20:21], 0xbe91ec638f227f8d, v[20:21]
	s_delay_alu instid0(VALU_DEP_4) | instskip(NEXT) | instid1(VALU_DEP_4)
	v_add_f64_e64 v[24:25], v[24:25], -v[26:27]
	v_add_f64_e32 v[30:31], v[32:33], v[28:29]
	s_delay_alu instid0(VALU_DEP_3) | instskip(NEXT) | instid1(VALU_DEP_3)
	v_fma_f64 v[18:19], v[0:1], v[20:21], -v[18:19]
	v_ldexp_f64 v[24:25], v[24:25], 1
	s_delay_alu instid0(VALU_DEP_3) | instskip(SKIP_2) | instid1(VALU_DEP_1)
	v_add_f64_e64 v[26:27], v[30:31], -v[32:33]
	v_fmaak_f64 v[32:33], s[14:15], v[34:35], 0x3d27fb0ac384c2aa
	s_mov_b64 s[14:15], 0x3fe62e42fefa39ef
	v_fmaak_f64 v[40:41], v[34:35], v[32:33], 0xbca3cee1e6a7fd77
	v_add_f64_e32 v[18:19], 0x3eb2bf24978cf4ac, v[18:19]
	s_delay_alu instid0(VALU_DEP_4) | instskip(NEXT) | instid1(VALU_DEP_3)
	v_add_f64_e64 v[26:27], v[28:29], -v[26:27]
	v_add_f64_e32 v[28:29], 0x3da6c25c47512144, v[40:41]
	v_fma_f64 v[40:41], v[36:37], s[14:15], -v[38:39]
	s_mov_b64 s[14:15], 0x3e5ade156a5dcb37
	s_delay_alu instid0(VALU_DEP_4) | instskip(NEXT) | instid1(VALU_DEP_4)
	v_fma_f64 v[20:21], v[0:1], v[18:19], -v[20:21]
	v_add_f64_e32 v[24:25], v[24:25], v[26:27]
	s_delay_alu instid0(VALU_DEP_4) | instskip(NEXT) | instid1(VALU_DEP_4)
	v_fma_f64 v[26:27], v[34:35], v[28:29], -v[32:33]
	v_fmamk_f64 v[32:33], v[36:37], 0x3c7abc9e3b39803f, v[40:41]
	s_delay_alu instid0(VALU_DEP_1) | instskip(SKIP_3) | instid1(VALU_DEP_4)
	v_add_f64_e32 v[40:41], v[38:39], v[32:33]
	v_add_f64_e32 v[20:21], 0xbed2866fcba56427, v[20:21]
	;; [unrolled: 1-line block ×4, first 2 shown]
	v_add_f64_e64 v[38:39], v[40:41], -v[38:39]
	s_delay_alu instid0(VALU_DEP_4) | instskip(NEXT) | instid1(VALU_DEP_4)
	v_fma_f64 v[18:19], v[0:1], v[20:21], -v[18:19]
	v_add_f64_e32 v[42:43], v[40:41], v[36:37]
	s_delay_alu instid0(VALU_DEP_4) | instskip(SKIP_1) | instid1(VALU_DEP_4)
	v_fma_f64 v[28:29], v[34:35], v[26:27], -v[28:29]
	v_add_f64_e64 v[30:31], v[36:37], -v[30:31]
	v_add_f64_e32 v[18:19], 0x3ef13f58be9a2859, v[18:19]
	s_delay_alu instid0(VALU_DEP_4) | instskip(NEXT) | instid1(VALU_DEP_4)
	v_add_f64_e64 v[44:45], v[42:43], -v[40:41]
	v_add_f64_e32 v[28:29], 0x3e9102bce7f95efc, v[28:29]
	s_delay_alu instid0(VALU_DEP_4)
	v_add_f64_e64 v[24:25], v[24:25], -v[30:31]
	v_add_f64_e64 v[30:31], v[32:33], -v[38:39]
	v_mul_f64_e32 v[38:39], 0x3ff71547652b82fe, v[4:5]
	v_fma_f64 v[20:21], v[0:1], v[18:19], -v[20:21]
	v_add_f64_e64 v[46:47], v[42:43], -v[44:45]
	v_fma_f64 v[26:27], v[34:35], v[28:29], -v[26:27]
	v_add_f64_e64 v[36:37], v[36:37], -v[44:45]
	s_delay_alu instid0(VALU_DEP_4) | instskip(NEXT) | instid1(VALU_DEP_4)
	v_add_f64_e32 v[20:21], 0xbf0e2b2659c41d5a, v[20:21]
	v_add_f64_e64 v[32:33], v[40:41], -v[46:47]
	s_delay_alu instid0(VALU_DEP_4) | instskip(SKIP_1) | instid1(VALU_DEP_4)
	v_add_f64_e32 v[26:27], 0x3ef7f900fe8cfca0, v[26:27]
	v_add_f64_e32 v[40:41], v[30:31], v[24:25]
	v_fma_f64 v[18:19], v[0:1], v[20:21], -v[18:19]
	s_delay_alu instid0(VALU_DEP_4) | instskip(NEXT) | instid1(VALU_DEP_4)
	v_add_f64_e32 v[32:33], v[36:37], v[32:33]
	v_fma_f64 v[28:29], v[34:35], v[26:27], -v[28:29]
	v_rndne_f64_e32 v[36:37], v[38:39]
	v_add_f64_e64 v[38:39], v[40:41], -v[30:31]
	v_add_f64_e32 v[18:19], 0x3f28b51b74107cab, v[18:19]
	v_add_f64_e32 v[32:33], v[40:41], v[32:33]
	v_add_f64_e32 v[28:29], 0x3f54b82e75633d73, v[28:29]
	v_fmamk_f64 v[4:5], v[36:37], 0xbfe62e42fefa39ef, v[4:5]
	v_add_f64_e64 v[40:41], v[40:41], -v[38:39]
	v_add_f64_e64 v[24:25], v[24:25], -v[38:39]
	v_cvt_i32_f64_e32 v3, v[36:37]
	s_delay_alu instid0(VALU_DEP_4) | instskip(NEXT) | instid1(VALU_DEP_1)
	v_fmamk_f64 v[4:5], v[36:37], 0xbc7abc9e3b39803f, v[4:5]
	v_fmaak_f64 v[46:47], s[14:15], v[4:5], 0x3e928af3fca7ab0c
	s_delay_alu instid0(VALU_DEP_1) | instskip(SKIP_1) | instid1(VALU_DEP_2)
	v_fmaak_f64 v[46:47], v[4:5], v[46:47], 0x3ec71dee623fde64
	v_fma_f64 v[20:21], v[0:1], v[18:19], -v[20:21]
	v_fmaak_f64 v[46:47], v[4:5], v[46:47], 0x3efa01997c89e6b0
	v_add_f64_e32 v[44:45], v[42:43], v[32:33]
	v_fma_f64 v[26:27], v[34:35], v[28:29], -v[26:27]
	v_add_f64_e64 v[30:31], v[30:31], -v[40:41]
	s_delay_alu instid0(VALU_DEP_4) | instskip(NEXT) | instid1(VALU_DEP_1)
	v_fmaak_f64 v[46:47], v[4:5], v[46:47], 0x3f2a01a014761f6e
	v_fmaak_f64 v[40:41], v[4:5], v[46:47], 0x3f56c16c1852b7b0
	v_add_f64_e32 v[20:21], 0xbf42e2fd1f15eb52, v[20:21]
	v_add_f64_e64 v[38:39], v[44:45], -v[42:43]
	v_add_f64_e32 v[26:27], 0x3fa26bf6554a9085, v[26:27]
	v_add_f64_e32 v[24:25], v[24:25], v[30:31]
	s_delay_alu instid0(VALU_DEP_4) | instskip(NEXT) | instid1(VALU_DEP_4)
	v_fma_f64 v[18:19], v[0:1], v[20:21], -v[18:19]
	v_add_f64_e64 v[30:31], v[32:33], -v[38:39]
	s_delay_alu instid0(VALU_DEP_4) | instskip(NEXT) | instid1(VALU_DEP_3)
	v_fma_f64 v[28:29], v[34:35], v[26:27], -v[28:29]
	v_add_f64_e32 v[18:19], 0x3f5adc758a12100e, v[18:19]
	s_delay_alu instid0(VALU_DEP_3) | instskip(NEXT) | instid1(VALU_DEP_3)
	v_add_f64_e32 v[24:25], v[24:25], v[30:31]
	v_add_f64_e32 v[28:29], 0x3fd608d881213db9, v[28:29]
	s_delay_alu instid0(VALU_DEP_3) | instskip(NEXT) | instid1(VALU_DEP_1)
	v_fma_f64 v[20:21], v[0:1], v[18:19], -v[20:21]
	v_add_f64_e32 v[20:21], 0xbf71b65e201aa849, v[20:21]
	s_delay_alu instid0(VALU_DEP_1) | instskip(NEXT) | instid1(VALU_DEP_1)
	v_fma_f64 v[18:19], v[0:1], v[20:21], -v[18:19]
	v_add_f64_e32 v[18:19], 0x3f859961f3dde3dd, v[18:19]
	s_delay_alu instid0(VALU_DEP_1) | instskip(NEXT) | instid1(VALU_DEP_1)
	;; [unrolled: 3-line block ×6, first 2 shown]
	v_fma_f64 v[20:21], v[0:1], v[18:19], -v[20:21]
	v_add_f64_e32 v[20:21], 0xbfd37febc057cd8d, v[20:21]
	s_delay_alu instid0(VALU_DEP_1) | instskip(SKIP_1) | instid1(VALU_DEP_1)
	v_fma_f64 v[0:1], v[0:1], v[20:21], -v[18:19]
	v_fmaak_f64 v[20:21], v[4:5], v[40:41], 0x3f81111111122322
	v_fmaak_f64 v[20:21], v[4:5], v[20:21], 0x3fa55555555502a1
	s_delay_alu instid0(VALU_DEP_1) | instskip(NEXT) | instid1(VALU_DEP_1)
	v_fmaak_f64 v[20:21], v[4:5], v[20:21], 0x3fc5555555555511
	v_fmaak_f64 v[20:21], v[4:5], v[20:21], 0x3fe000000000000b
	s_delay_alu instid0(VALU_DEP_1) | instskip(SKIP_1) | instid1(VALU_DEP_2)
	v_fma_f64 v[20:21], v[4:5], v[20:21], 1.0
	v_add_f64_e32 v[0:1], 0x3fe5a84e9035a22a, v[0:1]
	v_fma_f64 v[4:5], v[4:5], v[20:21], 1.0
	v_fma_f64 v[20:21], v[34:35], v[28:29], -v[26:27]
	s_delay_alu instid0(VALU_DEP_3) | instskip(SKIP_1) | instid1(VALU_DEP_4)
	v_add_f64_e64 v[0:1], v[0:1], -v[18:19]
	v_add_f64_e32 v[18:19], v[44:45], v[24:25]
	v_ldexp_f64 v[4:5], v[4:5], v3
	s_delay_alu instid0(VALU_DEP_4) | instskip(NEXT) | instid1(VALU_DEP_4)
	v_add_f64_e32 v[20:21], 0xbfe12166e9d2f61f, v[20:21]
	v_mul_f64_e32 v[0:1], 0.5, v[0:1]
	s_delay_alu instid0(VALU_DEP_4) | instskip(SKIP_2) | instid1(VALU_DEP_2)
	v_cndmask_b32_e32 v3, 0x7ff00000, v19, vcc_lo
	s_and_b32 vcc_lo, s0, vcc_lo
	v_cndmask_b32_e32 v18, 0, v18, vcc_lo
	v_cndmask_b32_e64 v19, 0xfff00000, v3, s0
	v_add_f64_e64 v[20:21], v[20:21], -v[26:27]
	v_mul_f64_e32 v[0:1], v[4:5], v[0:1]
	s_delay_alu instid0(VALU_DEP_1) | instskip(NEXT) | instid1(VALU_DEP_1)
	v_mul_f64_e32 v[0:1], v[18:19], v[0:1]
	v_fma_f64 v[0:1], v[20:21], 0.5, -v[0:1]
	s_delay_alu instid0(VALU_DEP_1)
	v_mul_f64_e32 v[0:1], v[4:5], v[0:1]
                                        ; implicit-def: $vgpr4_vgpr5
.LBB9_1318:
	s_and_not1_saveexec_b32 s0, s13
	s_cbranch_execz .LBB9_1320
; %bb.1319:
	v_div_scale_f64 v[0:1], null, v[4:5], v[4:5], 0x40200000
	v_div_scale_f64 v[22:23], vcc_lo, 0x40200000, v[4:5], 0x40200000
	s_mov_b64 s[14:15], 0x3c5871a5cf8c9ee1
	v_rcp_f64_e32 v[18:19], v[0:1]
	v_nop
	s_delay_alu instid0(TRANS32_DEP_1) | instskip(NEXT) | instid1(VALU_DEP_1)
	v_fma_f64 v[20:21], -v[0:1], v[18:19], 1.0
	v_fmac_f64_e32 v[18:19], v[18:19], v[20:21]
	s_delay_alu instid0(VALU_DEP_1) | instskip(NEXT) | instid1(VALU_DEP_1)
	v_fma_f64 v[20:21], -v[0:1], v[18:19], 1.0
	v_fmac_f64_e32 v[18:19], v[18:19], v[20:21]
	s_delay_alu instid0(VALU_DEP_1) | instskip(NEXT) | instid1(VALU_DEP_1)
	v_mul_f64_e32 v[20:21], v[22:23], v[18:19]
	v_fma_f64 v[0:1], -v[0:1], v[20:21], v[22:23]
	s_delay_alu instid0(VALU_DEP_1) | instskip(SKIP_1) | instid1(VALU_DEP_2)
	v_div_fmas_f64 v[0:1], v[0:1], v[18:19], v[20:21]
	v_cmp_gt_f64_e32 vcc_lo, 0x10000000, v[4:5]
	v_div_fixup_f64 v[0:1], v[0:1], v[4:5], 0x40200000
	v_cndmask_b32_e64 v3, 0, 0x100, vcc_lo
	s_delay_alu instid0(VALU_DEP_1) | instskip(SKIP_1) | instid1(VALU_DEP_4)
	v_ldexp_f64 v[4:5], v[4:5], v3
	v_cndmask_b32_e64 v3, 0, 0xffffff80, vcc_lo
	v_add_f64_e32 v[0:1], -2.0, v[0:1]
	s_delay_alu instid0(VALU_DEP_3) | instskip(SKIP_1) | instid1(VALU_DEP_2)
	v_cmp_class_f64_e64 vcc_lo, v[4:5], 0x260
	v_rsq_f64_e32 v[22:23], v[4:5]
	v_fmaak_f64 v[18:19], s[14:15], v[0:1], 0xbc72fecc93812603
	s_delay_alu instid0(VALU_DEP_1) | instskip(NEXT) | instid1(TRANS32_DEP_1)
	v_fmaak_f64 v[20:21], v[0:1], v[18:19], 0xbc5871a5cf8c9ee1
	v_mul_f64_e32 v[24:25], v[4:5], v[22:23]
	s_delay_alu instid0(VALU_DEP_2) | instskip(SKIP_1) | instid1(VALU_DEP_2)
	v_add_f64_e32 v[20:21], 0x3c8e092e41a8cdf4, v[20:21]
	v_mul_f64_e32 v[22:23], 0.5, v[22:23]
	v_fma_f64 v[18:19], v[0:1], v[20:21], -v[18:19]
	s_delay_alu instid0(VALU_DEP_2) | instskip(NEXT) | instid1(VALU_DEP_2)
	v_fma_f64 v[26:27], -v[22:23], v[24:25], 0.5
	v_add_f64_e32 v[18:19], 0xbca82f9474d77641, v[18:19]
	s_delay_alu instid0(VALU_DEP_2) | instskip(SKIP_1) | instid1(VALU_DEP_3)
	v_fmac_f64_e32 v[24:25], v[24:25], v[26:27]
	v_fmac_f64_e32 v[22:23], v[22:23], v[26:27]
	v_fma_f64 v[20:21], v[0:1], v[18:19], -v[20:21]
	s_delay_alu instid0(VALU_DEP_3) | instskip(NEXT) | instid1(VALU_DEP_2)
	v_fma_f64 v[26:27], -v[24:25], v[24:25], v[4:5]
	v_add_f64_e32 v[20:21], 0x3cc3dbf96b94785b, v[20:21]
	s_delay_alu instid0(VALU_DEP_2) | instskip(NEXT) | instid1(VALU_DEP_2)
	v_fmac_f64_e32 v[24:25], v[26:27], v[22:23]
	v_fma_f64 v[18:19], v[0:1], v[20:21], -v[18:19]
	s_delay_alu instid0(VALU_DEP_1) | instskip(NEXT) | instid1(VALU_DEP_1)
	v_add_f64_e32 v[18:19], 0xbce0a690ecfadd36, v[18:19]
	v_fma_f64 v[20:21], v[0:1], v[18:19], -v[20:21]
	s_delay_alu instid0(VALU_DEP_1) | instskip(NEXT) | instid1(VALU_DEP_1)
	v_add_f64_e32 v[20:21], 0x3cfc8d9c4a7ddc98, v[20:21]
	;; [unrolled: 3-line block ×19, first 2 shown]
	v_fma_f64 v[0:1], v[0:1], v[18:19], -v[20:21]
	v_fma_f64 v[18:19], -v[24:25], v[24:25], v[4:5]
	s_delay_alu instid0(VALU_DEP_2) | instskip(NEXT) | instid1(VALU_DEP_2)
	v_add_f64_e32 v[0:1], 0x400385bd9f4e6907, v[0:1]
	v_fmac_f64_e32 v[24:25], v[18:19], v[22:23]
	s_delay_alu instid0(VALU_DEP_2) | instskip(NEXT) | instid1(VALU_DEP_2)
	v_add_f64_e64 v[0:1], v[0:1], -v[20:21]
	v_ldexp_f64 v[18:19], v[24:25], v3
	s_delay_alu instid0(VALU_DEP_2) | instskip(NEXT) | instid1(VALU_DEP_2)
	v_mul_f64_e32 v[0:1], 0.5, v[0:1]
	v_dual_cndmask_b32 v5, v19, v5 :: v_dual_cndmask_b32 v4, v18, v4
	s_delay_alu instid0(VALU_DEP_1) | instskip(NEXT) | instid1(VALU_DEP_1)
	v_div_scale_f64 v[18:19], null, v[4:5], v[4:5], v[0:1]
	v_rcp_f64_e32 v[20:21], v[18:19]
	v_nop
	s_delay_alu instid0(TRANS32_DEP_1) | instskip(NEXT) | instid1(VALU_DEP_1)
	v_fma_f64 v[22:23], -v[18:19], v[20:21], 1.0
	v_fmac_f64_e32 v[20:21], v[20:21], v[22:23]
	s_delay_alu instid0(VALU_DEP_1) | instskip(NEXT) | instid1(VALU_DEP_1)
	v_fma_f64 v[22:23], -v[18:19], v[20:21], 1.0
	v_fmac_f64_e32 v[20:21], v[20:21], v[22:23]
	v_div_scale_f64 v[22:23], vcc_lo, v[0:1], v[4:5], v[0:1]
	s_delay_alu instid0(VALU_DEP_1) | instskip(NEXT) | instid1(VALU_DEP_1)
	v_mul_f64_e32 v[24:25], v[22:23], v[20:21]
	v_fma_f64 v[18:19], -v[18:19], v[24:25], v[22:23]
	s_delay_alu instid0(VALU_DEP_1) | instskip(NEXT) | instid1(VALU_DEP_1)
	v_div_fmas_f64 v[18:19], v[18:19], v[20:21], v[24:25]
	v_div_fixup_f64 v[0:1], v[18:19], v[4:5], v[0:1]
.LBB9_1320:
	s_or_b32 exec_lo, exec_lo, s0
.LBB9_1321:
	s_delay_alu instid0(SALU_CYCLE_1)
	s_or_b32 exec_lo, exec_lo, s12
.LBB9_1322:
	s_delay_alu instid0(SALU_CYCLE_1) | instskip(SKIP_2) | instid1(SALU_CYCLE_1)
	s_or_b32 exec_lo, exec_lo, s11
	v_mov_b32_e32 v17, 0
	s_and_b32 s10, 0xffff, s10
	s_cmp_lt_i32 s10, 11
	s_delay_alu instid0(VALU_DEP_1)
	v_add_nc_u64_e32 v[4:5], s[6:7], v[16:17]
	s_cbranch_scc1 .LBB9_1329
; %bb.1323:
	s_cmp_gt_i32 s10, 25
	s_mov_b32 s11, 0
	s_cbranch_scc0 .LBB9_1331
; %bb.1324:
	s_cmp_gt_i32 s10, 28
	s_cbranch_scc0 .LBB9_1332
; %bb.1325:
	s_cmp_gt_i32 s10, 43
	;; [unrolled: 3-line block ×3, first 2 shown]
	s_cbranch_scc0 .LBB9_1335
; %bb.1327:
	s_cmp_eq_u32 s10, 46
	s_mov_b32 s13, 0
	s_cbranch_scc0 .LBB9_1338
; %bb.1328:
	global_load_b32 v3, v[4:5], off
	s_mov_b32 s0, 0
	s_mov_b32 s12, -1
	s_wait_loadcnt 0x0
	v_lshlrev_b32_e32 v3, 16, v3
	s_delay_alu instid0(VALU_DEP_1)
	v_cvt_f64_f32_e32 v[16:17], v3
	s_branch .LBB9_1340
.LBB9_1329:
	s_mov_b32 s12, 0
                                        ; implicit-def: $vgpr16_vgpr17
	s_cbranch_execnz .LBB9_1405
.LBB9_1330:
	s_and_not1_b32 vcc_lo, exec_lo, s12
	s_cbranch_vccnz .LBB9_1815
	s_branch .LBB9_1452
.LBB9_1331:
	s_mov_b32 s12, 0
	s_mov_b32 s0, 0
                                        ; implicit-def: $vgpr16_vgpr17
	s_cbranch_execnz .LBB9_1369
	s_branch .LBB9_1401
.LBB9_1332:
	s_mov_b32 s13, -1
	s_mov_b32 s12, 0
	s_mov_b32 s0, 0
                                        ; implicit-def: $vgpr16_vgpr17
	s_branch .LBB9_1350
.LBB9_1333:
	s_mov_b32 s13, -1
	s_mov_b32 s12, 0
	s_mov_b32 s0, 0
                                        ; implicit-def: $vgpr16_vgpr17
	s_branch .LBB9_1345
.LBB9_1334:
	s_or_b32 s1, s8, exec_lo
	s_trap 2
	s_cbranch_execz .LBB9_1267
	s_branch .LBB9_1268
.LBB9_1335:
	s_mov_b32 s13, -1
	s_mov_b32 s12, 0
	s_mov_b32 s0, 0
	s_branch .LBB9_1339
.LBB9_1336:
	s_and_not1_saveexec_b32 s10, s10
	s_cbranch_execz .LBB9_1053
.LBB9_1337:
	v_add_f32_e64 v3, 0x42800000, |v2|
	s_and_not1_b32 s9, s9, exec_lo
	s_delay_alu instid0(VALU_DEP_1) | instskip(NEXT) | instid1(VALU_DEP_1)
	v_and_b32_e32 v3, 0xff, v3
	v_cmp_ne_u32_e32 vcc_lo, 0, v3
	s_and_b32 s11, vcc_lo, exec_lo
	s_delay_alu instid0(SALU_CYCLE_1)
	s_or_b32 s9, s9, s11
	s_or_b32 exec_lo, exec_lo, s10
	v_mov_b32_e32 v6, 0
	s_and_saveexec_b32 s10, s9
	s_cbranch_execnz .LBB9_1054
	s_branch .LBB9_1055
.LBB9_1338:
	s_mov_b32 s0, -1
	s_mov_b32 s12, 0
.LBB9_1339:
                                        ; implicit-def: $vgpr16_vgpr17
.LBB9_1340:
	s_and_b32 vcc_lo, exec_lo, s13
	s_cbranch_vccz .LBB9_1344
; %bb.1341:
	s_cmp_eq_u32 s10, 44
	s_cbranch_scc0 .LBB9_1343
; %bb.1342:
	global_load_u8 v3, v[4:5], off
	s_mov_b32 s0, 0
	s_mov_b32 s12, -1
	s_wait_loadcnt 0x0
	v_lshlrev_b32_e32 v7, 23, v3
	v_cmp_ne_u32_e32 vcc_lo, 0xff, v3
	s_delay_alu instid0(VALU_DEP_2) | instskip(NEXT) | instid1(VALU_DEP_1)
	v_cvt_f64_f32_e32 v[16:17], v7
	v_cndmask_b32_e32 v7, 0x20000000, v16, vcc_lo
	s_delay_alu instid0(VALU_DEP_2) | instskip(SKIP_1) | instid1(VALU_DEP_2)
	v_cndmask_b32_e32 v9, 0x7ff80000, v17, vcc_lo
	v_cmp_ne_u32_e32 vcc_lo, 0, v3
	v_cndmask_b32_e32 v17, 0x38000000, v9, vcc_lo
	s_delay_alu instid0(VALU_DEP_4)
	v_cndmask_b32_e32 v16, 0, v7, vcc_lo
	s_branch .LBB9_1344
.LBB9_1343:
	s_mov_b32 s0, -1
                                        ; implicit-def: $vgpr16_vgpr17
.LBB9_1344:
	s_mov_b32 s13, 0
.LBB9_1345:
	s_delay_alu instid0(SALU_CYCLE_1)
	s_and_b32 vcc_lo, exec_lo, s13
	s_cbranch_vccz .LBB9_1349
; %bb.1346:
	s_cmp_eq_u32 s10, 29
	s_cbranch_scc0 .LBB9_1348
; %bb.1347:
	global_load_b64 v[16:17], v[4:5], off
	s_mov_b32 s0, 0
	s_mov_b32 s12, -1
	s_mov_b32 s13, 0
	s_wait_loadcnt 0x0
	v_cvt_f64_u32_e32 v[18:19], v17
	v_cvt_f64_u32_e32 v[16:17], v16
	s_delay_alu instid0(VALU_DEP_2) | instskip(NEXT) | instid1(VALU_DEP_1)
	v_ldexp_f64 v[18:19], v[18:19], 32
	v_add_f64_e32 v[16:17], v[18:19], v[16:17]
	s_branch .LBB9_1350
.LBB9_1348:
	s_mov_b32 s0, -1
                                        ; implicit-def: $vgpr16_vgpr17
.LBB9_1349:
	s_mov_b32 s13, 0
.LBB9_1350:
	s_delay_alu instid0(SALU_CYCLE_1)
	s_and_b32 vcc_lo, exec_lo, s13
	s_cbranch_vccz .LBB9_1368
; %bb.1351:
	s_cmp_lt_i32 s10, 27
	s_cbranch_scc1 .LBB9_1354
; %bb.1352:
	s_cmp_gt_i32 s10, 27
	s_cbranch_scc0 .LBB9_1355
; %bb.1353:
	global_load_b32 v3, v[4:5], off
	s_mov_b32 s12, 0
	s_wait_loadcnt 0x0
	v_cvt_f64_u32_e32 v[16:17], v3
	s_branch .LBB9_1356
.LBB9_1354:
	s_mov_b32 s12, -1
                                        ; implicit-def: $vgpr16_vgpr17
	s_branch .LBB9_1359
.LBB9_1355:
	s_mov_b32 s12, -1
                                        ; implicit-def: $vgpr16_vgpr17
.LBB9_1356:
	s_delay_alu instid0(SALU_CYCLE_1)
	s_and_not1_b32 vcc_lo, exec_lo, s12
	s_cbranch_vccnz .LBB9_1358
; %bb.1357:
	global_load_u16 v3, v[4:5], off
	s_wait_loadcnt 0x0
	v_cvt_f64_u32_e32 v[16:17], v3
.LBB9_1358:
	s_mov_b32 s12, 0
.LBB9_1359:
	s_delay_alu instid0(SALU_CYCLE_1)
	s_and_not1_b32 vcc_lo, exec_lo, s12
	s_cbranch_vccnz .LBB9_1367
; %bb.1360:
	global_load_u8 v3, v[4:5], off
	s_mov_b32 s12, 0
	s_mov_b32 s13, exec_lo
	s_wait_loadcnt 0x0
	v_cmpx_lt_i16_e32 0x7f, v3
	s_xor_b32 s13, exec_lo, s13
	s_cbranch_execz .LBB9_1380
; %bb.1361:
	s_mov_b32 s12, -1
	s_mov_b32 s14, exec_lo
	v_cmpx_eq_u16_e32 0x80, v3
; %bb.1362:
	s_xor_b32 s12, exec_lo, -1
; %bb.1363:
	s_or_b32 exec_lo, exec_lo, s14
	s_delay_alu instid0(SALU_CYCLE_1)
	s_and_b32 s12, s12, exec_lo
	s_or_saveexec_b32 s13, s13
	v_mov_b64_e32 v[16:17], 0x7ff8000020000000
	s_xor_b32 exec_lo, exec_lo, s13
	s_cbranch_execnz .LBB9_1381
.LBB9_1364:
	s_or_b32 exec_lo, exec_lo, s13
	s_and_saveexec_b32 s13, s12
	s_cbranch_execz .LBB9_1366
.LBB9_1365:
	v_and_b32_e32 v7, 0xffff, v3
	v_lshlrev_b32_e32 v3, 24, v3
	s_delay_alu instid0(VALU_DEP_2) | instskip(SKIP_1) | instid1(VALU_DEP_3)
	v_and_b32_e32 v9, 7, v7
	v_bfe_u32 v15, v7, 3, 4
	v_and_b32_e32 v3, 0x80000000, v3
	s_delay_alu instid0(VALU_DEP_3) | instskip(NEXT) | instid1(VALU_DEP_3)
	v_clz_i32_u32_e32 v11, v9
	v_cmp_eq_u32_e32 vcc_lo, 0, v15
	s_delay_alu instid0(VALU_DEP_2) | instskip(NEXT) | instid1(VALU_DEP_1)
	v_min_u32_e32 v11, 32, v11
	v_subrev_nc_u32_e32 v13, 28, v11
	v_sub_nc_u32_e32 v11, 29, v11
	s_delay_alu instid0(VALU_DEP_2) | instskip(NEXT) | instid1(VALU_DEP_2)
	v_lshlrev_b32_e32 v7, v13, v7
	v_cndmask_b32_e32 v11, v15, v11, vcc_lo
	s_delay_alu instid0(VALU_DEP_2) | instskip(NEXT) | instid1(VALU_DEP_1)
	v_and_b32_e32 v7, 7, v7
	v_cndmask_b32_e32 v7, v9, v7, vcc_lo
	s_delay_alu instid0(VALU_DEP_3) | instskip(NEXT) | instid1(VALU_DEP_2)
	v_lshl_add_u32 v9, v11, 23, 0x3b800000
	v_lshlrev_b32_e32 v7, 20, v7
	s_delay_alu instid0(VALU_DEP_1) | instskip(NEXT) | instid1(VALU_DEP_1)
	v_or3_b32 v3, v3, v9, v7
	v_cvt_f64_f32_e32 v[16:17], v3
.LBB9_1366:
	s_or_b32 exec_lo, exec_lo, s13
.LBB9_1367:
	s_mov_b32 s12, -1
.LBB9_1368:
	s_branch .LBB9_1401
.LBB9_1369:
	s_cmp_gt_i32 s10, 22
	s_cbranch_scc0 .LBB9_1379
; %bb.1370:
	s_cmp_lt_i32 s10, 24
	s_cbranch_scc1 .LBB9_1382
; %bb.1371:
	s_cmp_gt_i32 s10, 24
	s_cbranch_scc0 .LBB9_1383
; %bb.1372:
	global_load_u8 v3, v[4:5], off
	s_mov_b32 s12, exec_lo
	s_wait_loadcnt 0x0
	v_cmpx_lt_i16_e32 0x7f, v3
	s_xor_b32 s12, exec_lo, s12
	s_cbranch_execz .LBB9_1395
; %bb.1373:
	s_mov_b32 s11, -1
	s_mov_b32 s13, exec_lo
	v_cmpx_eq_u16_e32 0x80, v3
; %bb.1374:
	s_xor_b32 s11, exec_lo, -1
; %bb.1375:
	s_or_b32 exec_lo, exec_lo, s13
	s_delay_alu instid0(SALU_CYCLE_1)
	s_and_b32 s11, s11, exec_lo
	s_or_saveexec_b32 s12, s12
	v_mov_b64_e32 v[16:17], 0x7ff8000020000000
	s_xor_b32 exec_lo, exec_lo, s12
	s_cbranch_execnz .LBB9_1396
.LBB9_1376:
	s_or_b32 exec_lo, exec_lo, s12
	s_and_saveexec_b32 s12, s11
	s_cbranch_execz .LBB9_1378
.LBB9_1377:
	v_and_b32_e32 v7, 0xffff, v3
	v_lshlrev_b32_e32 v3, 24, v3
	s_delay_alu instid0(VALU_DEP_2) | instskip(SKIP_1) | instid1(VALU_DEP_3)
	v_and_b32_e32 v9, 3, v7
	v_bfe_u32 v15, v7, 2, 5
	v_and_b32_e32 v3, 0x80000000, v3
	s_delay_alu instid0(VALU_DEP_3) | instskip(NEXT) | instid1(VALU_DEP_3)
	v_clz_i32_u32_e32 v11, v9
	v_cmp_eq_u32_e32 vcc_lo, 0, v15
	s_delay_alu instid0(VALU_DEP_2) | instskip(NEXT) | instid1(VALU_DEP_1)
	v_min_u32_e32 v11, 32, v11
	v_subrev_nc_u32_e32 v13, 29, v11
	v_sub_nc_u32_e32 v11, 30, v11
	s_delay_alu instid0(VALU_DEP_2) | instskip(NEXT) | instid1(VALU_DEP_2)
	v_lshlrev_b32_e32 v7, v13, v7
	v_cndmask_b32_e32 v11, v15, v11, vcc_lo
	s_delay_alu instid0(VALU_DEP_2) | instskip(NEXT) | instid1(VALU_DEP_1)
	v_and_b32_e32 v7, 3, v7
	v_cndmask_b32_e32 v7, v9, v7, vcc_lo
	s_delay_alu instid0(VALU_DEP_3) | instskip(NEXT) | instid1(VALU_DEP_2)
	v_lshl_add_u32 v9, v11, 23, 0x37800000
	v_lshlrev_b32_e32 v7, 21, v7
	s_delay_alu instid0(VALU_DEP_1) | instskip(NEXT) | instid1(VALU_DEP_1)
	v_or3_b32 v3, v3, v9, v7
	v_cvt_f64_f32_e32 v[16:17], v3
.LBB9_1378:
	s_or_b32 exec_lo, exec_lo, s12
	s_mov_b32 s11, 0
	s_branch .LBB9_1384
.LBB9_1379:
	s_mov_b32 s11, -1
                                        ; implicit-def: $vgpr16_vgpr17
	s_branch .LBB9_1390
.LBB9_1380:
	s_or_saveexec_b32 s13, s13
	v_mov_b64_e32 v[16:17], 0x7ff8000020000000
	s_xor_b32 exec_lo, exec_lo, s13
	s_cbranch_execz .LBB9_1364
.LBB9_1381:
	v_cmp_ne_u16_e32 vcc_lo, 0, v3
	v_mov_b64_e32 v[16:17], 0
	s_and_not1_b32 s12, s12, exec_lo
	s_and_b32 s14, vcc_lo, exec_lo
	s_delay_alu instid0(SALU_CYCLE_1)
	s_or_b32 s12, s12, s14
	s_or_b32 exec_lo, exec_lo, s13
	s_and_saveexec_b32 s13, s12
	s_cbranch_execnz .LBB9_1365
	s_branch .LBB9_1366
.LBB9_1382:
	s_mov_b32 s11, -1
                                        ; implicit-def: $vgpr16_vgpr17
	s_branch .LBB9_1387
.LBB9_1383:
	s_mov_b32 s11, -1
                                        ; implicit-def: $vgpr16_vgpr17
.LBB9_1384:
	s_delay_alu instid0(SALU_CYCLE_1)
	s_and_b32 vcc_lo, exec_lo, s11
	s_cbranch_vccz .LBB9_1386
; %bb.1385:
	global_load_u8 v3, v[4:5], off
	s_wait_loadcnt 0x0
	v_lshlrev_b32_e32 v3, 24, v3
	s_delay_alu instid0(VALU_DEP_1) | instskip(NEXT) | instid1(VALU_DEP_1)
	v_and_b32_e32 v7, 0x7f000000, v3
	v_clz_i32_u32_e32 v9, v7
	v_cmp_ne_u32_e32 vcc_lo, 0, v7
	v_add_nc_u32_e32 v13, 0x1000000, v7
	s_delay_alu instid0(VALU_DEP_3) | instskip(NEXT) | instid1(VALU_DEP_1)
	v_min_u32_e32 v9, 32, v9
	v_sub_nc_u32_e64 v9, v9, 4 clamp
	s_delay_alu instid0(VALU_DEP_1) | instskip(NEXT) | instid1(VALU_DEP_1)
	v_dual_lshlrev_b32 v11, v9, v7 :: v_dual_lshlrev_b32 v9, 23, v9
	v_lshrrev_b32_e32 v11, 4, v11
	s_delay_alu instid0(VALU_DEP_1) | instskip(SKIP_1) | instid1(VALU_DEP_2)
	v_sub_nc_u32_e32 v9, v11, v9
	v_ashrrev_i32_e32 v11, 8, v13
	v_add_nc_u32_e32 v9, 0x3c000000, v9
	s_delay_alu instid0(VALU_DEP_1) | instskip(NEXT) | instid1(VALU_DEP_1)
	v_and_or_b32 v9, 0x7f800000, v11, v9
	v_cndmask_b32_e32 v7, 0, v9, vcc_lo
	s_delay_alu instid0(VALU_DEP_1) | instskip(NEXT) | instid1(VALU_DEP_1)
	v_and_or_b32 v3, 0x80000000, v3, v7
	v_cvt_f64_f32_e32 v[16:17], v3
.LBB9_1386:
	s_mov_b32 s11, 0
.LBB9_1387:
	s_delay_alu instid0(SALU_CYCLE_1)
	s_and_not1_b32 vcc_lo, exec_lo, s11
	s_cbranch_vccnz .LBB9_1389
; %bb.1388:
	global_load_u8 v3, v[4:5], off
	s_wait_loadcnt 0x0
	v_lshlrev_b32_e32 v7, 25, v3
	v_lshlrev_b16 v3, 8, v3
	s_delay_alu instid0(VALU_DEP_2) | instskip(NEXT) | instid1(VALU_DEP_2)
	v_lshrrev_b32_e32 v9, 4, v7
	v_and_or_b32 v11, 0x7f00, v3, 0.5
	v_cmp_gt_u32_e32 vcc_lo, 0x8000000, v7
	v_bfe_i32 v3, v3, 0, 16
	s_delay_alu instid0(VALU_DEP_4) | instskip(NEXT) | instid1(VALU_DEP_4)
	v_or_b32_e32 v9, 0x70000000, v9
	v_add_f32_e32 v11, -0.5, v11
	s_delay_alu instid0(VALU_DEP_2) | instskip(NEXT) | instid1(VALU_DEP_1)
	v_mul_f32_e32 v9, 0x7800000, v9
	v_cndmask_b32_e32 v7, v9, v11, vcc_lo
	s_delay_alu instid0(VALU_DEP_1) | instskip(NEXT) | instid1(VALU_DEP_1)
	v_and_or_b32 v3, 0x80000000, v3, v7
	v_cvt_f64_f32_e32 v[16:17], v3
.LBB9_1389:
	s_mov_b32 s11, 0
	s_mov_b32 s12, -1
.LBB9_1390:
	s_and_not1_b32 vcc_lo, exec_lo, s11
	s_mov_b32 s11, 0
	s_cbranch_vccnz .LBB9_1401
; %bb.1391:
	s_cmp_gt_i32 s10, 14
	s_cbranch_scc0 .LBB9_1394
; %bb.1392:
	s_cmp_eq_u32 s10, 15
	s_cbranch_scc0 .LBB9_1397
; %bb.1393:
	global_load_u16 v3, v[4:5], off
	s_mov_b32 s0, 0
	s_mov_b32 s12, -1
	s_wait_loadcnt 0x0
	v_lshlrev_b32_e32 v3, 16, v3
	s_delay_alu instid0(VALU_DEP_1)
	v_cvt_f64_f32_e32 v[16:17], v3
	s_branch .LBB9_1399
.LBB9_1394:
	s_mov_b32 s11, -1
	s_branch .LBB9_1398
.LBB9_1395:
	s_or_saveexec_b32 s12, s12
	v_mov_b64_e32 v[16:17], 0x7ff8000020000000
	s_xor_b32 exec_lo, exec_lo, s12
	s_cbranch_execz .LBB9_1376
.LBB9_1396:
	v_cmp_ne_u16_e32 vcc_lo, 0, v3
	v_mov_b64_e32 v[16:17], 0
	s_and_not1_b32 s11, s11, exec_lo
	s_and_b32 s13, vcc_lo, exec_lo
	s_delay_alu instid0(SALU_CYCLE_1)
	s_or_b32 s11, s11, s13
	s_or_b32 exec_lo, exec_lo, s12
	s_and_saveexec_b32 s12, s11
	s_cbranch_execnz .LBB9_1377
	s_branch .LBB9_1378
.LBB9_1397:
	s_mov_b32 s0, -1
.LBB9_1398:
                                        ; implicit-def: $vgpr16_vgpr17
.LBB9_1399:
	s_and_b32 vcc_lo, exec_lo, s11
	s_mov_b32 s11, 0
	s_cbranch_vccz .LBB9_1401
; %bb.1400:
	s_cmp_lg_u32 s10, 11
	s_mov_b32 s11, -1
	s_cselect_b32 s0, -1, 0
.LBB9_1401:
	s_delay_alu instid0(SALU_CYCLE_1)
	s_and_b32 vcc_lo, exec_lo, s0
	s_cbranch_vccnz .LBB9_1472
; %bb.1402:
	s_and_not1_b32 vcc_lo, exec_lo, s11
	s_cbranch_vccnz .LBB9_1404
.LBB9_1403:
	global_load_u8 v3, v[4:5], off
	v_mov_b32_e32 v16, 0
	s_mov_b32 s12, -1
	s_wait_loadcnt 0x0
	v_cmp_ne_u16_e32 vcc_lo, 0, v3
	v_cndmask_b32_e64 v17, 0, 0x3ff00000, vcc_lo
.LBB9_1404:
	s_branch .LBB9_1330
.LBB9_1405:
	s_cmp_lt_i32 s10, 5
	s_cbranch_scc1 .LBB9_1410
; %bb.1406:
	s_cmp_lt_i32 s10, 8
	s_cbranch_scc1 .LBB9_1411
; %bb.1407:
	;; [unrolled: 3-line block ×3, first 2 shown]
	s_cmp_gt_i32 s10, 9
	s_cbranch_scc0 .LBB9_1413
; %bb.1409:
	global_load_b64 v[16:17], v[4:5], off
	s_mov_b32 s0, 0
	s_branch .LBB9_1414
.LBB9_1410:
                                        ; implicit-def: $vgpr16_vgpr17
	s_branch .LBB9_1432
.LBB9_1411:
	s_mov_b32 s0, -1
                                        ; implicit-def: $vgpr16_vgpr17
	s_branch .LBB9_1420
.LBB9_1412:
	s_mov_b32 s0, -1
                                        ; implicit-def: $vgpr16_vgpr17
	s_branch .LBB9_1417
.LBB9_1413:
	s_mov_b32 s0, -1
                                        ; implicit-def: $vgpr16_vgpr17
.LBB9_1414:
	s_delay_alu instid0(SALU_CYCLE_1)
	s_and_not1_b32 vcc_lo, exec_lo, s0
	s_cbranch_vccnz .LBB9_1416
; %bb.1415:
	global_load_b32 v3, v[4:5], off
	s_wait_loadcnt 0x0
	v_cvt_f64_f32_e32 v[16:17], v3
.LBB9_1416:
	s_mov_b32 s0, 0
.LBB9_1417:
	s_delay_alu instid0(SALU_CYCLE_1)
	s_and_not1_b32 vcc_lo, exec_lo, s0
	s_cbranch_vccnz .LBB9_1419
; %bb.1418:
	global_load_b32 v3, v[4:5], off
	s_wait_loadcnt 0x0
	v_cvt_f32_f16_e32 v3, v3
	s_delay_alu instid0(VALU_DEP_1)
	v_cvt_f64_f32_e32 v[16:17], v3
.LBB9_1419:
	s_mov_b32 s0, 0
.LBB9_1420:
	s_delay_alu instid0(SALU_CYCLE_1)
	s_and_not1_b32 vcc_lo, exec_lo, s0
	s_cbranch_vccnz .LBB9_1431
; %bb.1421:
	s_cmp_lt_i32 s10, 6
	s_cbranch_scc1 .LBB9_1424
; %bb.1422:
	s_cmp_gt_i32 s10, 6
	s_cbranch_scc0 .LBB9_1425
; %bb.1423:
	s_wait_loadcnt 0x0
	global_load_b64 v[16:17], v[4:5], off
	s_mov_b32 s0, 0
	s_branch .LBB9_1426
.LBB9_1424:
	s_mov_b32 s0, -1
                                        ; implicit-def: $vgpr16_vgpr17
	s_branch .LBB9_1429
.LBB9_1425:
	s_mov_b32 s0, -1
                                        ; implicit-def: $vgpr16_vgpr17
.LBB9_1426:
	s_delay_alu instid0(SALU_CYCLE_1)
	s_and_not1_b32 vcc_lo, exec_lo, s0
	s_cbranch_vccnz .LBB9_1428
; %bb.1427:
	global_load_b32 v3, v[4:5], off
	s_wait_loadcnt 0x0
	v_cvt_f64_f32_e32 v[16:17], v3
.LBB9_1428:
	s_mov_b32 s0, 0
.LBB9_1429:
	s_delay_alu instid0(SALU_CYCLE_1)
	s_and_not1_b32 vcc_lo, exec_lo, s0
	s_cbranch_vccnz .LBB9_1431
; %bb.1430:
	global_load_u16 v3, v[4:5], off
	s_wait_loadcnt 0x0
	v_cvt_f32_f16_e32 v3, v3
	s_delay_alu instid0(VALU_DEP_1)
	v_cvt_f64_f32_e32 v[16:17], v3
.LBB9_1431:
	s_cbranch_execnz .LBB9_1451
.LBB9_1432:
	s_cmp_lt_i32 s10, 2
	s_cbranch_scc1 .LBB9_1436
; %bb.1433:
	s_cmp_lt_i32 s10, 3
	s_cbranch_scc1 .LBB9_1437
; %bb.1434:
	s_cmp_gt_i32 s10, 3
	s_cbranch_scc0 .LBB9_1438
; %bb.1435:
	s_wait_loadcnt 0x0
	global_load_b64 v[16:17], v[4:5], off
	s_mov_b32 s0, 0
	s_wait_loadcnt 0x0
	v_cvt_f64_i32_e32 v[18:19], v17
	v_cvt_f64_u32_e32 v[16:17], v16
	s_delay_alu instid0(VALU_DEP_2) | instskip(NEXT) | instid1(VALU_DEP_1)
	v_ldexp_f64 v[18:19], v[18:19], 32
	v_add_f64_e32 v[16:17], v[18:19], v[16:17]
	s_branch .LBB9_1439
.LBB9_1436:
	s_mov_b32 s0, -1
                                        ; implicit-def: $vgpr16_vgpr17
	s_branch .LBB9_1445
.LBB9_1437:
	s_mov_b32 s0, -1
                                        ; implicit-def: $vgpr16_vgpr17
	s_branch .LBB9_1442
.LBB9_1438:
	s_mov_b32 s0, -1
                                        ; implicit-def: $vgpr16_vgpr17
.LBB9_1439:
	s_delay_alu instid0(SALU_CYCLE_1)
	s_and_not1_b32 vcc_lo, exec_lo, s0
	s_cbranch_vccnz .LBB9_1441
; %bb.1440:
	global_load_b32 v3, v[4:5], off
	s_wait_loadcnt 0x0
	v_cvt_f64_i32_e32 v[16:17], v3
.LBB9_1441:
	s_mov_b32 s0, 0
.LBB9_1442:
	s_delay_alu instid0(SALU_CYCLE_1)
	s_and_not1_b32 vcc_lo, exec_lo, s0
	s_cbranch_vccnz .LBB9_1444
; %bb.1443:
	global_load_i16 v3, v[4:5], off
	s_wait_loadcnt 0x0
	v_cvt_f64_i32_e32 v[16:17], v3
.LBB9_1444:
	s_mov_b32 s0, 0
.LBB9_1445:
	s_delay_alu instid0(SALU_CYCLE_1)
	s_and_not1_b32 vcc_lo, exec_lo, s0
	s_cbranch_vccnz .LBB9_1451
; %bb.1446:
	s_cmp_gt_i32 s10, 0
	s_mov_b32 s0, 0
	s_cbranch_scc0 .LBB9_1448
; %bb.1447:
	global_load_i8 v3, v[4:5], off
	s_wait_loadcnt 0x0
	v_cvt_f64_i32_e32 v[16:17], v3
	s_branch .LBB9_1449
.LBB9_1448:
	s_mov_b32 s0, -1
                                        ; implicit-def: $vgpr16_vgpr17
.LBB9_1449:
	s_delay_alu instid0(SALU_CYCLE_1)
	s_and_not1_b32 vcc_lo, exec_lo, s0
	s_cbranch_vccnz .LBB9_1451
; %bb.1450:
	global_load_u8 v3, v[4:5], off
	s_wait_loadcnt 0x0
	v_cvt_f64_u32_e32 v[16:17], v3
.LBB9_1451:
.LBB9_1452:
	s_wait_xcnt 0x0
	v_mov_b64_e32 v[4:5], 0x7ff0000000000000
	s_mov_b32 s11, exec_lo
	s_wait_loadcnt 0x0
	s_delay_alu instid0(VALU_DEP_2)
	v_cmpx_neq_f64_e32 0, v[16:17]
	s_cbranch_execz .LBB9_1460
; %bb.1453:
	v_mov_b64_e32 v[4:5], 0x7ff8000000000000
	s_mov_b32 s12, exec_lo
	v_cmpx_ngt_f64_e32 0, v[16:17]
	s_cbranch_execz .LBB9_1459
; %bb.1454:
                                        ; implicit-def: $vgpr4_vgpr5
	s_mov_b32 s0, exec_lo
	v_cmpx_ge_f64_e32 2.0, v[16:17]
	s_xor_b32 s13, exec_lo, s0
	s_cbranch_execz .LBB9_1456
; %bb.1455:
	v_fma_f64 v[4:5], v[16:17], 0.5, -2.0
	s_mov_b64 s[14:15], 0xbc545cb72134d0ef
	v_mul_f64_e32 v[22:23], 0.5, v[16:17]
	s_delay_alu instid0(VALU_DEP_2) | instskip(SKIP_1) | instid1(VALU_DEP_2)
	v_fmaak_f64 v[18:19], s[14:15], v[4:5], 0x3c833362977da589
	s_mov_b64 s[14:15], 0x3fe5555555555555
	v_frexp_mant_f64_e32 v[24:25], v[22:23]
	v_cmp_neq_f64_e64 s0, 0, v[22:23]
	s_delay_alu instid0(VALU_DEP_3) | instskip(NEXT) | instid1(VALU_DEP_1)
	v_fmaak_f64 v[20:21], v[4:5], v[18:19], 0x3c545cb72134d0ef
	v_add_f64_e32 v[20:21], 0xbcb184eb721ebbb4, v[20:21]
	s_delay_alu instid0(VALU_DEP_4) | instskip(SKIP_1) | instid1(VALU_DEP_2)
	v_cmp_gt_f64_e32 vcc_lo, s[14:15], v[24:25]
	s_mov_b64 s[14:15], 0x3fc3ab76bf559e2b
	v_fma_f64 v[18:19], v[4:5], v[20:21], -v[18:19]
	v_cndmask_b32_e64 v3, 0, 1, vcc_lo
	s_delay_alu instid0(VALU_DEP_1) | instskip(SKIP_1) | instid1(VALU_DEP_4)
	v_ldexp_f64 v[24:25], v[24:25], v3
	v_frexp_exp_i32_f64_e32 v3, v[22:23]
	v_add_f64_e32 v[18:19], 0x3cdee6d893f65eba, v[18:19]
	s_delay_alu instid0(VALU_DEP_3) | instskip(SKIP_1) | instid1(VALU_DEP_4)
	v_add_f64_e32 v[26:27], 1.0, v[24:25]
	v_add_f64_e32 v[32:33], -1.0, v[24:25]
	v_subrev_co_ci_u32_e64 v3, null, 0, v3, vcc_lo
	v_cmp_neq_f64_e32 vcc_lo, 0x7ff00000, v[22:23]
	v_fma_f64 v[20:21], v[4:5], v[18:19], -v[20:21]
	v_rcp_f64_e32 v[28:29], v[26:27]
	v_add_f64_e32 v[34:35], -1.0, v[26:27]
	s_delay_alu instid0(VALU_DEP_2) | instskip(NEXT) | instid1(VALU_DEP_2)
	v_add_f64_e32 v[20:21], 0xbd0a5022c297fbeb, v[20:21]
	v_add_f64_e64 v[24:25], v[24:25], -v[34:35]
	s_delay_alu instid0(TRANS32_DEP_1) | instskip(NEXT) | instid1(VALU_DEP_3)
	v_fma_f64 v[30:31], -v[26:27], v[28:29], 1.0
	v_fma_f64 v[18:19], v[4:5], v[20:21], -v[18:19]
	s_delay_alu instid0(VALU_DEP_2) | instskip(NEXT) | instid1(VALU_DEP_2)
	v_fmac_f64_e32 v[28:29], v[30:31], v[28:29]
	v_add_f64_e32 v[18:19], 0x3d359b464b262627, v[18:19]
	s_delay_alu instid0(VALU_DEP_2) | instskip(NEXT) | instid1(VALU_DEP_2)
	v_fma_f64 v[30:31], -v[26:27], v[28:29], 1.0
	v_fma_f64 v[20:21], v[4:5], v[18:19], -v[20:21]
	s_delay_alu instid0(VALU_DEP_2) | instskip(NEXT) | instid1(VALU_DEP_2)
	v_fmac_f64_e32 v[28:29], v[30:31], v[28:29]
	v_add_f64_e32 v[20:21], 0xbd61164c62ee1af0, v[20:21]
	s_delay_alu instid0(VALU_DEP_2) | instskip(NEXT) | instid1(VALU_DEP_2)
	v_mul_f64_e32 v[30:31], v[32:33], v[28:29]
	v_fma_f64 v[18:19], v[4:5], v[20:21], -v[18:19]
	s_delay_alu instid0(VALU_DEP_2) | instskip(NEXT) | instid1(VALU_DEP_2)
	v_mul_f64_e32 v[36:37], v[26:27], v[30:31]
	v_add_f64_e32 v[18:19], 0x3d89fe2fe19bd324, v[18:19]
	s_delay_alu instid0(VALU_DEP_2) | instskip(NEXT) | instid1(VALU_DEP_2)
	v_fma_f64 v[26:27], v[30:31], v[26:27], -v[36:37]
	v_fma_f64 v[20:21], v[4:5], v[18:19], -v[20:21]
	s_delay_alu instid0(VALU_DEP_2) | instskip(NEXT) | instid1(VALU_DEP_2)
	v_fmac_f64_e32 v[26:27], v[30:31], v[24:25]
	v_add_f64_e32 v[20:21], 0xbdb2fc957a946abc, v[20:21]
	s_delay_alu instid0(VALU_DEP_2) | instskip(NEXT) | instid1(VALU_DEP_2)
	v_add_f64_e32 v[24:25], v[36:37], v[26:27]
	v_fma_f64 v[18:19], v[4:5], v[20:21], -v[18:19]
	s_delay_alu instid0(VALU_DEP_2) | instskip(NEXT) | instid1(VALU_DEP_2)
	v_add_f64_e64 v[34:35], v[32:33], -v[24:25]
	v_add_f64_e32 v[18:19], 0x3dda98becc743c10, v[18:19]
	v_add_f64_e64 v[36:37], v[24:25], -v[36:37]
	s_delay_alu instid0(VALU_DEP_3) | instskip(NEXT) | instid1(VALU_DEP_3)
	v_add_f64_e64 v[32:33], v[32:33], -v[34:35]
	v_fma_f64 v[20:21], v[4:5], v[18:19], -v[20:21]
	s_delay_alu instid0(VALU_DEP_3) | instskip(SKIP_1) | instid1(VALU_DEP_4)
	v_add_f64_e64 v[26:27], v[36:37], -v[26:27]
	v_cvt_f64_i32_e32 v[36:37], v3
	v_add_f64_e64 v[24:25], v[32:33], -v[24:25]
	s_delay_alu instid0(VALU_DEP_4) | instskip(NEXT) | instid1(VALU_DEP_3)
	v_add_f64_e32 v[20:21], 0xbe01d4fe13ae9556, v[20:21]
	v_mul_f64_e32 v[38:39], 0x3fe62e42fefa39ef, v[36:37]
	s_delay_alu instid0(VALU_DEP_3) | instskip(NEXT) | instid1(VALU_DEP_3)
	v_add_f64_e32 v[24:25], v[26:27], v[24:25]
	v_fma_f64 v[18:19], v[4:5], v[20:21], -v[18:19]
	s_delay_alu instid0(VALU_DEP_2) | instskip(NEXT) | instid1(VALU_DEP_2)
	v_add_f64_e32 v[24:25], v[34:35], v[24:25]
	v_add_f64_e32 v[18:19], 0x3e26d903a454cb34, v[18:19]
	s_delay_alu instid0(VALU_DEP_2) | instskip(NEXT) | instid1(VALU_DEP_2)
	v_mul_f64_e32 v[24:25], v[28:29], v[24:25]
	v_fma_f64 v[20:21], v[4:5], v[18:19], -v[20:21]
	s_delay_alu instid0(VALU_DEP_2) | instskip(NEXT) | instid1(VALU_DEP_2)
	v_add_f64_e32 v[26:27], v[30:31], v[24:25]
	v_add_f64_e32 v[20:21], 0xbe4beaf68c0b30ab, v[20:21]
	s_delay_alu instid0(VALU_DEP_2) | instskip(NEXT) | instid1(VALU_DEP_2)
	v_mul_f64_e32 v[28:29], v[26:27], v[26:27]
	v_fma_f64 v[18:19], v[4:5], v[20:21], -v[18:19]
	s_delay_alu instid0(VALU_DEP_2) | instskip(NEXT) | instid1(VALU_DEP_2)
	v_fmaak_f64 v[32:33], s[14:15], v[28:29], 0x3fc385386b47b09a
	v_add_f64_e32 v[18:19], 0x3e703b769d4d6435, v[18:19]
	v_mul_f64_e32 v[34:35], v[26:27], v[28:29]
	s_mov_b64 s[14:15], 0x3ca3cee1e6a7fd77
	s_delay_alu instid0(VALU_DEP_3) | instskip(NEXT) | instid1(VALU_DEP_1)
	v_fmaak_f64 v[32:33], v[28:29], v[32:33], 0x3fc7474dd7f4df2e
	v_fmaak_f64 v[32:33], v[28:29], v[32:33], 0x3fcc71c016291751
	s_delay_alu instid0(VALU_DEP_1) | instskip(NEXT) | instid1(VALU_DEP_1)
	v_fmaak_f64 v[32:33], v[28:29], v[32:33], 0x3fd249249b27acf1
	v_fmaak_f64 v[32:33], v[28:29], v[32:33], 0x3fd99999998ef7b6
	v_fma_f64 v[20:21], v[4:5], v[18:19], -v[20:21]
	s_delay_alu instid0(VALU_DEP_2) | instskip(SKIP_2) | instid1(VALU_DEP_3)
	v_fmaak_f64 v[28:29], v[28:29], v[32:33], 0x3fe5555555555780
	v_ldexp_f64 v[32:33], v[26:27], 1
	v_add_f64_e64 v[26:27], v[26:27], -v[30:31]
	v_mul_f64_e32 v[28:29], v[34:35], v[28:29]
	v_fma_f64 v[34:35], v[16:17], v[16:17], -2.0
	v_add_f64_e32 v[20:21], 0xbe91ec638f227f8d, v[20:21]
	s_delay_alu instid0(VALU_DEP_4) | instskip(NEXT) | instid1(VALU_DEP_4)
	v_add_f64_e64 v[24:25], v[24:25], -v[26:27]
	v_add_f64_e32 v[30:31], v[32:33], v[28:29]
	s_delay_alu instid0(VALU_DEP_3) | instskip(NEXT) | instid1(VALU_DEP_3)
	v_fma_f64 v[18:19], v[4:5], v[20:21], -v[18:19]
	v_ldexp_f64 v[24:25], v[24:25], 1
	s_delay_alu instid0(VALU_DEP_3) | instskip(SKIP_2) | instid1(VALU_DEP_1)
	v_add_f64_e64 v[26:27], v[30:31], -v[32:33]
	v_fmaak_f64 v[32:33], s[14:15], v[34:35], 0x3d27fb0ac384c2aa
	s_mov_b64 s[14:15], 0x3fe62e42fefa39ef
	v_fmaak_f64 v[40:41], v[34:35], v[32:33], 0xbca3cee1e6a7fd77
	v_add_f64_e32 v[18:19], 0x3eb2bf24978cf4ac, v[18:19]
	s_delay_alu instid0(VALU_DEP_4) | instskip(NEXT) | instid1(VALU_DEP_3)
	v_add_f64_e64 v[26:27], v[28:29], -v[26:27]
	v_add_f64_e32 v[28:29], 0x3da6c25c47512144, v[40:41]
	v_fma_f64 v[40:41], v[36:37], s[14:15], -v[38:39]
	s_mov_b64 s[14:15], 0x3e5ade156a5dcb37
	s_delay_alu instid0(VALU_DEP_4) | instskip(NEXT) | instid1(VALU_DEP_4)
	v_fma_f64 v[20:21], v[4:5], v[18:19], -v[20:21]
	v_add_f64_e32 v[24:25], v[24:25], v[26:27]
	s_delay_alu instid0(VALU_DEP_4) | instskip(NEXT) | instid1(VALU_DEP_4)
	v_fma_f64 v[26:27], v[34:35], v[28:29], -v[32:33]
	v_fmamk_f64 v[32:33], v[36:37], 0x3c7abc9e3b39803f, v[40:41]
	s_delay_alu instid0(VALU_DEP_1) | instskip(SKIP_3) | instid1(VALU_DEP_4)
	v_add_f64_e32 v[40:41], v[38:39], v[32:33]
	v_add_f64_e32 v[20:21], 0xbed2866fcba56427, v[20:21]
	;; [unrolled: 1-line block ×4, first 2 shown]
	v_add_f64_e64 v[38:39], v[40:41], -v[38:39]
	s_delay_alu instid0(VALU_DEP_4) | instskip(NEXT) | instid1(VALU_DEP_4)
	v_fma_f64 v[18:19], v[4:5], v[20:21], -v[18:19]
	v_add_f64_e32 v[42:43], v[40:41], v[36:37]
	s_delay_alu instid0(VALU_DEP_4) | instskip(SKIP_1) | instid1(VALU_DEP_4)
	v_fma_f64 v[28:29], v[34:35], v[26:27], -v[28:29]
	v_add_f64_e64 v[30:31], v[36:37], -v[30:31]
	v_add_f64_e32 v[18:19], 0x3ef13f58be9a2859, v[18:19]
	s_delay_alu instid0(VALU_DEP_4) | instskip(NEXT) | instid1(VALU_DEP_4)
	v_add_f64_e64 v[44:45], v[42:43], -v[40:41]
	v_add_f64_e32 v[28:29], 0x3e9102bce7f95efc, v[28:29]
	s_delay_alu instid0(VALU_DEP_4)
	v_add_f64_e64 v[24:25], v[24:25], -v[30:31]
	v_add_f64_e64 v[30:31], v[32:33], -v[38:39]
	v_mul_f64_e32 v[38:39], 0x3ff71547652b82fe, v[16:17]
	v_fma_f64 v[20:21], v[4:5], v[18:19], -v[20:21]
	v_add_f64_e64 v[46:47], v[42:43], -v[44:45]
	v_fma_f64 v[26:27], v[34:35], v[28:29], -v[26:27]
	v_add_f64_e64 v[36:37], v[36:37], -v[44:45]
	s_delay_alu instid0(VALU_DEP_4) | instskip(NEXT) | instid1(VALU_DEP_4)
	v_add_f64_e32 v[20:21], 0xbf0e2b2659c41d5a, v[20:21]
	v_add_f64_e64 v[32:33], v[40:41], -v[46:47]
	s_delay_alu instid0(VALU_DEP_4) | instskip(SKIP_1) | instid1(VALU_DEP_4)
	v_add_f64_e32 v[26:27], 0x3ef7f900fe8cfca0, v[26:27]
	v_add_f64_e32 v[40:41], v[30:31], v[24:25]
	v_fma_f64 v[18:19], v[4:5], v[20:21], -v[18:19]
	s_delay_alu instid0(VALU_DEP_4) | instskip(NEXT) | instid1(VALU_DEP_4)
	v_add_f64_e32 v[32:33], v[36:37], v[32:33]
	v_fma_f64 v[28:29], v[34:35], v[26:27], -v[28:29]
	v_rndne_f64_e32 v[36:37], v[38:39]
	v_add_f64_e64 v[38:39], v[40:41], -v[30:31]
	v_add_f64_e32 v[18:19], 0x3f28b51b74107cab, v[18:19]
	v_add_f64_e32 v[32:33], v[40:41], v[32:33]
	;; [unrolled: 1-line block ×3, first 2 shown]
	v_fmamk_f64 v[16:17], v[36:37], 0xbfe62e42fefa39ef, v[16:17]
	v_add_f64_e64 v[40:41], v[40:41], -v[38:39]
	v_add_f64_e64 v[24:25], v[24:25], -v[38:39]
	v_cvt_i32_f64_e32 v3, v[36:37]
	s_delay_alu instid0(VALU_DEP_4) | instskip(NEXT) | instid1(VALU_DEP_1)
	v_fmamk_f64 v[16:17], v[36:37], 0xbc7abc9e3b39803f, v[16:17]
	v_fmaak_f64 v[46:47], s[14:15], v[16:17], 0x3e928af3fca7ab0c
	s_delay_alu instid0(VALU_DEP_1) | instskip(SKIP_1) | instid1(VALU_DEP_2)
	v_fmaak_f64 v[46:47], v[16:17], v[46:47], 0x3ec71dee623fde64
	v_fma_f64 v[20:21], v[4:5], v[18:19], -v[20:21]
	v_fmaak_f64 v[46:47], v[16:17], v[46:47], 0x3efa01997c89e6b0
	v_add_f64_e32 v[44:45], v[42:43], v[32:33]
	v_fma_f64 v[26:27], v[34:35], v[28:29], -v[26:27]
	v_add_f64_e64 v[30:31], v[30:31], -v[40:41]
	s_delay_alu instid0(VALU_DEP_4) | instskip(NEXT) | instid1(VALU_DEP_1)
	v_fmaak_f64 v[46:47], v[16:17], v[46:47], 0x3f2a01a014761f6e
	v_fmaak_f64 v[40:41], v[16:17], v[46:47], 0x3f56c16c1852b7b0
	v_add_f64_e32 v[20:21], 0xbf42e2fd1f15eb52, v[20:21]
	v_add_f64_e64 v[38:39], v[44:45], -v[42:43]
	v_add_f64_e32 v[26:27], 0x3fa26bf6554a9085, v[26:27]
	v_add_f64_e32 v[24:25], v[24:25], v[30:31]
	s_delay_alu instid0(VALU_DEP_4) | instskip(NEXT) | instid1(VALU_DEP_4)
	v_fma_f64 v[18:19], v[4:5], v[20:21], -v[18:19]
	v_add_f64_e64 v[30:31], v[32:33], -v[38:39]
	s_delay_alu instid0(VALU_DEP_4) | instskip(NEXT) | instid1(VALU_DEP_3)
	v_fma_f64 v[28:29], v[34:35], v[26:27], -v[28:29]
	v_add_f64_e32 v[18:19], 0x3f5adc758a12100e, v[18:19]
	s_delay_alu instid0(VALU_DEP_3) | instskip(NEXT) | instid1(VALU_DEP_3)
	v_add_f64_e32 v[24:25], v[24:25], v[30:31]
	v_add_f64_e32 v[28:29], 0x3fd608d881213db9, v[28:29]
	s_delay_alu instid0(VALU_DEP_3) | instskip(NEXT) | instid1(VALU_DEP_1)
	v_fma_f64 v[20:21], v[4:5], v[18:19], -v[20:21]
	v_add_f64_e32 v[20:21], 0xbf71b65e201aa849, v[20:21]
	s_delay_alu instid0(VALU_DEP_1) | instskip(NEXT) | instid1(VALU_DEP_1)
	v_fma_f64 v[18:19], v[4:5], v[20:21], -v[18:19]
	v_add_f64_e32 v[18:19], 0x3f859961f3dde3dd, v[18:19]
	s_delay_alu instid0(VALU_DEP_1) | instskip(NEXT) | instid1(VALU_DEP_1)
	;; [unrolled: 3-line block ×6, first 2 shown]
	v_fma_f64 v[20:21], v[4:5], v[18:19], -v[20:21]
	v_add_f64_e32 v[20:21], 0xbfd37febc057cd8d, v[20:21]
	s_delay_alu instid0(VALU_DEP_1) | instskip(SKIP_1) | instid1(VALU_DEP_1)
	v_fma_f64 v[4:5], v[4:5], v[20:21], -v[18:19]
	v_fmaak_f64 v[20:21], v[16:17], v[40:41], 0x3f81111111122322
	v_fmaak_f64 v[20:21], v[16:17], v[20:21], 0x3fa55555555502a1
	s_delay_alu instid0(VALU_DEP_1) | instskip(NEXT) | instid1(VALU_DEP_1)
	v_fmaak_f64 v[20:21], v[16:17], v[20:21], 0x3fc5555555555511
	v_fmaak_f64 v[20:21], v[16:17], v[20:21], 0x3fe000000000000b
	s_delay_alu instid0(VALU_DEP_1) | instskip(SKIP_1) | instid1(VALU_DEP_2)
	v_fma_f64 v[20:21], v[16:17], v[20:21], 1.0
	v_add_f64_e32 v[4:5], 0x3fe5a84e9035a22a, v[4:5]
	v_fma_f64 v[16:17], v[16:17], v[20:21], 1.0
	v_fma_f64 v[20:21], v[34:35], v[28:29], -v[26:27]
	s_delay_alu instid0(VALU_DEP_3) | instskip(SKIP_1) | instid1(VALU_DEP_4)
	v_add_f64_e64 v[4:5], v[4:5], -v[18:19]
	v_add_f64_e32 v[18:19], v[44:45], v[24:25]
	v_ldexp_f64 v[16:17], v[16:17], v3
	s_delay_alu instid0(VALU_DEP_4) | instskip(NEXT) | instid1(VALU_DEP_4)
	v_add_f64_e32 v[20:21], 0xbfe12166e9d2f61f, v[20:21]
	v_mul_f64_e32 v[4:5], 0.5, v[4:5]
	s_delay_alu instid0(VALU_DEP_4) | instskip(SKIP_2) | instid1(VALU_DEP_2)
	v_cndmask_b32_e32 v3, 0x7ff00000, v19, vcc_lo
	s_and_b32 vcc_lo, s0, vcc_lo
	v_cndmask_b32_e32 v18, 0, v18, vcc_lo
	v_cndmask_b32_e64 v19, 0xfff00000, v3, s0
	v_add_f64_e64 v[20:21], v[20:21], -v[26:27]
	v_mul_f64_e32 v[4:5], v[16:17], v[4:5]
	s_delay_alu instid0(VALU_DEP_1) | instskip(NEXT) | instid1(VALU_DEP_1)
	v_mul_f64_e32 v[4:5], v[18:19], v[4:5]
	v_fma_f64 v[4:5], v[20:21], 0.5, -v[4:5]
	s_delay_alu instid0(VALU_DEP_1)
	v_mul_f64_e32 v[4:5], v[16:17], v[4:5]
                                        ; implicit-def: $vgpr16_vgpr17
.LBB9_1456:
	s_and_not1_saveexec_b32 s0, s13
	s_cbranch_execz .LBB9_1458
; %bb.1457:
	v_div_scale_f64 v[4:5], null, v[16:17], v[16:17], 0x40200000
	v_div_scale_f64 v[22:23], vcc_lo, 0x40200000, v[16:17], 0x40200000
	s_mov_b64 s[14:15], 0x3c5871a5cf8c9ee1
	v_rcp_f64_e32 v[18:19], v[4:5]
	v_nop
	s_delay_alu instid0(TRANS32_DEP_1) | instskip(NEXT) | instid1(VALU_DEP_1)
	v_fma_f64 v[20:21], -v[4:5], v[18:19], 1.0
	v_fmac_f64_e32 v[18:19], v[18:19], v[20:21]
	s_delay_alu instid0(VALU_DEP_1) | instskip(NEXT) | instid1(VALU_DEP_1)
	v_fma_f64 v[20:21], -v[4:5], v[18:19], 1.0
	v_fmac_f64_e32 v[18:19], v[18:19], v[20:21]
	s_delay_alu instid0(VALU_DEP_1) | instskip(NEXT) | instid1(VALU_DEP_1)
	v_mul_f64_e32 v[20:21], v[22:23], v[18:19]
	v_fma_f64 v[4:5], -v[4:5], v[20:21], v[22:23]
	s_delay_alu instid0(VALU_DEP_1) | instskip(SKIP_1) | instid1(VALU_DEP_2)
	v_div_fmas_f64 v[4:5], v[4:5], v[18:19], v[20:21]
	v_cmp_gt_f64_e32 vcc_lo, 0x10000000, v[16:17]
	v_div_fixup_f64 v[4:5], v[4:5], v[16:17], 0x40200000
	v_cndmask_b32_e64 v3, 0, 0x100, vcc_lo
	s_delay_alu instid0(VALU_DEP_1) | instskip(SKIP_1) | instid1(VALU_DEP_4)
	v_ldexp_f64 v[16:17], v[16:17], v3
	v_cndmask_b32_e64 v3, 0, 0xffffff80, vcc_lo
	v_add_f64_e32 v[4:5], -2.0, v[4:5]
	s_delay_alu instid0(VALU_DEP_3) | instskip(SKIP_1) | instid1(VALU_DEP_2)
	v_cmp_class_f64_e64 vcc_lo, v[16:17], 0x260
	v_rsq_f64_e32 v[22:23], v[16:17]
	v_fmaak_f64 v[18:19], s[14:15], v[4:5], 0xbc72fecc93812603
	s_delay_alu instid0(VALU_DEP_1) | instskip(NEXT) | instid1(TRANS32_DEP_1)
	v_fmaak_f64 v[20:21], v[4:5], v[18:19], 0xbc5871a5cf8c9ee1
	v_mul_f64_e32 v[24:25], v[16:17], v[22:23]
	s_delay_alu instid0(VALU_DEP_2) | instskip(SKIP_1) | instid1(VALU_DEP_2)
	v_add_f64_e32 v[20:21], 0x3c8e092e41a8cdf4, v[20:21]
	v_mul_f64_e32 v[22:23], 0.5, v[22:23]
	v_fma_f64 v[18:19], v[4:5], v[20:21], -v[18:19]
	s_delay_alu instid0(VALU_DEP_2) | instskip(NEXT) | instid1(VALU_DEP_2)
	v_fma_f64 v[26:27], -v[22:23], v[24:25], 0.5
	v_add_f64_e32 v[18:19], 0xbca82f9474d77641, v[18:19]
	s_delay_alu instid0(VALU_DEP_2) | instskip(SKIP_1) | instid1(VALU_DEP_3)
	v_fmac_f64_e32 v[24:25], v[24:25], v[26:27]
	v_fmac_f64_e32 v[22:23], v[22:23], v[26:27]
	v_fma_f64 v[20:21], v[4:5], v[18:19], -v[20:21]
	s_delay_alu instid0(VALU_DEP_3) | instskip(NEXT) | instid1(VALU_DEP_2)
	v_fma_f64 v[26:27], -v[24:25], v[24:25], v[16:17]
	v_add_f64_e32 v[20:21], 0x3cc3dbf96b94785b, v[20:21]
	s_delay_alu instid0(VALU_DEP_2) | instskip(NEXT) | instid1(VALU_DEP_2)
	v_fmac_f64_e32 v[24:25], v[26:27], v[22:23]
	v_fma_f64 v[18:19], v[4:5], v[20:21], -v[18:19]
	s_delay_alu instid0(VALU_DEP_1) | instskip(NEXT) | instid1(VALU_DEP_1)
	v_add_f64_e32 v[18:19], 0xbce0a690ecfadd36, v[18:19]
	v_fma_f64 v[20:21], v[4:5], v[18:19], -v[20:21]
	s_delay_alu instid0(VALU_DEP_1) | instskip(NEXT) | instid1(VALU_DEP_1)
	v_add_f64_e32 v[20:21], 0x3cfc8d9c4a7ddc98, v[20:21]
	v_fma_f64 v[18:19], v[4:5], v[20:21], -v[18:19]
	s_delay_alu instid0(VALU_DEP_1) | instskip(NEXT) | instid1(VALU_DEP_1)
	v_add_f64_e32 v[18:19], 0xbd19145ebb056fc2, v[18:19]
	v_fma_f64 v[20:21], v[4:5], v[18:19], -v[20:21]
	s_delay_alu instid0(VALU_DEP_1) | instskip(NEXT) | instid1(VALU_DEP_1)
	v_add_f64_e32 v[20:21], 0x3d369c4ecd94cfe2, v[20:21]
	v_fma_f64 v[18:19], v[4:5], v[20:21], -v[18:19]
	s_delay_alu instid0(VALU_DEP_1) | instskip(NEXT) | instid1(VALU_DEP_1)
	v_add_f64_e32 v[18:19], 0xbd54f87721a470d1, v[18:19]
	v_fma_f64 v[20:21], v[4:5], v[18:19], -v[20:21]
	s_delay_alu instid0(VALU_DEP_1) | instskip(NEXT) | instid1(VALU_DEP_1)
	v_add_f64_e32 v[20:21], 0x3d740fa32fccfc25, v[20:21]
	v_fma_f64 v[18:19], v[4:5], v[20:21], -v[18:19]
	s_delay_alu instid0(VALU_DEP_1) | instskip(NEXT) | instid1(VALU_DEP_1)
	v_add_f64_e32 v[18:19], 0xbd93dafc3f005143, v[18:19]
	v_fma_f64 v[20:21], v[4:5], v[18:19], -v[20:21]
	s_delay_alu instid0(VALU_DEP_1) | instskip(NEXT) | instid1(VALU_DEP_1)
	v_add_f64_e32 v[20:21], 0x3db46808475fbcc7, v[20:21]
	v_fma_f64 v[18:19], v[4:5], v[20:21], -v[18:19]
	s_delay_alu instid0(VALU_DEP_1) | instskip(NEXT) | instid1(VALU_DEP_1)
	v_add_f64_e32 v[18:19], 0xbdd5df95d2e7c935, v[18:19]
	v_fma_f64 v[20:21], v[4:5], v[18:19], -v[20:21]
	s_delay_alu instid0(VALU_DEP_1) | instskip(NEXT) | instid1(VALU_DEP_1)
	v_add_f64_e32 v[20:21], 0x3df8956c819ff608, v[20:21]
	v_fma_f64 v[18:19], v[4:5], v[20:21], -v[18:19]
	s_delay_alu instid0(VALU_DEP_1) | instskip(NEXT) | instid1(VALU_DEP_1)
	v_add_f64_e32 v[18:19], 0xbe1d29d5f22bf5db, v[18:19]
	v_fma_f64 v[20:21], v[4:5], v[18:19], -v[20:21]
	s_delay_alu instid0(VALU_DEP_1) | instskip(NEXT) | instid1(VALU_DEP_1)
	v_add_f64_e32 v[20:21], 0x3e4269a0033f428e, v[20:21]
	v_fma_f64 v[18:19], v[4:5], v[20:21], -v[18:19]
	s_delay_alu instid0(VALU_DEP_1) | instskip(NEXT) | instid1(VALU_DEP_1)
	v_add_f64_e32 v[18:19], 0xbe6905541b54f2af, v[18:19]
	v_fma_f64 v[20:21], v[4:5], v[18:19], -v[20:21]
	s_delay_alu instid0(VALU_DEP_1) | instskip(NEXT) | instid1(VALU_DEP_1)
	v_add_f64_e32 v[20:21], 0x3e92915981e3e46f, v[20:21]
	v_fma_f64 v[18:19], v[4:5], v[20:21], -v[18:19]
	s_delay_alu instid0(VALU_DEP_1) | instskip(NEXT) | instid1(VALU_DEP_1)
	v_add_f64_e32 v[18:19], 0xbebebb547f18d3a9, v[18:19]
	v_fma_f64 v[20:21], v[4:5], v[18:19], -v[20:21]
	s_delay_alu instid0(VALU_DEP_1) | instskip(NEXT) | instid1(VALU_DEP_1)
	v_add_f64_e32 v[20:21], 0x3eed413fcc7470a9, v[20:21]
	v_fma_f64 v[18:19], v[4:5], v[20:21], -v[18:19]
	s_delay_alu instid0(VALU_DEP_1) | instskip(NEXT) | instid1(VALU_DEP_1)
	v_add_f64_e32 v[18:19], 0xbf20d797e7889f42, v[18:19]
	v_fma_f64 v[20:21], v[4:5], v[18:19], -v[20:21]
	s_delay_alu instid0(VALU_DEP_1) | instskip(NEXT) | instid1(VALU_DEP_1)
	v_add_f64_e32 v[20:21], 0x3f59b891fca79342, v[20:21]
	v_fma_f64 v[18:19], v[4:5], v[20:21], -v[18:19]
	s_delay_alu instid0(VALU_DEP_1) | instskip(NEXT) | instid1(VALU_DEP_1)
	v_add_f64_e32 v[18:19], 0xbfa019f72d4ff71e, v[18:19]
	v_fma_f64 v[4:5], v[4:5], v[18:19], -v[20:21]
	v_fma_f64 v[18:19], -v[24:25], v[24:25], v[16:17]
	s_delay_alu instid0(VALU_DEP_2) | instskip(NEXT) | instid1(VALU_DEP_2)
	v_add_f64_e32 v[4:5], 0x400385bd9f4e6907, v[4:5]
	v_fmac_f64_e32 v[24:25], v[18:19], v[22:23]
	s_delay_alu instid0(VALU_DEP_2) | instskip(NEXT) | instid1(VALU_DEP_2)
	v_add_f64_e64 v[4:5], v[4:5], -v[20:21]
	v_ldexp_f64 v[18:19], v[24:25], v3
	s_delay_alu instid0(VALU_DEP_2) | instskip(NEXT) | instid1(VALU_DEP_2)
	v_mul_f64_e32 v[4:5], 0.5, v[4:5]
	v_dual_cndmask_b32 v17, v19, v17 :: v_dual_cndmask_b32 v16, v18, v16
	s_delay_alu instid0(VALU_DEP_1) | instskip(NEXT) | instid1(VALU_DEP_1)
	v_div_scale_f64 v[18:19], null, v[16:17], v[16:17], v[4:5]
	v_rcp_f64_e32 v[20:21], v[18:19]
	v_nop
	s_delay_alu instid0(TRANS32_DEP_1) | instskip(NEXT) | instid1(VALU_DEP_1)
	v_fma_f64 v[22:23], -v[18:19], v[20:21], 1.0
	v_fmac_f64_e32 v[20:21], v[20:21], v[22:23]
	s_delay_alu instid0(VALU_DEP_1) | instskip(NEXT) | instid1(VALU_DEP_1)
	v_fma_f64 v[22:23], -v[18:19], v[20:21], 1.0
	v_fmac_f64_e32 v[20:21], v[20:21], v[22:23]
	v_div_scale_f64 v[22:23], vcc_lo, v[4:5], v[16:17], v[4:5]
	s_delay_alu instid0(VALU_DEP_1) | instskip(NEXT) | instid1(VALU_DEP_1)
	v_mul_f64_e32 v[24:25], v[22:23], v[20:21]
	v_fma_f64 v[18:19], -v[18:19], v[24:25], v[22:23]
	s_delay_alu instid0(VALU_DEP_1) | instskip(NEXT) | instid1(VALU_DEP_1)
	v_div_fmas_f64 v[18:19], v[18:19], v[20:21], v[24:25]
	v_div_fixup_f64 v[4:5], v[18:19], v[16:17], v[4:5]
.LBB9_1458:
	s_or_b32 exec_lo, exec_lo, s0
.LBB9_1459:
	s_delay_alu instid0(SALU_CYCLE_1)
	s_or_b32 exec_lo, exec_lo, s12
.LBB9_1460:
	s_delay_alu instid0(SALU_CYCLE_1) | instskip(SKIP_2) | instid1(VALU_DEP_1)
	s_or_b32 exec_lo, exec_lo, s11
	v_mov_b32_e32 v9, 0
	s_cmp_lt_i32 s10, 11
	v_add_nc_u64_e32 v[8:9], s[6:7], v[8:9]
	s_cbranch_scc1 .LBB9_1467
; %bb.1461:
	s_cmp_gt_i32 s10, 25
	s_mov_b32 s11, 0
	s_cbranch_scc0 .LBB9_1469
; %bb.1462:
	s_cmp_gt_i32 s10, 28
	s_cbranch_scc0 .LBB9_1470
; %bb.1463:
	s_cmp_gt_i32 s10, 43
	;; [unrolled: 3-line block ×3, first 2 shown]
	s_cbranch_scc0 .LBB9_1473
; %bb.1465:
	s_cmp_eq_u32 s10, 46
	s_mov_b32 s13, 0
	s_cbranch_scc0 .LBB9_1474
; %bb.1466:
	global_load_b32 v3, v[8:9], off
	s_mov_b32 s0, 0
	s_mov_b32 s12, -1
	s_wait_loadcnt 0x0
	v_lshlrev_b32_e32 v3, 16, v3
	s_delay_alu instid0(VALU_DEP_1)
	v_cvt_f64_f32_e32 v[16:17], v3
	s_branch .LBB9_1476
.LBB9_1467:
	s_mov_b32 s12, 0
                                        ; implicit-def: $vgpr16_vgpr17
	s_cbranch_execnz .LBB9_1542
.LBB9_1468:
	s_and_not1_b32 vcc_lo, exec_lo, s12
	s_cbranch_vccnz .LBB9_1815
	s_branch .LBB9_1590
.LBB9_1469:
	s_mov_b32 s13, -1
	s_mov_b32 s12, 0
	s_mov_b32 s0, 0
                                        ; implicit-def: $vgpr16_vgpr17
	s_branch .LBB9_1505
.LBB9_1470:
	s_mov_b32 s13, -1
	s_mov_b32 s12, 0
	s_mov_b32 s0, 0
                                        ; implicit-def: $vgpr16_vgpr17
	s_branch .LBB9_1486
.LBB9_1471:
	s_mov_b32 s13, -1
	s_mov_b32 s12, 0
	s_mov_b32 s0, 0
                                        ; implicit-def: $vgpr16_vgpr17
	s_branch .LBB9_1481
.LBB9_1472:
	s_or_b32 s1, s1, exec_lo
	s_trap 2
	s_cbranch_execz .LBB9_1403
	s_branch .LBB9_1404
.LBB9_1473:
	s_mov_b32 s13, -1
	s_mov_b32 s12, 0
	s_mov_b32 s0, 0
	s_branch .LBB9_1475
.LBB9_1474:
	s_mov_b32 s0, -1
	s_mov_b32 s12, 0
.LBB9_1475:
                                        ; implicit-def: $vgpr16_vgpr17
.LBB9_1476:
	s_and_b32 vcc_lo, exec_lo, s13
	s_cbranch_vccz .LBB9_1480
; %bb.1477:
	s_cmp_eq_u32 s10, 44
	s_cbranch_scc0 .LBB9_1479
; %bb.1478:
	global_load_u8 v3, v[8:9], off
	s_mov_b32 s0, 0
	s_mov_b32 s12, -1
	s_wait_loadcnt 0x0
	v_lshlrev_b32_e32 v7, 23, v3
	v_cmp_ne_u32_e32 vcc_lo, 0xff, v3
	s_delay_alu instid0(VALU_DEP_2) | instskip(NEXT) | instid1(VALU_DEP_1)
	v_cvt_f64_f32_e32 v[16:17], v7
	v_cndmask_b32_e32 v7, 0x20000000, v16, vcc_lo
	s_delay_alu instid0(VALU_DEP_2) | instskip(SKIP_1) | instid1(VALU_DEP_2)
	v_cndmask_b32_e32 v11, 0x7ff80000, v17, vcc_lo
	v_cmp_ne_u32_e32 vcc_lo, 0, v3
	v_cndmask_b32_e32 v17, 0x38000000, v11, vcc_lo
	s_delay_alu instid0(VALU_DEP_4)
	v_cndmask_b32_e32 v16, 0, v7, vcc_lo
	s_branch .LBB9_1480
.LBB9_1479:
	s_mov_b32 s0, -1
                                        ; implicit-def: $vgpr16_vgpr17
.LBB9_1480:
	s_mov_b32 s13, 0
.LBB9_1481:
	s_delay_alu instid0(SALU_CYCLE_1)
	s_and_b32 vcc_lo, exec_lo, s13
	s_cbranch_vccz .LBB9_1485
; %bb.1482:
	s_cmp_eq_u32 s10, 29
	s_cbranch_scc0 .LBB9_1484
; %bb.1483:
	global_load_b64 v[16:17], v[8:9], off
	s_mov_b32 s0, 0
	s_mov_b32 s12, -1
	s_mov_b32 s13, 0
	s_wait_loadcnt 0x0
	v_cvt_f64_u32_e32 v[18:19], v17
	v_cvt_f64_u32_e32 v[16:17], v16
	s_delay_alu instid0(VALU_DEP_2) | instskip(NEXT) | instid1(VALU_DEP_1)
	v_ldexp_f64 v[18:19], v[18:19], 32
	v_add_f64_e32 v[16:17], v[18:19], v[16:17]
	s_branch .LBB9_1486
.LBB9_1484:
	s_mov_b32 s0, -1
                                        ; implicit-def: $vgpr16_vgpr17
.LBB9_1485:
	s_mov_b32 s13, 0
.LBB9_1486:
	s_delay_alu instid0(SALU_CYCLE_1)
	s_and_b32 vcc_lo, exec_lo, s13
	s_cbranch_vccz .LBB9_1504
; %bb.1487:
	s_cmp_lt_i32 s10, 27
	s_cbranch_scc1 .LBB9_1490
; %bb.1488:
	s_cmp_gt_i32 s10, 27
	s_cbranch_scc0 .LBB9_1491
; %bb.1489:
	global_load_b32 v3, v[8:9], off
	s_mov_b32 s12, 0
	s_wait_loadcnt 0x0
	v_cvt_f64_u32_e32 v[16:17], v3
	s_branch .LBB9_1492
.LBB9_1490:
	s_mov_b32 s12, -1
                                        ; implicit-def: $vgpr16_vgpr17
	s_branch .LBB9_1495
.LBB9_1491:
	s_mov_b32 s12, -1
                                        ; implicit-def: $vgpr16_vgpr17
.LBB9_1492:
	s_delay_alu instid0(SALU_CYCLE_1)
	s_and_not1_b32 vcc_lo, exec_lo, s12
	s_cbranch_vccnz .LBB9_1494
; %bb.1493:
	global_load_u16 v3, v[8:9], off
	s_wait_loadcnt 0x0
	v_cvt_f64_u32_e32 v[16:17], v3
.LBB9_1494:
	s_mov_b32 s12, 0
.LBB9_1495:
	s_delay_alu instid0(SALU_CYCLE_1)
	s_and_not1_b32 vcc_lo, exec_lo, s12
	s_cbranch_vccnz .LBB9_1503
; %bb.1496:
	global_load_u8 v3, v[8:9], off
	s_mov_b32 s12, 0
	s_mov_b32 s13, exec_lo
	s_wait_loadcnt 0x0
	v_cmpx_lt_i16_e32 0x7f, v3
	s_xor_b32 s13, exec_lo, s13
	s_cbranch_execz .LBB9_1517
; %bb.1497:
	s_mov_b32 s12, -1
	s_mov_b32 s14, exec_lo
	v_cmpx_eq_u16_e32 0x80, v3
; %bb.1498:
	s_xor_b32 s12, exec_lo, -1
; %bb.1499:
	s_or_b32 exec_lo, exec_lo, s14
	s_delay_alu instid0(SALU_CYCLE_1)
	s_and_b32 s12, s12, exec_lo
	s_or_saveexec_b32 s13, s13
	v_mov_b64_e32 v[16:17], 0x7ff8000020000000
	s_xor_b32 exec_lo, exec_lo, s13
	s_cbranch_execnz .LBB9_1518
.LBB9_1500:
	s_or_b32 exec_lo, exec_lo, s13
	s_and_saveexec_b32 s13, s12
	s_cbranch_execz .LBB9_1502
.LBB9_1501:
	v_and_b32_e32 v7, 0xffff, v3
	s_delay_alu instid0(VALU_DEP_1) | instskip(SKIP_1) | instid1(VALU_DEP_2)
	v_and_b32_e32 v11, 7, v7
	v_bfe_u32 v16, v7, 3, 4
	v_clz_i32_u32_e32 v13, v11
	s_delay_alu instid0(VALU_DEP_2) | instskip(NEXT) | instid1(VALU_DEP_2)
	v_cmp_eq_u32_e32 vcc_lo, 0, v16
	v_min_u32_e32 v13, 32, v13
	s_delay_alu instid0(VALU_DEP_1) | instskip(NEXT) | instid1(VALU_DEP_1)
	v_subrev_nc_u32_e32 v15, 28, v13
	v_dual_lshlrev_b32 v7, v15, v7 :: v_dual_sub_nc_u32 v13, 29, v13
	s_delay_alu instid0(VALU_DEP_1) | instskip(NEXT) | instid1(VALU_DEP_2)
	v_and_b32_e32 v7, 7, v7
	v_dual_lshlrev_b32 v3, 24, v3 :: v_dual_cndmask_b32 v13, v16, v13, vcc_lo
	s_delay_alu instid0(VALU_DEP_2) | instskip(NEXT) | instid1(VALU_DEP_2)
	v_cndmask_b32_e32 v7, v11, v7, vcc_lo
	v_and_b32_e32 v3, 0x80000000, v3
	s_delay_alu instid0(VALU_DEP_3) | instskip(NEXT) | instid1(VALU_DEP_3)
	v_lshl_add_u32 v11, v13, 23, 0x3b800000
	v_lshlrev_b32_e32 v7, 20, v7
	s_delay_alu instid0(VALU_DEP_1) | instskip(NEXT) | instid1(VALU_DEP_1)
	v_or3_b32 v3, v3, v11, v7
	v_cvt_f64_f32_e32 v[16:17], v3
.LBB9_1502:
	s_or_b32 exec_lo, exec_lo, s13
.LBB9_1503:
	s_mov_b32 s12, -1
.LBB9_1504:
	s_mov_b32 s13, 0
.LBB9_1505:
	s_delay_alu instid0(SALU_CYCLE_1)
	s_and_b32 vcc_lo, exec_lo, s13
	s_cbranch_vccz .LBB9_1538
; %bb.1506:
	s_cmp_gt_i32 s10, 22
	s_cbranch_scc0 .LBB9_1516
; %bb.1507:
	s_cmp_lt_i32 s10, 24
	s_cbranch_scc1 .LBB9_1519
; %bb.1508:
	s_cmp_gt_i32 s10, 24
	s_cbranch_scc0 .LBB9_1520
; %bb.1509:
	global_load_u8 v3, v[8:9], off
	s_mov_b32 s12, exec_lo
	s_wait_loadcnt 0x0
	v_cmpx_lt_i16_e32 0x7f, v3
	s_xor_b32 s12, exec_lo, s12
	s_cbranch_execz .LBB9_1532
; %bb.1510:
	s_mov_b32 s11, -1
	s_mov_b32 s13, exec_lo
	v_cmpx_eq_u16_e32 0x80, v3
; %bb.1511:
	s_xor_b32 s11, exec_lo, -1
; %bb.1512:
	s_or_b32 exec_lo, exec_lo, s13
	s_delay_alu instid0(SALU_CYCLE_1)
	s_and_b32 s11, s11, exec_lo
	s_or_saveexec_b32 s12, s12
	v_mov_b64_e32 v[16:17], 0x7ff8000020000000
	s_xor_b32 exec_lo, exec_lo, s12
	s_cbranch_execnz .LBB9_1533
.LBB9_1513:
	s_or_b32 exec_lo, exec_lo, s12
	s_and_saveexec_b32 s12, s11
	s_cbranch_execz .LBB9_1515
.LBB9_1514:
	v_and_b32_e32 v7, 0xffff, v3
	s_delay_alu instid0(VALU_DEP_1) | instskip(SKIP_1) | instid1(VALU_DEP_2)
	v_and_b32_e32 v11, 3, v7
	v_bfe_u32 v16, v7, 2, 5
	v_clz_i32_u32_e32 v13, v11
	s_delay_alu instid0(VALU_DEP_2) | instskip(NEXT) | instid1(VALU_DEP_2)
	v_cmp_eq_u32_e32 vcc_lo, 0, v16
	v_min_u32_e32 v13, 32, v13
	s_delay_alu instid0(VALU_DEP_1) | instskip(NEXT) | instid1(VALU_DEP_1)
	v_subrev_nc_u32_e32 v15, 29, v13
	v_dual_lshlrev_b32 v7, v15, v7 :: v_dual_sub_nc_u32 v13, 30, v13
	s_delay_alu instid0(VALU_DEP_1) | instskip(NEXT) | instid1(VALU_DEP_2)
	v_and_b32_e32 v7, 3, v7
	v_dual_lshlrev_b32 v3, 24, v3 :: v_dual_cndmask_b32 v13, v16, v13, vcc_lo
	s_delay_alu instid0(VALU_DEP_2) | instskip(NEXT) | instid1(VALU_DEP_2)
	v_cndmask_b32_e32 v7, v11, v7, vcc_lo
	v_and_b32_e32 v3, 0x80000000, v3
	s_delay_alu instid0(VALU_DEP_3) | instskip(NEXT) | instid1(VALU_DEP_3)
	v_lshl_add_u32 v11, v13, 23, 0x37800000
	v_lshlrev_b32_e32 v7, 21, v7
	s_delay_alu instid0(VALU_DEP_1) | instskip(NEXT) | instid1(VALU_DEP_1)
	v_or3_b32 v3, v3, v11, v7
	v_cvt_f64_f32_e32 v[16:17], v3
.LBB9_1515:
	s_or_b32 exec_lo, exec_lo, s12
	s_mov_b32 s11, 0
	s_branch .LBB9_1521
.LBB9_1516:
	s_mov_b32 s11, -1
                                        ; implicit-def: $vgpr16_vgpr17
	s_branch .LBB9_1527
.LBB9_1517:
	s_or_saveexec_b32 s13, s13
	v_mov_b64_e32 v[16:17], 0x7ff8000020000000
	s_xor_b32 exec_lo, exec_lo, s13
	s_cbranch_execz .LBB9_1500
.LBB9_1518:
	v_cmp_ne_u16_e32 vcc_lo, 0, v3
	v_mov_b64_e32 v[16:17], 0
	s_and_not1_b32 s12, s12, exec_lo
	s_and_b32 s14, vcc_lo, exec_lo
	s_delay_alu instid0(SALU_CYCLE_1)
	s_or_b32 s12, s12, s14
	s_or_b32 exec_lo, exec_lo, s13
	s_and_saveexec_b32 s13, s12
	s_cbranch_execnz .LBB9_1501
	s_branch .LBB9_1502
.LBB9_1519:
	s_mov_b32 s11, -1
                                        ; implicit-def: $vgpr16_vgpr17
	s_branch .LBB9_1524
.LBB9_1520:
	s_mov_b32 s11, -1
                                        ; implicit-def: $vgpr16_vgpr17
.LBB9_1521:
	s_delay_alu instid0(SALU_CYCLE_1)
	s_and_b32 vcc_lo, exec_lo, s11
	s_cbranch_vccz .LBB9_1523
; %bb.1522:
	global_load_u8 v3, v[8:9], off
	s_wait_loadcnt 0x0
	v_lshlrev_b32_e32 v3, 24, v3
	s_delay_alu instid0(VALU_DEP_1) | instskip(NEXT) | instid1(VALU_DEP_1)
	v_and_b32_e32 v7, 0x7f000000, v3
	v_clz_i32_u32_e32 v11, v7
	v_add_nc_u32_e32 v15, 0x1000000, v7
	v_cmp_ne_u32_e32 vcc_lo, 0, v7
	s_delay_alu instid0(VALU_DEP_3) | instskip(NEXT) | instid1(VALU_DEP_1)
	v_min_u32_e32 v11, 32, v11
	v_sub_nc_u32_e64 v11, v11, 4 clamp
	s_delay_alu instid0(VALU_DEP_1) | instskip(NEXT) | instid1(VALU_DEP_1)
	v_lshlrev_b32_e32 v13, v11, v7
	v_dual_lshlrev_b32 v11, 23, v11 :: v_dual_lshrrev_b32 v13, 4, v13
	s_delay_alu instid0(VALU_DEP_1) | instskip(SKIP_1) | instid1(VALU_DEP_2)
	v_sub_nc_u32_e32 v11, v13, v11
	v_ashrrev_i32_e32 v13, 8, v15
	v_add_nc_u32_e32 v11, 0x3c000000, v11
	s_delay_alu instid0(VALU_DEP_1) | instskip(NEXT) | instid1(VALU_DEP_1)
	v_and_or_b32 v11, 0x7f800000, v13, v11
	v_cndmask_b32_e32 v7, 0, v11, vcc_lo
	s_delay_alu instid0(VALU_DEP_1) | instskip(NEXT) | instid1(VALU_DEP_1)
	v_and_or_b32 v3, 0x80000000, v3, v7
	v_cvt_f64_f32_e32 v[16:17], v3
.LBB9_1523:
	s_mov_b32 s11, 0
.LBB9_1524:
	s_delay_alu instid0(SALU_CYCLE_1)
	s_and_not1_b32 vcc_lo, exec_lo, s11
	s_cbranch_vccnz .LBB9_1526
; %bb.1525:
	global_load_u8 v3, v[8:9], off
	s_wait_loadcnt 0x0
	v_lshlrev_b32_e32 v7, 25, v3
	v_lshlrev_b16 v3, 8, v3
	s_delay_alu instid0(VALU_DEP_1) | instskip(SKIP_1) | instid1(VALU_DEP_2)
	v_and_or_b32 v13, 0x7f00, v3, 0.5
	v_bfe_i32 v3, v3, 0, 16
	v_dual_add_f32 v13, -0.5, v13 :: v_dual_lshrrev_b32 v11, 4, v7
	v_cmp_gt_u32_e32 vcc_lo, 0x8000000, v7
	s_delay_alu instid0(VALU_DEP_2) | instskip(NEXT) | instid1(VALU_DEP_1)
	v_or_b32_e32 v11, 0x70000000, v11
	v_mul_f32_e32 v11, 0x7800000, v11
	s_delay_alu instid0(VALU_DEP_1) | instskip(NEXT) | instid1(VALU_DEP_1)
	v_cndmask_b32_e32 v7, v11, v13, vcc_lo
	v_and_or_b32 v3, 0x80000000, v3, v7
	s_delay_alu instid0(VALU_DEP_1)
	v_cvt_f64_f32_e32 v[16:17], v3
.LBB9_1526:
	s_mov_b32 s11, 0
	s_mov_b32 s12, -1
.LBB9_1527:
	s_and_not1_b32 vcc_lo, exec_lo, s11
	s_mov_b32 s11, 0
	s_cbranch_vccnz .LBB9_1538
; %bb.1528:
	s_cmp_gt_i32 s10, 14
	s_cbranch_scc0 .LBB9_1531
; %bb.1529:
	s_cmp_eq_u32 s10, 15
	s_cbranch_scc0 .LBB9_1534
; %bb.1530:
	global_load_u16 v3, v[8:9], off
	s_mov_b32 s0, 0
	s_mov_b32 s12, -1
	s_wait_loadcnt 0x0
	v_lshlrev_b32_e32 v3, 16, v3
	s_delay_alu instid0(VALU_DEP_1)
	v_cvt_f64_f32_e32 v[16:17], v3
	s_branch .LBB9_1536
.LBB9_1531:
	s_mov_b32 s11, -1
	s_branch .LBB9_1535
.LBB9_1532:
	s_or_saveexec_b32 s12, s12
	v_mov_b64_e32 v[16:17], 0x7ff8000020000000
	s_xor_b32 exec_lo, exec_lo, s12
	s_cbranch_execz .LBB9_1513
.LBB9_1533:
	v_cmp_ne_u16_e32 vcc_lo, 0, v3
	v_mov_b64_e32 v[16:17], 0
	s_and_not1_b32 s11, s11, exec_lo
	s_and_b32 s13, vcc_lo, exec_lo
	s_delay_alu instid0(SALU_CYCLE_1)
	s_or_b32 s11, s11, s13
	s_or_b32 exec_lo, exec_lo, s12
	s_and_saveexec_b32 s12, s11
	s_cbranch_execnz .LBB9_1514
	s_branch .LBB9_1515
.LBB9_1534:
	s_mov_b32 s0, -1
.LBB9_1535:
                                        ; implicit-def: $vgpr16_vgpr17
.LBB9_1536:
	s_and_b32 vcc_lo, exec_lo, s11
	s_mov_b32 s11, 0
	s_cbranch_vccz .LBB9_1538
; %bb.1537:
	s_cmp_lg_u32 s10, 11
	s_mov_b32 s11, -1
	s_cselect_b32 s0, -1, 0
.LBB9_1538:
	s_delay_alu instid0(SALU_CYCLE_1)
	s_and_b32 vcc_lo, exec_lo, s0
	s_cbranch_vccnz .LBB9_1609
; %bb.1539:
	s_and_not1_b32 vcc_lo, exec_lo, s11
	s_cbranch_vccnz .LBB9_1541
.LBB9_1540:
	global_load_u8 v3, v[8:9], off
	v_mov_b32_e32 v16, 0
	s_mov_b32 s12, -1
	s_wait_loadcnt 0x0
	v_cmp_ne_u16_e32 vcc_lo, 0, v3
	v_cndmask_b32_e64 v17, 0, 0x3ff00000, vcc_lo
.LBB9_1541:
	s_branch .LBB9_1468
.LBB9_1542:
	s_cmp_lt_i32 s10, 5
	s_cbranch_scc1 .LBB9_1547
; %bb.1543:
	s_cmp_lt_i32 s10, 8
	s_cbranch_scc1 .LBB9_1548
; %bb.1544:
	;; [unrolled: 3-line block ×3, first 2 shown]
	s_cmp_gt_i32 s10, 9
	s_cbranch_scc0 .LBB9_1550
; %bb.1546:
	global_load_b64 v[16:17], v[8:9], off
	s_mov_b32 s0, 0
	s_branch .LBB9_1551
.LBB9_1547:
	s_mov_b32 s0, -1
                                        ; implicit-def: $vgpr16_vgpr17
	s_branch .LBB9_1569
.LBB9_1548:
	s_mov_b32 s0, -1
                                        ; implicit-def: $vgpr16_vgpr17
	s_branch .LBB9_1557
.LBB9_1549:
	s_mov_b32 s0, -1
                                        ; implicit-def: $vgpr16_vgpr17
	s_branch .LBB9_1554
.LBB9_1550:
	s_mov_b32 s0, -1
                                        ; implicit-def: $vgpr16_vgpr17
.LBB9_1551:
	s_delay_alu instid0(SALU_CYCLE_1)
	s_and_not1_b32 vcc_lo, exec_lo, s0
	s_cbranch_vccnz .LBB9_1553
; %bb.1552:
	global_load_b32 v3, v[8:9], off
	s_wait_loadcnt 0x0
	v_cvt_f64_f32_e32 v[16:17], v3
.LBB9_1553:
	s_mov_b32 s0, 0
.LBB9_1554:
	s_delay_alu instid0(SALU_CYCLE_1)
	s_and_not1_b32 vcc_lo, exec_lo, s0
	s_cbranch_vccnz .LBB9_1556
; %bb.1555:
	global_load_b32 v3, v[8:9], off
	s_wait_loadcnt 0x0
	v_cvt_f32_f16_e32 v3, v3
	s_delay_alu instid0(VALU_DEP_1)
	v_cvt_f64_f32_e32 v[16:17], v3
.LBB9_1556:
	s_mov_b32 s0, 0
.LBB9_1557:
	s_delay_alu instid0(SALU_CYCLE_1)
	s_and_not1_b32 vcc_lo, exec_lo, s0
	s_cbranch_vccnz .LBB9_1568
; %bb.1558:
	s_cmp_lt_i32 s10, 6
	s_cbranch_scc1 .LBB9_1561
; %bb.1559:
	s_cmp_gt_i32 s10, 6
	s_cbranch_scc0 .LBB9_1562
; %bb.1560:
	s_wait_loadcnt 0x0
	global_load_b64 v[16:17], v[8:9], off
	s_mov_b32 s0, 0
	s_branch .LBB9_1563
.LBB9_1561:
	s_mov_b32 s0, -1
                                        ; implicit-def: $vgpr16_vgpr17
	s_branch .LBB9_1566
.LBB9_1562:
	s_mov_b32 s0, -1
                                        ; implicit-def: $vgpr16_vgpr17
.LBB9_1563:
	s_delay_alu instid0(SALU_CYCLE_1)
	s_and_not1_b32 vcc_lo, exec_lo, s0
	s_cbranch_vccnz .LBB9_1565
; %bb.1564:
	global_load_b32 v3, v[8:9], off
	s_wait_loadcnt 0x0
	v_cvt_f64_f32_e32 v[16:17], v3
.LBB9_1565:
	s_mov_b32 s0, 0
.LBB9_1566:
	s_delay_alu instid0(SALU_CYCLE_1)
	s_and_not1_b32 vcc_lo, exec_lo, s0
	s_cbranch_vccnz .LBB9_1568
; %bb.1567:
	global_load_u16 v3, v[8:9], off
	s_wait_loadcnt 0x0
	v_cvt_f32_f16_e32 v3, v3
	s_delay_alu instid0(VALU_DEP_1)
	v_cvt_f64_f32_e32 v[16:17], v3
.LBB9_1568:
	s_mov_b32 s0, 0
.LBB9_1569:
	s_delay_alu instid0(SALU_CYCLE_1)
	s_and_not1_b32 vcc_lo, exec_lo, s0
	s_cbranch_vccnz .LBB9_1589
; %bb.1570:
	s_cmp_lt_i32 s10, 2
	s_cbranch_scc1 .LBB9_1574
; %bb.1571:
	s_cmp_lt_i32 s10, 3
	s_cbranch_scc1 .LBB9_1575
; %bb.1572:
	s_cmp_gt_i32 s10, 3
	s_cbranch_scc0 .LBB9_1576
; %bb.1573:
	s_wait_loadcnt 0x0
	global_load_b64 v[16:17], v[8:9], off
	s_mov_b32 s0, 0
	s_wait_loadcnt 0x0
	v_cvt_f64_i32_e32 v[18:19], v17
	v_cvt_f64_u32_e32 v[16:17], v16
	s_delay_alu instid0(VALU_DEP_2) | instskip(NEXT) | instid1(VALU_DEP_1)
	v_ldexp_f64 v[18:19], v[18:19], 32
	v_add_f64_e32 v[16:17], v[18:19], v[16:17]
	s_branch .LBB9_1577
.LBB9_1574:
	s_mov_b32 s0, -1
                                        ; implicit-def: $vgpr16_vgpr17
	s_branch .LBB9_1583
.LBB9_1575:
	s_mov_b32 s0, -1
                                        ; implicit-def: $vgpr16_vgpr17
	s_branch .LBB9_1580
.LBB9_1576:
	s_mov_b32 s0, -1
                                        ; implicit-def: $vgpr16_vgpr17
.LBB9_1577:
	s_delay_alu instid0(SALU_CYCLE_1)
	s_and_not1_b32 vcc_lo, exec_lo, s0
	s_cbranch_vccnz .LBB9_1579
; %bb.1578:
	global_load_b32 v3, v[8:9], off
	s_wait_loadcnt 0x0
	v_cvt_f64_i32_e32 v[16:17], v3
.LBB9_1579:
	s_mov_b32 s0, 0
.LBB9_1580:
	s_delay_alu instid0(SALU_CYCLE_1)
	s_and_not1_b32 vcc_lo, exec_lo, s0
	s_cbranch_vccnz .LBB9_1582
; %bb.1581:
	global_load_i16 v3, v[8:9], off
	s_wait_loadcnt 0x0
	v_cvt_f64_i32_e32 v[16:17], v3
.LBB9_1582:
	s_mov_b32 s0, 0
.LBB9_1583:
	s_delay_alu instid0(SALU_CYCLE_1)
	s_and_not1_b32 vcc_lo, exec_lo, s0
	s_cbranch_vccnz .LBB9_1589
; %bb.1584:
	s_cmp_gt_i32 s10, 0
	s_mov_b32 s0, 0
	s_cbranch_scc0 .LBB9_1586
; %bb.1585:
	global_load_i8 v3, v[8:9], off
	s_wait_loadcnt 0x0
	v_cvt_f64_i32_e32 v[16:17], v3
	s_branch .LBB9_1587
.LBB9_1586:
	s_mov_b32 s0, -1
                                        ; implicit-def: $vgpr16_vgpr17
.LBB9_1587:
	s_delay_alu instid0(SALU_CYCLE_1)
	s_and_not1_b32 vcc_lo, exec_lo, s0
	s_cbranch_vccnz .LBB9_1589
; %bb.1588:
	global_load_u8 v3, v[8:9], off
	s_wait_loadcnt 0x0
	v_cvt_f64_u32_e32 v[16:17], v3
.LBB9_1589:
.LBB9_1590:
	s_wait_xcnt 0x0
	v_mov_b64_e32 v[8:9], 0x7ff0000000000000
	s_mov_b32 s11, exec_lo
	s_wait_loadcnt 0x0
	s_delay_alu instid0(VALU_DEP_2)
	v_cmpx_neq_f64_e32 0, v[16:17]
	s_cbranch_execz .LBB9_1598
; %bb.1591:
	v_mov_b64_e32 v[8:9], 0x7ff8000000000000
	s_mov_b32 s12, exec_lo
	v_cmpx_ngt_f64_e32 0, v[16:17]
	s_cbranch_execz .LBB9_1597
; %bb.1592:
                                        ; implicit-def: $vgpr8_vgpr9
	s_mov_b32 s0, exec_lo
	v_cmpx_ge_f64_e32 2.0, v[16:17]
	s_xor_b32 s13, exec_lo, s0
	s_cbranch_execz .LBB9_1594
; %bb.1593:
	v_fma_f64 v[8:9], v[16:17], 0.5, -2.0
	s_mov_b64 s[14:15], 0xbc545cb72134d0ef
	v_mul_f64_e32 v[22:23], 0.5, v[16:17]
	s_delay_alu instid0(VALU_DEP_2) | instskip(SKIP_1) | instid1(VALU_DEP_2)
	v_fmaak_f64 v[18:19], s[14:15], v[8:9], 0x3c833362977da589
	s_mov_b64 s[14:15], 0x3fe5555555555555
	v_frexp_mant_f64_e32 v[24:25], v[22:23]
	v_cmp_neq_f64_e64 s0, 0, v[22:23]
	s_delay_alu instid0(VALU_DEP_3) | instskip(NEXT) | instid1(VALU_DEP_1)
	v_fmaak_f64 v[20:21], v[8:9], v[18:19], 0x3c545cb72134d0ef
	v_add_f64_e32 v[20:21], 0xbcb184eb721ebbb4, v[20:21]
	s_delay_alu instid0(VALU_DEP_4) | instskip(SKIP_1) | instid1(VALU_DEP_2)
	v_cmp_gt_f64_e32 vcc_lo, s[14:15], v[24:25]
	s_mov_b64 s[14:15], 0x3fc3ab76bf559e2b
	v_fma_f64 v[18:19], v[8:9], v[20:21], -v[18:19]
	v_cndmask_b32_e64 v3, 0, 1, vcc_lo
	s_delay_alu instid0(VALU_DEP_1) | instskip(SKIP_1) | instid1(VALU_DEP_4)
	v_ldexp_f64 v[24:25], v[24:25], v3
	v_frexp_exp_i32_f64_e32 v3, v[22:23]
	v_add_f64_e32 v[18:19], 0x3cdee6d893f65eba, v[18:19]
	s_delay_alu instid0(VALU_DEP_3) | instskip(SKIP_1) | instid1(VALU_DEP_4)
	v_add_f64_e32 v[26:27], 1.0, v[24:25]
	v_add_f64_e32 v[32:33], -1.0, v[24:25]
	v_subrev_co_ci_u32_e64 v3, null, 0, v3, vcc_lo
	v_cmp_neq_f64_e32 vcc_lo, 0x7ff00000, v[22:23]
	v_fma_f64 v[20:21], v[8:9], v[18:19], -v[20:21]
	v_rcp_f64_e32 v[28:29], v[26:27]
	v_add_f64_e32 v[34:35], -1.0, v[26:27]
	s_delay_alu instid0(VALU_DEP_2) | instskip(NEXT) | instid1(VALU_DEP_2)
	v_add_f64_e32 v[20:21], 0xbd0a5022c297fbeb, v[20:21]
	v_add_f64_e64 v[24:25], v[24:25], -v[34:35]
	s_delay_alu instid0(TRANS32_DEP_1) | instskip(NEXT) | instid1(VALU_DEP_3)
	v_fma_f64 v[30:31], -v[26:27], v[28:29], 1.0
	v_fma_f64 v[18:19], v[8:9], v[20:21], -v[18:19]
	s_delay_alu instid0(VALU_DEP_2) | instskip(NEXT) | instid1(VALU_DEP_2)
	v_fmac_f64_e32 v[28:29], v[30:31], v[28:29]
	v_add_f64_e32 v[18:19], 0x3d359b464b262627, v[18:19]
	s_delay_alu instid0(VALU_DEP_2) | instskip(NEXT) | instid1(VALU_DEP_2)
	v_fma_f64 v[30:31], -v[26:27], v[28:29], 1.0
	v_fma_f64 v[20:21], v[8:9], v[18:19], -v[20:21]
	s_delay_alu instid0(VALU_DEP_2) | instskip(NEXT) | instid1(VALU_DEP_2)
	v_fmac_f64_e32 v[28:29], v[30:31], v[28:29]
	v_add_f64_e32 v[20:21], 0xbd61164c62ee1af0, v[20:21]
	s_delay_alu instid0(VALU_DEP_2) | instskip(NEXT) | instid1(VALU_DEP_2)
	v_mul_f64_e32 v[30:31], v[32:33], v[28:29]
	v_fma_f64 v[18:19], v[8:9], v[20:21], -v[18:19]
	s_delay_alu instid0(VALU_DEP_2) | instskip(NEXT) | instid1(VALU_DEP_2)
	v_mul_f64_e32 v[36:37], v[26:27], v[30:31]
	v_add_f64_e32 v[18:19], 0x3d89fe2fe19bd324, v[18:19]
	s_delay_alu instid0(VALU_DEP_2) | instskip(NEXT) | instid1(VALU_DEP_2)
	v_fma_f64 v[26:27], v[30:31], v[26:27], -v[36:37]
	v_fma_f64 v[20:21], v[8:9], v[18:19], -v[20:21]
	s_delay_alu instid0(VALU_DEP_2) | instskip(NEXT) | instid1(VALU_DEP_2)
	v_fmac_f64_e32 v[26:27], v[30:31], v[24:25]
	v_add_f64_e32 v[20:21], 0xbdb2fc957a946abc, v[20:21]
	s_delay_alu instid0(VALU_DEP_2) | instskip(NEXT) | instid1(VALU_DEP_2)
	v_add_f64_e32 v[24:25], v[36:37], v[26:27]
	v_fma_f64 v[18:19], v[8:9], v[20:21], -v[18:19]
	s_delay_alu instid0(VALU_DEP_2) | instskip(NEXT) | instid1(VALU_DEP_2)
	v_add_f64_e64 v[34:35], v[32:33], -v[24:25]
	v_add_f64_e32 v[18:19], 0x3dda98becc743c10, v[18:19]
	v_add_f64_e64 v[36:37], v[24:25], -v[36:37]
	s_delay_alu instid0(VALU_DEP_3) | instskip(NEXT) | instid1(VALU_DEP_3)
	v_add_f64_e64 v[32:33], v[32:33], -v[34:35]
	v_fma_f64 v[20:21], v[8:9], v[18:19], -v[20:21]
	s_delay_alu instid0(VALU_DEP_3) | instskip(SKIP_1) | instid1(VALU_DEP_4)
	v_add_f64_e64 v[26:27], v[36:37], -v[26:27]
	v_cvt_f64_i32_e32 v[36:37], v3
	v_add_f64_e64 v[24:25], v[32:33], -v[24:25]
	s_delay_alu instid0(VALU_DEP_4) | instskip(NEXT) | instid1(VALU_DEP_3)
	v_add_f64_e32 v[20:21], 0xbe01d4fe13ae9556, v[20:21]
	v_mul_f64_e32 v[38:39], 0x3fe62e42fefa39ef, v[36:37]
	s_delay_alu instid0(VALU_DEP_3) | instskip(NEXT) | instid1(VALU_DEP_3)
	v_add_f64_e32 v[24:25], v[26:27], v[24:25]
	v_fma_f64 v[18:19], v[8:9], v[20:21], -v[18:19]
	s_delay_alu instid0(VALU_DEP_2) | instskip(NEXT) | instid1(VALU_DEP_2)
	v_add_f64_e32 v[24:25], v[34:35], v[24:25]
	v_add_f64_e32 v[18:19], 0x3e26d903a454cb34, v[18:19]
	s_delay_alu instid0(VALU_DEP_2) | instskip(NEXT) | instid1(VALU_DEP_2)
	v_mul_f64_e32 v[24:25], v[28:29], v[24:25]
	v_fma_f64 v[20:21], v[8:9], v[18:19], -v[20:21]
	s_delay_alu instid0(VALU_DEP_2) | instskip(NEXT) | instid1(VALU_DEP_2)
	v_add_f64_e32 v[26:27], v[30:31], v[24:25]
	v_add_f64_e32 v[20:21], 0xbe4beaf68c0b30ab, v[20:21]
	s_delay_alu instid0(VALU_DEP_2) | instskip(NEXT) | instid1(VALU_DEP_2)
	v_mul_f64_e32 v[28:29], v[26:27], v[26:27]
	v_fma_f64 v[18:19], v[8:9], v[20:21], -v[18:19]
	s_delay_alu instid0(VALU_DEP_2) | instskip(NEXT) | instid1(VALU_DEP_2)
	v_fmaak_f64 v[32:33], s[14:15], v[28:29], 0x3fc385386b47b09a
	v_add_f64_e32 v[18:19], 0x3e703b769d4d6435, v[18:19]
	v_mul_f64_e32 v[34:35], v[26:27], v[28:29]
	s_mov_b64 s[14:15], 0x3ca3cee1e6a7fd77
	s_delay_alu instid0(VALU_DEP_3) | instskip(NEXT) | instid1(VALU_DEP_1)
	v_fmaak_f64 v[32:33], v[28:29], v[32:33], 0x3fc7474dd7f4df2e
	v_fmaak_f64 v[32:33], v[28:29], v[32:33], 0x3fcc71c016291751
	s_delay_alu instid0(VALU_DEP_1) | instskip(NEXT) | instid1(VALU_DEP_1)
	v_fmaak_f64 v[32:33], v[28:29], v[32:33], 0x3fd249249b27acf1
	v_fmaak_f64 v[32:33], v[28:29], v[32:33], 0x3fd99999998ef7b6
	v_fma_f64 v[20:21], v[8:9], v[18:19], -v[20:21]
	s_delay_alu instid0(VALU_DEP_2) | instskip(SKIP_2) | instid1(VALU_DEP_3)
	v_fmaak_f64 v[28:29], v[28:29], v[32:33], 0x3fe5555555555780
	v_ldexp_f64 v[32:33], v[26:27], 1
	v_add_f64_e64 v[26:27], v[26:27], -v[30:31]
	v_mul_f64_e32 v[28:29], v[34:35], v[28:29]
	v_fma_f64 v[34:35], v[16:17], v[16:17], -2.0
	v_add_f64_e32 v[20:21], 0xbe91ec638f227f8d, v[20:21]
	s_delay_alu instid0(VALU_DEP_4) | instskip(NEXT) | instid1(VALU_DEP_4)
	v_add_f64_e64 v[24:25], v[24:25], -v[26:27]
	v_add_f64_e32 v[30:31], v[32:33], v[28:29]
	s_delay_alu instid0(VALU_DEP_3) | instskip(NEXT) | instid1(VALU_DEP_3)
	v_fma_f64 v[18:19], v[8:9], v[20:21], -v[18:19]
	v_ldexp_f64 v[24:25], v[24:25], 1
	s_delay_alu instid0(VALU_DEP_3) | instskip(SKIP_2) | instid1(VALU_DEP_1)
	v_add_f64_e64 v[26:27], v[30:31], -v[32:33]
	v_fmaak_f64 v[32:33], s[14:15], v[34:35], 0x3d27fb0ac384c2aa
	s_mov_b64 s[14:15], 0x3fe62e42fefa39ef
	v_fmaak_f64 v[40:41], v[34:35], v[32:33], 0xbca3cee1e6a7fd77
	v_add_f64_e32 v[18:19], 0x3eb2bf24978cf4ac, v[18:19]
	s_delay_alu instid0(VALU_DEP_4) | instskip(NEXT) | instid1(VALU_DEP_3)
	v_add_f64_e64 v[26:27], v[28:29], -v[26:27]
	v_add_f64_e32 v[28:29], 0x3da6c25c47512144, v[40:41]
	v_fma_f64 v[40:41], v[36:37], s[14:15], -v[38:39]
	s_mov_b64 s[14:15], 0x3e5ade156a5dcb37
	s_delay_alu instid0(VALU_DEP_4) | instskip(NEXT) | instid1(VALU_DEP_4)
	v_fma_f64 v[20:21], v[8:9], v[18:19], -v[20:21]
	v_add_f64_e32 v[24:25], v[24:25], v[26:27]
	s_delay_alu instid0(VALU_DEP_4) | instskip(NEXT) | instid1(VALU_DEP_4)
	v_fma_f64 v[26:27], v[34:35], v[28:29], -v[32:33]
	v_fmamk_f64 v[32:33], v[36:37], 0x3c7abc9e3b39803f, v[40:41]
	s_delay_alu instid0(VALU_DEP_1) | instskip(SKIP_3) | instid1(VALU_DEP_4)
	v_add_f64_e32 v[40:41], v[38:39], v[32:33]
	v_add_f64_e32 v[20:21], 0xbed2866fcba56427, v[20:21]
	;; [unrolled: 1-line block ×4, first 2 shown]
	v_add_f64_e64 v[38:39], v[40:41], -v[38:39]
	s_delay_alu instid0(VALU_DEP_4) | instskip(NEXT) | instid1(VALU_DEP_4)
	v_fma_f64 v[18:19], v[8:9], v[20:21], -v[18:19]
	v_add_f64_e32 v[42:43], v[40:41], v[36:37]
	s_delay_alu instid0(VALU_DEP_4) | instskip(SKIP_1) | instid1(VALU_DEP_4)
	v_fma_f64 v[28:29], v[34:35], v[26:27], -v[28:29]
	v_add_f64_e64 v[30:31], v[36:37], -v[30:31]
	v_add_f64_e32 v[18:19], 0x3ef13f58be9a2859, v[18:19]
	s_delay_alu instid0(VALU_DEP_4) | instskip(NEXT) | instid1(VALU_DEP_4)
	v_add_f64_e64 v[44:45], v[42:43], -v[40:41]
	v_add_f64_e32 v[28:29], 0x3e9102bce7f95efc, v[28:29]
	s_delay_alu instid0(VALU_DEP_4)
	v_add_f64_e64 v[24:25], v[24:25], -v[30:31]
	v_add_f64_e64 v[30:31], v[32:33], -v[38:39]
	v_mul_f64_e32 v[38:39], 0x3ff71547652b82fe, v[16:17]
	v_fma_f64 v[20:21], v[8:9], v[18:19], -v[20:21]
	v_add_f64_e64 v[46:47], v[42:43], -v[44:45]
	v_fma_f64 v[26:27], v[34:35], v[28:29], -v[26:27]
	v_add_f64_e64 v[36:37], v[36:37], -v[44:45]
	s_delay_alu instid0(VALU_DEP_4) | instskip(NEXT) | instid1(VALU_DEP_4)
	v_add_f64_e32 v[20:21], 0xbf0e2b2659c41d5a, v[20:21]
	v_add_f64_e64 v[32:33], v[40:41], -v[46:47]
	s_delay_alu instid0(VALU_DEP_4) | instskip(SKIP_1) | instid1(VALU_DEP_4)
	v_add_f64_e32 v[26:27], 0x3ef7f900fe8cfca0, v[26:27]
	v_add_f64_e32 v[40:41], v[30:31], v[24:25]
	v_fma_f64 v[18:19], v[8:9], v[20:21], -v[18:19]
	s_delay_alu instid0(VALU_DEP_4) | instskip(NEXT) | instid1(VALU_DEP_4)
	v_add_f64_e32 v[32:33], v[36:37], v[32:33]
	v_fma_f64 v[28:29], v[34:35], v[26:27], -v[28:29]
	v_rndne_f64_e32 v[36:37], v[38:39]
	v_add_f64_e64 v[38:39], v[40:41], -v[30:31]
	v_add_f64_e32 v[18:19], 0x3f28b51b74107cab, v[18:19]
	v_add_f64_e32 v[32:33], v[40:41], v[32:33]
	;; [unrolled: 1-line block ×3, first 2 shown]
	v_fmamk_f64 v[16:17], v[36:37], 0xbfe62e42fefa39ef, v[16:17]
	v_add_f64_e64 v[40:41], v[40:41], -v[38:39]
	v_add_f64_e64 v[24:25], v[24:25], -v[38:39]
	v_cvt_i32_f64_e32 v3, v[36:37]
	s_delay_alu instid0(VALU_DEP_4) | instskip(NEXT) | instid1(VALU_DEP_1)
	v_fmamk_f64 v[16:17], v[36:37], 0xbc7abc9e3b39803f, v[16:17]
	v_fmaak_f64 v[46:47], s[14:15], v[16:17], 0x3e928af3fca7ab0c
	s_delay_alu instid0(VALU_DEP_1) | instskip(SKIP_1) | instid1(VALU_DEP_2)
	v_fmaak_f64 v[46:47], v[16:17], v[46:47], 0x3ec71dee623fde64
	v_fma_f64 v[20:21], v[8:9], v[18:19], -v[20:21]
	v_fmaak_f64 v[46:47], v[16:17], v[46:47], 0x3efa01997c89e6b0
	v_add_f64_e32 v[44:45], v[42:43], v[32:33]
	v_fma_f64 v[26:27], v[34:35], v[28:29], -v[26:27]
	v_add_f64_e64 v[30:31], v[30:31], -v[40:41]
	s_delay_alu instid0(VALU_DEP_4) | instskip(NEXT) | instid1(VALU_DEP_1)
	v_fmaak_f64 v[46:47], v[16:17], v[46:47], 0x3f2a01a014761f6e
	v_fmaak_f64 v[40:41], v[16:17], v[46:47], 0x3f56c16c1852b7b0
	v_add_f64_e32 v[20:21], 0xbf42e2fd1f15eb52, v[20:21]
	v_add_f64_e64 v[38:39], v[44:45], -v[42:43]
	v_add_f64_e32 v[26:27], 0x3fa26bf6554a9085, v[26:27]
	v_add_f64_e32 v[24:25], v[24:25], v[30:31]
	s_delay_alu instid0(VALU_DEP_4) | instskip(NEXT) | instid1(VALU_DEP_4)
	v_fma_f64 v[18:19], v[8:9], v[20:21], -v[18:19]
	v_add_f64_e64 v[30:31], v[32:33], -v[38:39]
	s_delay_alu instid0(VALU_DEP_4) | instskip(NEXT) | instid1(VALU_DEP_3)
	v_fma_f64 v[28:29], v[34:35], v[26:27], -v[28:29]
	v_add_f64_e32 v[18:19], 0x3f5adc758a12100e, v[18:19]
	s_delay_alu instid0(VALU_DEP_3) | instskip(NEXT) | instid1(VALU_DEP_3)
	v_add_f64_e32 v[24:25], v[24:25], v[30:31]
	v_add_f64_e32 v[28:29], 0x3fd608d881213db9, v[28:29]
	s_delay_alu instid0(VALU_DEP_3) | instskip(NEXT) | instid1(VALU_DEP_1)
	v_fma_f64 v[20:21], v[8:9], v[18:19], -v[20:21]
	v_add_f64_e32 v[20:21], 0xbf71b65e201aa849, v[20:21]
	s_delay_alu instid0(VALU_DEP_1) | instskip(NEXT) | instid1(VALU_DEP_1)
	v_fma_f64 v[18:19], v[8:9], v[20:21], -v[18:19]
	v_add_f64_e32 v[18:19], 0x3f859961f3dde3dd, v[18:19]
	s_delay_alu instid0(VALU_DEP_1) | instskip(NEXT) | instid1(VALU_DEP_1)
	;; [unrolled: 3-line block ×6, first 2 shown]
	v_fma_f64 v[20:21], v[8:9], v[18:19], -v[20:21]
	v_add_f64_e32 v[20:21], 0xbfd37febc057cd8d, v[20:21]
	s_delay_alu instid0(VALU_DEP_1) | instskip(SKIP_1) | instid1(VALU_DEP_1)
	v_fma_f64 v[8:9], v[8:9], v[20:21], -v[18:19]
	v_fmaak_f64 v[20:21], v[16:17], v[40:41], 0x3f81111111122322
	v_fmaak_f64 v[20:21], v[16:17], v[20:21], 0x3fa55555555502a1
	s_delay_alu instid0(VALU_DEP_1) | instskip(NEXT) | instid1(VALU_DEP_1)
	v_fmaak_f64 v[20:21], v[16:17], v[20:21], 0x3fc5555555555511
	v_fmaak_f64 v[20:21], v[16:17], v[20:21], 0x3fe000000000000b
	s_delay_alu instid0(VALU_DEP_1) | instskip(SKIP_1) | instid1(VALU_DEP_2)
	v_fma_f64 v[20:21], v[16:17], v[20:21], 1.0
	v_add_f64_e32 v[8:9], 0x3fe5a84e9035a22a, v[8:9]
	v_fma_f64 v[16:17], v[16:17], v[20:21], 1.0
	v_fma_f64 v[20:21], v[34:35], v[28:29], -v[26:27]
	s_delay_alu instid0(VALU_DEP_3) | instskip(SKIP_1) | instid1(VALU_DEP_4)
	v_add_f64_e64 v[8:9], v[8:9], -v[18:19]
	v_add_f64_e32 v[18:19], v[44:45], v[24:25]
	v_ldexp_f64 v[16:17], v[16:17], v3
	s_delay_alu instid0(VALU_DEP_4) | instskip(NEXT) | instid1(VALU_DEP_4)
	v_add_f64_e32 v[20:21], 0xbfe12166e9d2f61f, v[20:21]
	v_mul_f64_e32 v[8:9], 0.5, v[8:9]
	s_delay_alu instid0(VALU_DEP_4) | instskip(SKIP_2) | instid1(VALU_DEP_2)
	v_cndmask_b32_e32 v3, 0x7ff00000, v19, vcc_lo
	s_and_b32 vcc_lo, s0, vcc_lo
	v_cndmask_b32_e32 v18, 0, v18, vcc_lo
	v_cndmask_b32_e64 v19, 0xfff00000, v3, s0
	v_add_f64_e64 v[20:21], v[20:21], -v[26:27]
	v_mul_f64_e32 v[8:9], v[16:17], v[8:9]
	s_delay_alu instid0(VALU_DEP_1) | instskip(NEXT) | instid1(VALU_DEP_1)
	v_mul_f64_e32 v[8:9], v[18:19], v[8:9]
	v_fma_f64 v[8:9], v[20:21], 0.5, -v[8:9]
	s_delay_alu instid0(VALU_DEP_1)
	v_mul_f64_e32 v[8:9], v[16:17], v[8:9]
                                        ; implicit-def: $vgpr16_vgpr17
.LBB9_1594:
	s_and_not1_saveexec_b32 s0, s13
	s_cbranch_execz .LBB9_1596
; %bb.1595:
	v_div_scale_f64 v[8:9], null, v[16:17], v[16:17], 0x40200000
	v_div_scale_f64 v[22:23], vcc_lo, 0x40200000, v[16:17], 0x40200000
	s_mov_b64 s[14:15], 0x3c5871a5cf8c9ee1
	v_rcp_f64_e32 v[18:19], v[8:9]
	v_nop
	s_delay_alu instid0(TRANS32_DEP_1) | instskip(NEXT) | instid1(VALU_DEP_1)
	v_fma_f64 v[20:21], -v[8:9], v[18:19], 1.0
	v_fmac_f64_e32 v[18:19], v[18:19], v[20:21]
	s_delay_alu instid0(VALU_DEP_1) | instskip(NEXT) | instid1(VALU_DEP_1)
	v_fma_f64 v[20:21], -v[8:9], v[18:19], 1.0
	v_fmac_f64_e32 v[18:19], v[18:19], v[20:21]
	s_delay_alu instid0(VALU_DEP_1) | instskip(NEXT) | instid1(VALU_DEP_1)
	v_mul_f64_e32 v[20:21], v[22:23], v[18:19]
	v_fma_f64 v[8:9], -v[8:9], v[20:21], v[22:23]
	s_delay_alu instid0(VALU_DEP_1) | instskip(SKIP_1) | instid1(VALU_DEP_2)
	v_div_fmas_f64 v[8:9], v[8:9], v[18:19], v[20:21]
	v_cmp_gt_f64_e32 vcc_lo, 0x10000000, v[16:17]
	v_div_fixup_f64 v[8:9], v[8:9], v[16:17], 0x40200000
	v_cndmask_b32_e64 v3, 0, 0x100, vcc_lo
	s_delay_alu instid0(VALU_DEP_1) | instskip(SKIP_1) | instid1(VALU_DEP_4)
	v_ldexp_f64 v[16:17], v[16:17], v3
	v_cndmask_b32_e64 v3, 0, 0xffffff80, vcc_lo
	v_add_f64_e32 v[8:9], -2.0, v[8:9]
	s_delay_alu instid0(VALU_DEP_3) | instskip(SKIP_1) | instid1(VALU_DEP_2)
	v_cmp_class_f64_e64 vcc_lo, v[16:17], 0x260
	v_rsq_f64_e32 v[22:23], v[16:17]
	v_fmaak_f64 v[18:19], s[14:15], v[8:9], 0xbc72fecc93812603
	s_delay_alu instid0(VALU_DEP_1) | instskip(NEXT) | instid1(TRANS32_DEP_1)
	v_fmaak_f64 v[20:21], v[8:9], v[18:19], 0xbc5871a5cf8c9ee1
	v_mul_f64_e32 v[24:25], v[16:17], v[22:23]
	s_delay_alu instid0(VALU_DEP_2) | instskip(SKIP_1) | instid1(VALU_DEP_2)
	v_add_f64_e32 v[20:21], 0x3c8e092e41a8cdf4, v[20:21]
	v_mul_f64_e32 v[22:23], 0.5, v[22:23]
	v_fma_f64 v[18:19], v[8:9], v[20:21], -v[18:19]
	s_delay_alu instid0(VALU_DEP_2) | instskip(NEXT) | instid1(VALU_DEP_2)
	v_fma_f64 v[26:27], -v[22:23], v[24:25], 0.5
	v_add_f64_e32 v[18:19], 0xbca82f9474d77641, v[18:19]
	s_delay_alu instid0(VALU_DEP_2) | instskip(SKIP_1) | instid1(VALU_DEP_3)
	v_fmac_f64_e32 v[24:25], v[24:25], v[26:27]
	v_fmac_f64_e32 v[22:23], v[22:23], v[26:27]
	v_fma_f64 v[20:21], v[8:9], v[18:19], -v[20:21]
	s_delay_alu instid0(VALU_DEP_3) | instskip(NEXT) | instid1(VALU_DEP_2)
	v_fma_f64 v[26:27], -v[24:25], v[24:25], v[16:17]
	v_add_f64_e32 v[20:21], 0x3cc3dbf96b94785b, v[20:21]
	s_delay_alu instid0(VALU_DEP_2) | instskip(NEXT) | instid1(VALU_DEP_2)
	v_fmac_f64_e32 v[24:25], v[26:27], v[22:23]
	v_fma_f64 v[18:19], v[8:9], v[20:21], -v[18:19]
	s_delay_alu instid0(VALU_DEP_1) | instskip(NEXT) | instid1(VALU_DEP_1)
	v_add_f64_e32 v[18:19], 0xbce0a690ecfadd36, v[18:19]
	v_fma_f64 v[20:21], v[8:9], v[18:19], -v[20:21]
	s_delay_alu instid0(VALU_DEP_1) | instskip(NEXT) | instid1(VALU_DEP_1)
	v_add_f64_e32 v[20:21], 0x3cfc8d9c4a7ddc98, v[20:21]
	;; [unrolled: 3-line block ×19, first 2 shown]
	v_fma_f64 v[8:9], v[8:9], v[18:19], -v[20:21]
	v_fma_f64 v[18:19], -v[24:25], v[24:25], v[16:17]
	s_delay_alu instid0(VALU_DEP_2) | instskip(NEXT) | instid1(VALU_DEP_2)
	v_add_f64_e32 v[8:9], 0x400385bd9f4e6907, v[8:9]
	v_fmac_f64_e32 v[24:25], v[18:19], v[22:23]
	s_delay_alu instid0(VALU_DEP_2) | instskip(NEXT) | instid1(VALU_DEP_2)
	v_add_f64_e64 v[8:9], v[8:9], -v[20:21]
	v_ldexp_f64 v[18:19], v[24:25], v3
	s_delay_alu instid0(VALU_DEP_2) | instskip(NEXT) | instid1(VALU_DEP_2)
	v_mul_f64_e32 v[8:9], 0.5, v[8:9]
	v_dual_cndmask_b32 v17, v19, v17 :: v_dual_cndmask_b32 v16, v18, v16
	s_delay_alu instid0(VALU_DEP_1) | instskip(NEXT) | instid1(VALU_DEP_1)
	v_div_scale_f64 v[18:19], null, v[16:17], v[16:17], v[8:9]
	v_rcp_f64_e32 v[20:21], v[18:19]
	v_nop
	s_delay_alu instid0(TRANS32_DEP_1) | instskip(NEXT) | instid1(VALU_DEP_1)
	v_fma_f64 v[22:23], -v[18:19], v[20:21], 1.0
	v_fmac_f64_e32 v[20:21], v[20:21], v[22:23]
	s_delay_alu instid0(VALU_DEP_1) | instskip(NEXT) | instid1(VALU_DEP_1)
	v_fma_f64 v[22:23], -v[18:19], v[20:21], 1.0
	v_fmac_f64_e32 v[20:21], v[20:21], v[22:23]
	v_div_scale_f64 v[22:23], vcc_lo, v[8:9], v[16:17], v[8:9]
	s_delay_alu instid0(VALU_DEP_1) | instskip(NEXT) | instid1(VALU_DEP_1)
	v_mul_f64_e32 v[24:25], v[22:23], v[20:21]
	v_fma_f64 v[18:19], -v[18:19], v[24:25], v[22:23]
	s_delay_alu instid0(VALU_DEP_1) | instskip(NEXT) | instid1(VALU_DEP_1)
	v_div_fmas_f64 v[18:19], v[18:19], v[20:21], v[24:25]
	v_div_fixup_f64 v[8:9], v[18:19], v[16:17], v[8:9]
.LBB9_1596:
	s_or_b32 exec_lo, exec_lo, s0
.LBB9_1597:
	s_delay_alu instid0(SALU_CYCLE_1)
	s_or_b32 exec_lo, exec_lo, s12
.LBB9_1598:
	s_delay_alu instid0(SALU_CYCLE_1) | instskip(SKIP_2) | instid1(VALU_DEP_1)
	s_or_b32 exec_lo, exec_lo, s11
	v_mov_b32_e32 v13, 0
	s_cmp_lt_i32 s10, 11
	v_add_nc_u64_e32 v[12:13], s[6:7], v[12:13]
	s_cbranch_scc1 .LBB9_1605
; %bb.1599:
	s_cmp_gt_i32 s10, 25
	s_mov_b32 s6, 0
	s_cbranch_scc0 .LBB9_1606
; %bb.1600:
	s_cmp_gt_i32 s10, 28
	s_cbranch_scc0 .LBB9_1607
; %bb.1601:
	s_cmp_gt_i32 s10, 43
	;; [unrolled: 3-line block ×3, first 2 shown]
	s_cbranch_scc0 .LBB9_1610
; %bb.1603:
	s_cmp_eq_u32 s10, 46
	s_mov_b32 s11, 0
	s_cbranch_scc0 .LBB9_1611
; %bb.1604:
	global_load_b32 v3, v[12:13], off
	s_mov_b32 s0, 0
	s_mov_b32 s7, -1
	s_wait_loadcnt 0x0
	v_lshlrev_b32_e32 v3, 16, v3
	s_delay_alu instid0(VALU_DEP_1)
	v_cvt_f64_f32_e32 v[16:17], v3
	s_branch .LBB9_1613
.LBB9_1605:
	s_mov_b32 s0, -1
	s_mov_b32 s7, 0
                                        ; implicit-def: $vgpr16_vgpr17
	s_branch .LBB9_1679
.LBB9_1606:
	s_mov_b32 s11, -1
	s_mov_b32 s7, 0
	s_mov_b32 s0, 0
                                        ; implicit-def: $vgpr16_vgpr17
	s_branch .LBB9_1642
.LBB9_1607:
	s_mov_b32 s11, -1
	s_mov_b32 s7, 0
	s_mov_b32 s0, 0
                                        ; implicit-def: $vgpr16_vgpr17
	s_branch .LBB9_1623
.LBB9_1608:
	s_mov_b32 s11, -1
	s_mov_b32 s7, 0
	s_mov_b32 s0, 0
                                        ; implicit-def: $vgpr16_vgpr17
	s_branch .LBB9_1618
.LBB9_1609:
	s_or_b32 s1, s1, exec_lo
	s_trap 2
	s_cbranch_execz .LBB9_1540
	s_branch .LBB9_1541
.LBB9_1610:
	s_mov_b32 s11, -1
	s_mov_b32 s7, 0
	s_mov_b32 s0, 0
	s_branch .LBB9_1612
.LBB9_1611:
	s_mov_b32 s0, -1
	s_mov_b32 s7, 0
.LBB9_1612:
                                        ; implicit-def: $vgpr16_vgpr17
.LBB9_1613:
	s_and_b32 vcc_lo, exec_lo, s11
	s_cbranch_vccz .LBB9_1617
; %bb.1614:
	s_cmp_eq_u32 s10, 44
	s_cbranch_scc0 .LBB9_1616
; %bb.1615:
	global_load_u8 v3, v[12:13], off
	s_mov_b32 s0, 0
	s_mov_b32 s7, -1
	s_wait_loadcnt 0x0
	v_lshlrev_b32_e32 v7, 23, v3
	v_cmp_ne_u32_e32 vcc_lo, 0xff, v3
	s_delay_alu instid0(VALU_DEP_2) | instskip(NEXT) | instid1(VALU_DEP_1)
	v_cvt_f64_f32_e32 v[16:17], v7
	v_cndmask_b32_e32 v7, 0x20000000, v16, vcc_lo
	s_delay_alu instid0(VALU_DEP_2) | instskip(SKIP_1) | instid1(VALU_DEP_2)
	v_cndmask_b32_e32 v11, 0x7ff80000, v17, vcc_lo
	v_cmp_ne_u32_e32 vcc_lo, 0, v3
	v_cndmask_b32_e32 v17, 0x38000000, v11, vcc_lo
	s_delay_alu instid0(VALU_DEP_4)
	v_cndmask_b32_e32 v16, 0, v7, vcc_lo
	s_branch .LBB9_1617
.LBB9_1616:
	s_mov_b32 s0, -1
                                        ; implicit-def: $vgpr16_vgpr17
.LBB9_1617:
	s_mov_b32 s11, 0
.LBB9_1618:
	s_delay_alu instid0(SALU_CYCLE_1)
	s_and_b32 vcc_lo, exec_lo, s11
	s_cbranch_vccz .LBB9_1622
; %bb.1619:
	s_cmp_eq_u32 s10, 29
	s_cbranch_scc0 .LBB9_1621
; %bb.1620:
	global_load_b64 v[16:17], v[12:13], off
	s_mov_b32 s0, 0
	s_mov_b32 s7, -1
	s_mov_b32 s11, 0
	s_wait_loadcnt 0x0
	v_cvt_f64_u32_e32 v[18:19], v17
	v_cvt_f64_u32_e32 v[16:17], v16
	s_delay_alu instid0(VALU_DEP_2) | instskip(NEXT) | instid1(VALU_DEP_1)
	v_ldexp_f64 v[18:19], v[18:19], 32
	v_add_f64_e32 v[16:17], v[18:19], v[16:17]
	s_branch .LBB9_1623
.LBB9_1621:
	s_mov_b32 s0, -1
                                        ; implicit-def: $vgpr16_vgpr17
.LBB9_1622:
	s_mov_b32 s11, 0
.LBB9_1623:
	s_delay_alu instid0(SALU_CYCLE_1)
	s_and_b32 vcc_lo, exec_lo, s11
	s_cbranch_vccz .LBB9_1641
; %bb.1624:
	s_cmp_lt_i32 s10, 27
	s_cbranch_scc1 .LBB9_1627
; %bb.1625:
	s_cmp_gt_i32 s10, 27
	s_cbranch_scc0 .LBB9_1628
; %bb.1626:
	global_load_b32 v3, v[12:13], off
	s_mov_b32 s7, 0
	s_wait_loadcnt 0x0
	v_cvt_f64_u32_e32 v[16:17], v3
	s_branch .LBB9_1629
.LBB9_1627:
	s_mov_b32 s7, -1
                                        ; implicit-def: $vgpr16_vgpr17
	s_branch .LBB9_1632
.LBB9_1628:
	s_mov_b32 s7, -1
                                        ; implicit-def: $vgpr16_vgpr17
.LBB9_1629:
	s_delay_alu instid0(SALU_CYCLE_1)
	s_and_not1_b32 vcc_lo, exec_lo, s7
	s_cbranch_vccnz .LBB9_1631
; %bb.1630:
	global_load_u16 v3, v[12:13], off
	s_wait_loadcnt 0x0
	v_cvt_f64_u32_e32 v[16:17], v3
.LBB9_1631:
	s_mov_b32 s7, 0
.LBB9_1632:
	s_delay_alu instid0(SALU_CYCLE_1)
	s_and_not1_b32 vcc_lo, exec_lo, s7
	s_cbranch_vccnz .LBB9_1640
; %bb.1633:
	global_load_u8 v3, v[12:13], off
	s_mov_b32 s7, 0
	s_mov_b32 s11, exec_lo
	s_wait_loadcnt 0x0
	v_cmpx_lt_i16_e32 0x7f, v3
	s_xor_b32 s11, exec_lo, s11
	s_cbranch_execz .LBB9_1654
; %bb.1634:
	s_mov_b32 s7, -1
	s_mov_b32 s12, exec_lo
	v_cmpx_eq_u16_e32 0x80, v3
; %bb.1635:
	s_xor_b32 s7, exec_lo, -1
; %bb.1636:
	s_or_b32 exec_lo, exec_lo, s12
	s_delay_alu instid0(SALU_CYCLE_1)
	s_and_b32 s7, s7, exec_lo
	s_or_saveexec_b32 s11, s11
	v_mov_b64_e32 v[16:17], 0x7ff8000020000000
	s_xor_b32 exec_lo, exec_lo, s11
	s_cbranch_execnz .LBB9_1655
.LBB9_1637:
	s_or_b32 exec_lo, exec_lo, s11
	s_and_saveexec_b32 s11, s7
	s_cbranch_execz .LBB9_1639
.LBB9_1638:
	v_and_b32_e32 v7, 0xffff, v3
	v_lshlrev_b32_e32 v3, 24, v3
	s_delay_alu instid0(VALU_DEP_2) | instskip(SKIP_1) | instid1(VALU_DEP_3)
	v_and_b32_e32 v11, 7, v7
	v_bfe_u32 v17, v7, 3, 4
	v_and_b32_e32 v3, 0x80000000, v3
	s_delay_alu instid0(VALU_DEP_3) | instskip(NEXT) | instid1(VALU_DEP_3)
	v_clz_i32_u32_e32 v15, v11
	v_cmp_eq_u32_e32 vcc_lo, 0, v17
	s_delay_alu instid0(VALU_DEP_2) | instskip(NEXT) | instid1(VALU_DEP_1)
	v_min_u32_e32 v15, 32, v15
	v_subrev_nc_u32_e32 v16, 28, v15
	v_sub_nc_u32_e32 v15, 29, v15
	s_delay_alu instid0(VALU_DEP_2) | instskip(NEXT) | instid1(VALU_DEP_2)
	v_lshlrev_b32_e32 v7, v16, v7
	v_cndmask_b32_e32 v15, v17, v15, vcc_lo
	s_delay_alu instid0(VALU_DEP_2) | instskip(NEXT) | instid1(VALU_DEP_1)
	v_and_b32_e32 v7, 7, v7
	v_cndmask_b32_e32 v7, v11, v7, vcc_lo
	s_delay_alu instid0(VALU_DEP_3) | instskip(NEXT) | instid1(VALU_DEP_2)
	v_lshl_add_u32 v11, v15, 23, 0x3b800000
	v_lshlrev_b32_e32 v7, 20, v7
	s_delay_alu instid0(VALU_DEP_1) | instskip(NEXT) | instid1(VALU_DEP_1)
	v_or3_b32 v3, v3, v11, v7
	v_cvt_f64_f32_e32 v[16:17], v3
.LBB9_1639:
	s_or_b32 exec_lo, exec_lo, s11
.LBB9_1640:
	s_mov_b32 s7, -1
.LBB9_1641:
	s_mov_b32 s11, 0
.LBB9_1642:
	s_delay_alu instid0(SALU_CYCLE_1)
	s_and_b32 vcc_lo, exec_lo, s11
	s_cbranch_vccz .LBB9_1675
; %bb.1643:
	s_cmp_gt_i32 s10, 22
	s_cbranch_scc0 .LBB9_1653
; %bb.1644:
	s_cmp_lt_i32 s10, 24
	s_cbranch_scc1 .LBB9_1656
; %bb.1645:
	s_cmp_gt_i32 s10, 24
	s_cbranch_scc0 .LBB9_1657
; %bb.1646:
	global_load_u8 v3, v[12:13], off
	s_mov_b32 s7, exec_lo
	s_wait_loadcnt 0x0
	v_cmpx_lt_i16_e32 0x7f, v3
	s_xor_b32 s7, exec_lo, s7
	s_cbranch_execz .LBB9_1669
; %bb.1647:
	s_mov_b32 s6, -1
	s_mov_b32 s11, exec_lo
	v_cmpx_eq_u16_e32 0x80, v3
; %bb.1648:
	s_xor_b32 s6, exec_lo, -1
; %bb.1649:
	s_or_b32 exec_lo, exec_lo, s11
	s_delay_alu instid0(SALU_CYCLE_1)
	s_and_b32 s6, s6, exec_lo
	s_or_saveexec_b32 s7, s7
	v_mov_b64_e32 v[16:17], 0x7ff8000020000000
	s_xor_b32 exec_lo, exec_lo, s7
	s_cbranch_execnz .LBB9_1670
.LBB9_1650:
	s_or_b32 exec_lo, exec_lo, s7
	s_and_saveexec_b32 s7, s6
	s_cbranch_execz .LBB9_1652
.LBB9_1651:
	v_and_b32_e32 v7, 0xffff, v3
	v_lshlrev_b32_e32 v3, 24, v3
	s_delay_alu instid0(VALU_DEP_2) | instskip(SKIP_1) | instid1(VALU_DEP_3)
	v_and_b32_e32 v11, 3, v7
	v_bfe_u32 v17, v7, 2, 5
	v_and_b32_e32 v3, 0x80000000, v3
	s_delay_alu instid0(VALU_DEP_3) | instskip(NEXT) | instid1(VALU_DEP_3)
	v_clz_i32_u32_e32 v15, v11
	v_cmp_eq_u32_e32 vcc_lo, 0, v17
	s_delay_alu instid0(VALU_DEP_2) | instskip(NEXT) | instid1(VALU_DEP_1)
	v_min_u32_e32 v15, 32, v15
	v_subrev_nc_u32_e32 v16, 29, v15
	v_sub_nc_u32_e32 v15, 30, v15
	s_delay_alu instid0(VALU_DEP_2) | instskip(NEXT) | instid1(VALU_DEP_2)
	v_lshlrev_b32_e32 v7, v16, v7
	v_cndmask_b32_e32 v15, v17, v15, vcc_lo
	s_delay_alu instid0(VALU_DEP_2) | instskip(NEXT) | instid1(VALU_DEP_1)
	v_and_b32_e32 v7, 3, v7
	v_cndmask_b32_e32 v7, v11, v7, vcc_lo
	s_delay_alu instid0(VALU_DEP_3) | instskip(NEXT) | instid1(VALU_DEP_2)
	v_lshl_add_u32 v11, v15, 23, 0x37800000
	v_lshlrev_b32_e32 v7, 21, v7
	s_delay_alu instid0(VALU_DEP_1) | instskip(NEXT) | instid1(VALU_DEP_1)
	v_or3_b32 v3, v3, v11, v7
	v_cvt_f64_f32_e32 v[16:17], v3
.LBB9_1652:
	s_or_b32 exec_lo, exec_lo, s7
	s_mov_b32 s6, 0
	s_branch .LBB9_1658
.LBB9_1653:
	s_mov_b32 s6, -1
                                        ; implicit-def: $vgpr16_vgpr17
	s_branch .LBB9_1664
.LBB9_1654:
	s_or_saveexec_b32 s11, s11
	v_mov_b64_e32 v[16:17], 0x7ff8000020000000
	s_xor_b32 exec_lo, exec_lo, s11
	s_cbranch_execz .LBB9_1637
.LBB9_1655:
	v_cmp_ne_u16_e32 vcc_lo, 0, v3
	v_mov_b64_e32 v[16:17], 0
	s_and_not1_b32 s7, s7, exec_lo
	s_and_b32 s12, vcc_lo, exec_lo
	s_delay_alu instid0(SALU_CYCLE_1)
	s_or_b32 s7, s7, s12
	s_or_b32 exec_lo, exec_lo, s11
	s_and_saveexec_b32 s11, s7
	s_cbranch_execnz .LBB9_1638
	s_branch .LBB9_1639
.LBB9_1656:
	s_mov_b32 s6, -1
                                        ; implicit-def: $vgpr16_vgpr17
	s_branch .LBB9_1661
.LBB9_1657:
	s_mov_b32 s6, -1
                                        ; implicit-def: $vgpr16_vgpr17
.LBB9_1658:
	s_delay_alu instid0(SALU_CYCLE_1)
	s_and_b32 vcc_lo, exec_lo, s6
	s_cbranch_vccz .LBB9_1660
; %bb.1659:
	global_load_u8 v3, v[12:13], off
	s_wait_loadcnt 0x0
	v_lshlrev_b32_e32 v3, 24, v3
	s_delay_alu instid0(VALU_DEP_1) | instskip(NEXT) | instid1(VALU_DEP_1)
	v_and_b32_e32 v7, 0x7f000000, v3
	v_clz_i32_u32_e32 v11, v7
	v_add_nc_u32_e32 v16, 0x1000000, v7
	v_cmp_ne_u32_e32 vcc_lo, 0, v7
	s_delay_alu instid0(VALU_DEP_3) | instskip(NEXT) | instid1(VALU_DEP_1)
	v_min_u32_e32 v11, 32, v11
	v_sub_nc_u32_e64 v11, v11, 4 clamp
	s_delay_alu instid0(VALU_DEP_1) | instskip(SKIP_1) | instid1(VALU_DEP_2)
	v_lshlrev_b32_e32 v15, v11, v7
	v_lshlrev_b32_e32 v11, 23, v11
	v_lshrrev_b32_e32 v15, 4, v15
	s_delay_alu instid0(VALU_DEP_1) | instskip(NEXT) | instid1(VALU_DEP_1)
	v_dual_sub_nc_u32 v11, v15, v11 :: v_dual_ashrrev_i32 v15, 8, v16
	v_add_nc_u32_e32 v11, 0x3c000000, v11
	s_delay_alu instid0(VALU_DEP_1) | instskip(NEXT) | instid1(VALU_DEP_1)
	v_and_or_b32 v11, 0x7f800000, v15, v11
	v_cndmask_b32_e32 v7, 0, v11, vcc_lo
	s_delay_alu instid0(VALU_DEP_1) | instskip(NEXT) | instid1(VALU_DEP_1)
	v_and_or_b32 v3, 0x80000000, v3, v7
	v_cvt_f64_f32_e32 v[16:17], v3
.LBB9_1660:
	s_mov_b32 s6, 0
.LBB9_1661:
	s_delay_alu instid0(SALU_CYCLE_1)
	s_and_not1_b32 vcc_lo, exec_lo, s6
	s_cbranch_vccnz .LBB9_1663
; %bb.1662:
	global_load_u8 v3, v[12:13], off
	s_wait_loadcnt 0x0
	v_lshlrev_b32_e32 v7, 25, v3
	v_lshlrev_b16 v3, 8, v3
	s_delay_alu instid0(VALU_DEP_2) | instskip(NEXT) | instid1(VALU_DEP_2)
	v_lshrrev_b32_e32 v11, 4, v7
	v_and_or_b32 v15, 0x7f00, v3, 0.5
	v_cmp_gt_u32_e32 vcc_lo, 0x8000000, v7
	v_bfe_i32 v3, v3, 0, 16
	s_delay_alu instid0(VALU_DEP_4) | instskip(NEXT) | instid1(VALU_DEP_4)
	v_or_b32_e32 v11, 0x70000000, v11
	v_add_f32_e32 v15, -0.5, v15
	s_delay_alu instid0(VALU_DEP_2) | instskip(NEXT) | instid1(VALU_DEP_1)
	v_mul_f32_e32 v11, 0x7800000, v11
	v_cndmask_b32_e32 v7, v11, v15, vcc_lo
	s_delay_alu instid0(VALU_DEP_1) | instskip(NEXT) | instid1(VALU_DEP_1)
	v_and_or_b32 v3, 0x80000000, v3, v7
	v_cvt_f64_f32_e32 v[16:17], v3
.LBB9_1663:
	s_mov_b32 s6, 0
	s_mov_b32 s7, -1
.LBB9_1664:
	s_and_not1_b32 vcc_lo, exec_lo, s6
	s_mov_b32 s6, 0
	s_cbranch_vccnz .LBB9_1675
; %bb.1665:
	s_cmp_gt_i32 s10, 14
	s_cbranch_scc0 .LBB9_1668
; %bb.1666:
	s_cmp_eq_u32 s10, 15
	s_cbranch_scc0 .LBB9_1671
; %bb.1667:
	global_load_u16 v3, v[12:13], off
	s_mov_b32 s0, 0
	s_mov_b32 s7, -1
	s_wait_loadcnt 0x0
	v_lshlrev_b32_e32 v3, 16, v3
	s_delay_alu instid0(VALU_DEP_1)
	v_cvt_f64_f32_e32 v[16:17], v3
	s_branch .LBB9_1673
.LBB9_1668:
	s_mov_b32 s6, -1
	s_branch .LBB9_1672
.LBB9_1669:
	s_or_saveexec_b32 s7, s7
	v_mov_b64_e32 v[16:17], 0x7ff8000020000000
	s_xor_b32 exec_lo, exec_lo, s7
	s_cbranch_execz .LBB9_1650
.LBB9_1670:
	v_cmp_ne_u16_e32 vcc_lo, 0, v3
	v_mov_b64_e32 v[16:17], 0
	s_and_not1_b32 s6, s6, exec_lo
	s_and_b32 s11, vcc_lo, exec_lo
	s_delay_alu instid0(SALU_CYCLE_1)
	s_or_b32 s6, s6, s11
	s_or_b32 exec_lo, exec_lo, s7
	s_and_saveexec_b32 s7, s6
	s_cbranch_execnz .LBB9_1651
	s_branch .LBB9_1652
.LBB9_1671:
	s_mov_b32 s0, -1
.LBB9_1672:
                                        ; implicit-def: $vgpr16_vgpr17
.LBB9_1673:
	s_and_b32 vcc_lo, exec_lo, s6
	s_mov_b32 s6, 0
	s_cbranch_vccz .LBB9_1675
; %bb.1674:
	s_cmp_lg_u32 s10, 11
	s_mov_b32 s6, -1
	s_cselect_b32 s0, -1, 0
.LBB9_1675:
	s_delay_alu instid0(SALU_CYCLE_1)
	s_and_b32 vcc_lo, exec_lo, s0
	s_cbranch_vccnz .LBB9_2217
; %bb.1676:
	s_and_not1_b32 vcc_lo, exec_lo, s6
	s_cbranch_vccnz .LBB9_1678
.LBB9_1677:
	global_load_u8 v3, v[12:13], off
	v_mov_b32_e32 v16, 0
	s_mov_b32 s7, -1
	s_wait_loadcnt 0x0
	v_cmp_ne_u16_e32 vcc_lo, 0, v3
	v_cndmask_b32_e64 v17, 0, 0x3ff00000, vcc_lo
.LBB9_1678:
	s_mov_b32 s0, 0
.LBB9_1679:
	s_delay_alu instid0(SALU_CYCLE_1)
	s_and_b32 vcc_lo, exec_lo, s0
	s_cbranch_vccz .LBB9_1728
; %bb.1680:
	s_cmp_lt_i32 s10, 5
	s_cbranch_scc1 .LBB9_1685
; %bb.1681:
	s_cmp_lt_i32 s10, 8
	s_cbranch_scc1 .LBB9_1686
; %bb.1682:
	s_cmp_lt_i32 s10, 9
	s_cbranch_scc1 .LBB9_1687
; %bb.1683:
	s_cmp_gt_i32 s10, 9
	s_cbranch_scc0 .LBB9_1688
; %bb.1684:
	global_load_b64 v[16:17], v[12:13], off
	s_mov_b32 s0, 0
	s_branch .LBB9_1689
.LBB9_1685:
	s_mov_b32 s0, -1
                                        ; implicit-def: $vgpr16_vgpr17
	s_branch .LBB9_1707
.LBB9_1686:
	s_mov_b32 s0, -1
                                        ; implicit-def: $vgpr16_vgpr17
	s_branch .LBB9_1695
.LBB9_1687:
	s_mov_b32 s0, -1
                                        ; implicit-def: $vgpr16_vgpr17
	s_branch .LBB9_1692
.LBB9_1688:
	s_mov_b32 s0, -1
                                        ; implicit-def: $vgpr16_vgpr17
.LBB9_1689:
	s_delay_alu instid0(SALU_CYCLE_1)
	s_and_not1_b32 vcc_lo, exec_lo, s0
	s_cbranch_vccnz .LBB9_1691
; %bb.1690:
	global_load_b32 v3, v[12:13], off
	s_wait_loadcnt 0x0
	v_cvt_f64_f32_e32 v[16:17], v3
.LBB9_1691:
	s_mov_b32 s0, 0
.LBB9_1692:
	s_delay_alu instid0(SALU_CYCLE_1)
	s_and_not1_b32 vcc_lo, exec_lo, s0
	s_cbranch_vccnz .LBB9_1694
; %bb.1693:
	global_load_b32 v3, v[12:13], off
	s_wait_loadcnt 0x0
	v_cvt_f32_f16_e32 v3, v3
	s_delay_alu instid0(VALU_DEP_1)
	v_cvt_f64_f32_e32 v[16:17], v3
.LBB9_1694:
	s_mov_b32 s0, 0
.LBB9_1695:
	s_delay_alu instid0(SALU_CYCLE_1)
	s_and_not1_b32 vcc_lo, exec_lo, s0
	s_cbranch_vccnz .LBB9_1706
; %bb.1696:
	s_cmp_lt_i32 s10, 6
	s_cbranch_scc1 .LBB9_1699
; %bb.1697:
	s_cmp_gt_i32 s10, 6
	s_cbranch_scc0 .LBB9_1700
; %bb.1698:
	s_wait_loadcnt 0x0
	global_load_b64 v[16:17], v[12:13], off
	s_mov_b32 s0, 0
	s_branch .LBB9_1701
.LBB9_1699:
	s_mov_b32 s0, -1
                                        ; implicit-def: $vgpr16_vgpr17
	s_branch .LBB9_1704
.LBB9_1700:
	s_mov_b32 s0, -1
                                        ; implicit-def: $vgpr16_vgpr17
.LBB9_1701:
	s_delay_alu instid0(SALU_CYCLE_1)
	s_and_not1_b32 vcc_lo, exec_lo, s0
	s_cbranch_vccnz .LBB9_1703
; %bb.1702:
	global_load_b32 v3, v[12:13], off
	s_wait_loadcnt 0x0
	v_cvt_f64_f32_e32 v[16:17], v3
.LBB9_1703:
	s_mov_b32 s0, 0
.LBB9_1704:
	s_delay_alu instid0(SALU_CYCLE_1)
	s_and_not1_b32 vcc_lo, exec_lo, s0
	s_cbranch_vccnz .LBB9_1706
; %bb.1705:
	global_load_u16 v3, v[12:13], off
	s_wait_loadcnt 0x0
	v_cvt_f32_f16_e32 v3, v3
	s_delay_alu instid0(VALU_DEP_1)
	v_cvt_f64_f32_e32 v[16:17], v3
.LBB9_1706:
	s_mov_b32 s0, 0
.LBB9_1707:
	s_delay_alu instid0(SALU_CYCLE_1)
	s_and_not1_b32 vcc_lo, exec_lo, s0
	s_cbranch_vccnz .LBB9_1727
; %bb.1708:
	s_cmp_lt_i32 s10, 2
	s_cbranch_scc1 .LBB9_1712
; %bb.1709:
	s_cmp_lt_i32 s10, 3
	s_cbranch_scc1 .LBB9_1713
; %bb.1710:
	s_cmp_gt_i32 s10, 3
	s_cbranch_scc0 .LBB9_1714
; %bb.1711:
	s_wait_loadcnt 0x0
	global_load_b64 v[16:17], v[12:13], off
	s_mov_b32 s0, 0
	s_wait_loadcnt 0x0
	v_cvt_f64_i32_e32 v[18:19], v17
	v_cvt_f64_u32_e32 v[16:17], v16
	s_delay_alu instid0(VALU_DEP_2) | instskip(NEXT) | instid1(VALU_DEP_1)
	v_ldexp_f64 v[18:19], v[18:19], 32
	v_add_f64_e32 v[16:17], v[18:19], v[16:17]
	s_branch .LBB9_1715
.LBB9_1712:
	s_mov_b32 s0, -1
                                        ; implicit-def: $vgpr16_vgpr17
	s_branch .LBB9_1721
.LBB9_1713:
	s_mov_b32 s0, -1
                                        ; implicit-def: $vgpr16_vgpr17
	s_branch .LBB9_1718
.LBB9_1714:
	s_mov_b32 s0, -1
                                        ; implicit-def: $vgpr16_vgpr17
.LBB9_1715:
	s_delay_alu instid0(SALU_CYCLE_1)
	s_and_not1_b32 vcc_lo, exec_lo, s0
	s_cbranch_vccnz .LBB9_1717
; %bb.1716:
	global_load_b32 v3, v[12:13], off
	s_wait_loadcnt 0x0
	v_cvt_f64_i32_e32 v[16:17], v3
.LBB9_1717:
	s_mov_b32 s0, 0
.LBB9_1718:
	s_delay_alu instid0(SALU_CYCLE_1)
	s_and_not1_b32 vcc_lo, exec_lo, s0
	s_cbranch_vccnz .LBB9_1720
; %bb.1719:
	global_load_i16 v3, v[12:13], off
	s_wait_loadcnt 0x0
	v_cvt_f64_i32_e32 v[16:17], v3
.LBB9_1720:
	s_mov_b32 s0, 0
.LBB9_1721:
	s_delay_alu instid0(SALU_CYCLE_1)
	s_and_not1_b32 vcc_lo, exec_lo, s0
	s_cbranch_vccnz .LBB9_1727
; %bb.1722:
	s_cmp_gt_i32 s10, 0
	s_mov_b32 s0, 0
	s_cbranch_scc0 .LBB9_1724
; %bb.1723:
	global_load_i8 v3, v[12:13], off
	s_wait_loadcnt 0x0
	v_cvt_f64_i32_e32 v[16:17], v3
	s_branch .LBB9_1725
.LBB9_1724:
	s_mov_b32 s0, -1
                                        ; implicit-def: $vgpr16_vgpr17
.LBB9_1725:
	s_delay_alu instid0(SALU_CYCLE_1)
	s_and_not1_b32 vcc_lo, exec_lo, s0
	s_cbranch_vccnz .LBB9_1727
; %bb.1726:
	global_load_u8 v3, v[12:13], off
	s_wait_loadcnt 0x0
	v_cvt_f64_u32_e32 v[16:17], v3
.LBB9_1727:
	s_mov_b32 s7, -1
.LBB9_1728:
	s_delay_alu instid0(SALU_CYCLE_1)
	s_and_not1_b32 vcc_lo, exec_lo, s7
	s_cbranch_vccnz .LBB9_1815
; %bb.1729:
	s_wait_xcnt 0x0
	v_mov_b64_e32 v[12:13], 0x7ff0000000000000
	s_mov_b32 s6, exec_lo
	s_wait_loadcnt 0x0
	s_delay_alu instid0(VALU_DEP_2)
	v_cmpx_neq_f64_e32 0, v[16:17]
	s_cbranch_execz .LBB9_1737
; %bb.1730:
	v_mov_b64_e32 v[12:13], 0x7ff8000000000000
	s_mov_b32 s7, exec_lo
	v_cmpx_ngt_f64_e32 0, v[16:17]
	s_cbranch_execz .LBB9_1736
; %bb.1731:
                                        ; implicit-def: $vgpr12_vgpr13
	s_mov_b32 s0, exec_lo
	v_cmpx_ge_f64_e32 2.0, v[16:17]
	s_xor_b32 s10, exec_lo, s0
	s_cbranch_execz .LBB9_1733
; %bb.1732:
	v_fma_f64 v[12:13], v[16:17], 0.5, -2.0
	s_mov_b64 s[12:13], 0xbc545cb72134d0ef
	v_mul_f64_e32 v[22:23], 0.5, v[16:17]
	s_delay_alu instid0(VALU_DEP_2) | instskip(SKIP_1) | instid1(VALU_DEP_2)
	v_fmaak_f64 v[18:19], s[12:13], v[12:13], 0x3c833362977da589
	s_mov_b64 s[12:13], 0x3fe5555555555555
	v_frexp_mant_f64_e32 v[24:25], v[22:23]
	v_cmp_neq_f64_e64 s0, 0, v[22:23]
	s_delay_alu instid0(VALU_DEP_3) | instskip(NEXT) | instid1(VALU_DEP_1)
	v_fmaak_f64 v[20:21], v[12:13], v[18:19], 0x3c545cb72134d0ef
	v_add_f64_e32 v[20:21], 0xbcb184eb721ebbb4, v[20:21]
	s_delay_alu instid0(VALU_DEP_4) | instskip(SKIP_1) | instid1(VALU_DEP_2)
	v_cmp_gt_f64_e32 vcc_lo, s[12:13], v[24:25]
	s_mov_b64 s[12:13], 0x3fc3ab76bf559e2b
	v_fma_f64 v[18:19], v[12:13], v[20:21], -v[18:19]
	v_cndmask_b32_e64 v3, 0, 1, vcc_lo
	s_delay_alu instid0(VALU_DEP_1) | instskip(SKIP_1) | instid1(VALU_DEP_4)
	v_ldexp_f64 v[24:25], v[24:25], v3
	v_frexp_exp_i32_f64_e32 v3, v[22:23]
	v_add_f64_e32 v[18:19], 0x3cdee6d893f65eba, v[18:19]
	s_delay_alu instid0(VALU_DEP_3) | instskip(SKIP_1) | instid1(VALU_DEP_4)
	v_add_f64_e32 v[26:27], 1.0, v[24:25]
	v_add_f64_e32 v[32:33], -1.0, v[24:25]
	v_subrev_co_ci_u32_e64 v3, null, 0, v3, vcc_lo
	v_cmp_neq_f64_e32 vcc_lo, 0x7ff00000, v[22:23]
	v_fma_f64 v[20:21], v[12:13], v[18:19], -v[20:21]
	v_rcp_f64_e32 v[28:29], v[26:27]
	v_add_f64_e32 v[34:35], -1.0, v[26:27]
	s_delay_alu instid0(VALU_DEP_2) | instskip(NEXT) | instid1(VALU_DEP_2)
	v_add_f64_e32 v[20:21], 0xbd0a5022c297fbeb, v[20:21]
	v_add_f64_e64 v[24:25], v[24:25], -v[34:35]
	s_delay_alu instid0(TRANS32_DEP_1) | instskip(NEXT) | instid1(VALU_DEP_3)
	v_fma_f64 v[30:31], -v[26:27], v[28:29], 1.0
	v_fma_f64 v[18:19], v[12:13], v[20:21], -v[18:19]
	s_delay_alu instid0(VALU_DEP_2) | instskip(NEXT) | instid1(VALU_DEP_2)
	v_fmac_f64_e32 v[28:29], v[30:31], v[28:29]
	v_add_f64_e32 v[18:19], 0x3d359b464b262627, v[18:19]
	s_delay_alu instid0(VALU_DEP_2) | instskip(NEXT) | instid1(VALU_DEP_2)
	v_fma_f64 v[30:31], -v[26:27], v[28:29], 1.0
	v_fma_f64 v[20:21], v[12:13], v[18:19], -v[20:21]
	s_delay_alu instid0(VALU_DEP_2) | instskip(NEXT) | instid1(VALU_DEP_2)
	v_fmac_f64_e32 v[28:29], v[30:31], v[28:29]
	v_add_f64_e32 v[20:21], 0xbd61164c62ee1af0, v[20:21]
	s_delay_alu instid0(VALU_DEP_2) | instskip(NEXT) | instid1(VALU_DEP_2)
	v_mul_f64_e32 v[30:31], v[32:33], v[28:29]
	v_fma_f64 v[18:19], v[12:13], v[20:21], -v[18:19]
	s_delay_alu instid0(VALU_DEP_2) | instskip(NEXT) | instid1(VALU_DEP_2)
	v_mul_f64_e32 v[36:37], v[26:27], v[30:31]
	v_add_f64_e32 v[18:19], 0x3d89fe2fe19bd324, v[18:19]
	s_delay_alu instid0(VALU_DEP_2) | instskip(NEXT) | instid1(VALU_DEP_2)
	v_fma_f64 v[26:27], v[30:31], v[26:27], -v[36:37]
	v_fma_f64 v[20:21], v[12:13], v[18:19], -v[20:21]
	s_delay_alu instid0(VALU_DEP_2) | instskip(NEXT) | instid1(VALU_DEP_2)
	v_fmac_f64_e32 v[26:27], v[30:31], v[24:25]
	v_add_f64_e32 v[20:21], 0xbdb2fc957a946abc, v[20:21]
	s_delay_alu instid0(VALU_DEP_2) | instskip(NEXT) | instid1(VALU_DEP_2)
	v_add_f64_e32 v[24:25], v[36:37], v[26:27]
	v_fma_f64 v[18:19], v[12:13], v[20:21], -v[18:19]
	s_delay_alu instid0(VALU_DEP_2) | instskip(NEXT) | instid1(VALU_DEP_2)
	v_add_f64_e64 v[34:35], v[32:33], -v[24:25]
	v_add_f64_e32 v[18:19], 0x3dda98becc743c10, v[18:19]
	v_add_f64_e64 v[36:37], v[24:25], -v[36:37]
	s_delay_alu instid0(VALU_DEP_3) | instskip(NEXT) | instid1(VALU_DEP_3)
	v_add_f64_e64 v[32:33], v[32:33], -v[34:35]
	v_fma_f64 v[20:21], v[12:13], v[18:19], -v[20:21]
	s_delay_alu instid0(VALU_DEP_3) | instskip(SKIP_1) | instid1(VALU_DEP_4)
	v_add_f64_e64 v[26:27], v[36:37], -v[26:27]
	v_cvt_f64_i32_e32 v[36:37], v3
	v_add_f64_e64 v[24:25], v[32:33], -v[24:25]
	s_delay_alu instid0(VALU_DEP_4) | instskip(NEXT) | instid1(VALU_DEP_3)
	v_add_f64_e32 v[20:21], 0xbe01d4fe13ae9556, v[20:21]
	v_mul_f64_e32 v[38:39], 0x3fe62e42fefa39ef, v[36:37]
	s_delay_alu instid0(VALU_DEP_3) | instskip(NEXT) | instid1(VALU_DEP_3)
	v_add_f64_e32 v[24:25], v[26:27], v[24:25]
	v_fma_f64 v[18:19], v[12:13], v[20:21], -v[18:19]
	s_delay_alu instid0(VALU_DEP_2) | instskip(NEXT) | instid1(VALU_DEP_2)
	v_add_f64_e32 v[24:25], v[34:35], v[24:25]
	v_add_f64_e32 v[18:19], 0x3e26d903a454cb34, v[18:19]
	s_delay_alu instid0(VALU_DEP_2) | instskip(NEXT) | instid1(VALU_DEP_2)
	v_mul_f64_e32 v[24:25], v[28:29], v[24:25]
	v_fma_f64 v[20:21], v[12:13], v[18:19], -v[20:21]
	s_delay_alu instid0(VALU_DEP_2) | instskip(NEXT) | instid1(VALU_DEP_2)
	v_add_f64_e32 v[26:27], v[30:31], v[24:25]
	v_add_f64_e32 v[20:21], 0xbe4beaf68c0b30ab, v[20:21]
	s_delay_alu instid0(VALU_DEP_2) | instskip(NEXT) | instid1(VALU_DEP_2)
	v_mul_f64_e32 v[28:29], v[26:27], v[26:27]
	v_fma_f64 v[18:19], v[12:13], v[20:21], -v[18:19]
	s_delay_alu instid0(VALU_DEP_2) | instskip(NEXT) | instid1(VALU_DEP_2)
	v_fmaak_f64 v[32:33], s[12:13], v[28:29], 0x3fc385386b47b09a
	v_add_f64_e32 v[18:19], 0x3e703b769d4d6435, v[18:19]
	v_mul_f64_e32 v[34:35], v[26:27], v[28:29]
	s_mov_b64 s[12:13], 0x3ca3cee1e6a7fd77
	s_delay_alu instid0(VALU_DEP_3) | instskip(NEXT) | instid1(VALU_DEP_1)
	v_fmaak_f64 v[32:33], v[28:29], v[32:33], 0x3fc7474dd7f4df2e
	v_fmaak_f64 v[32:33], v[28:29], v[32:33], 0x3fcc71c016291751
	s_delay_alu instid0(VALU_DEP_1) | instskip(NEXT) | instid1(VALU_DEP_1)
	v_fmaak_f64 v[32:33], v[28:29], v[32:33], 0x3fd249249b27acf1
	v_fmaak_f64 v[32:33], v[28:29], v[32:33], 0x3fd99999998ef7b6
	v_fma_f64 v[20:21], v[12:13], v[18:19], -v[20:21]
	s_delay_alu instid0(VALU_DEP_2) | instskip(SKIP_2) | instid1(VALU_DEP_3)
	v_fmaak_f64 v[28:29], v[28:29], v[32:33], 0x3fe5555555555780
	v_ldexp_f64 v[32:33], v[26:27], 1
	v_add_f64_e64 v[26:27], v[26:27], -v[30:31]
	v_mul_f64_e32 v[28:29], v[34:35], v[28:29]
	v_fma_f64 v[34:35], v[16:17], v[16:17], -2.0
	v_add_f64_e32 v[20:21], 0xbe91ec638f227f8d, v[20:21]
	s_delay_alu instid0(VALU_DEP_4) | instskip(NEXT) | instid1(VALU_DEP_4)
	v_add_f64_e64 v[24:25], v[24:25], -v[26:27]
	v_add_f64_e32 v[30:31], v[32:33], v[28:29]
	s_delay_alu instid0(VALU_DEP_3) | instskip(NEXT) | instid1(VALU_DEP_3)
	v_fma_f64 v[18:19], v[12:13], v[20:21], -v[18:19]
	v_ldexp_f64 v[24:25], v[24:25], 1
	s_delay_alu instid0(VALU_DEP_3) | instskip(SKIP_2) | instid1(VALU_DEP_1)
	v_add_f64_e64 v[26:27], v[30:31], -v[32:33]
	v_fmaak_f64 v[32:33], s[12:13], v[34:35], 0x3d27fb0ac384c2aa
	s_mov_b64 s[12:13], 0x3fe62e42fefa39ef
	v_fmaak_f64 v[40:41], v[34:35], v[32:33], 0xbca3cee1e6a7fd77
	v_add_f64_e32 v[18:19], 0x3eb2bf24978cf4ac, v[18:19]
	s_delay_alu instid0(VALU_DEP_4) | instskip(NEXT) | instid1(VALU_DEP_3)
	v_add_f64_e64 v[26:27], v[28:29], -v[26:27]
	v_add_f64_e32 v[28:29], 0x3da6c25c47512144, v[40:41]
	v_fma_f64 v[40:41], v[36:37], s[12:13], -v[38:39]
	s_mov_b64 s[12:13], 0x3e5ade156a5dcb37
	s_delay_alu instid0(VALU_DEP_4) | instskip(NEXT) | instid1(VALU_DEP_4)
	v_fma_f64 v[20:21], v[12:13], v[18:19], -v[20:21]
	v_add_f64_e32 v[24:25], v[24:25], v[26:27]
	s_delay_alu instid0(VALU_DEP_4) | instskip(NEXT) | instid1(VALU_DEP_4)
	v_fma_f64 v[26:27], v[34:35], v[28:29], -v[32:33]
	v_fmamk_f64 v[32:33], v[36:37], 0x3c7abc9e3b39803f, v[40:41]
	s_delay_alu instid0(VALU_DEP_1) | instskip(SKIP_3) | instid1(VALU_DEP_4)
	v_add_f64_e32 v[40:41], v[38:39], v[32:33]
	v_add_f64_e32 v[20:21], 0xbed2866fcba56427, v[20:21]
	v_add_f64_e32 v[36:37], v[30:31], v[24:25]
	v_add_f64_e32 v[26:27], 0x3e205c1367e58a13, v[26:27]
	v_add_f64_e64 v[38:39], v[40:41], -v[38:39]
	s_delay_alu instid0(VALU_DEP_4) | instskip(NEXT) | instid1(VALU_DEP_4)
	v_fma_f64 v[18:19], v[12:13], v[20:21], -v[18:19]
	v_add_f64_e32 v[42:43], v[40:41], v[36:37]
	s_delay_alu instid0(VALU_DEP_4) | instskip(SKIP_1) | instid1(VALU_DEP_4)
	v_fma_f64 v[28:29], v[34:35], v[26:27], -v[28:29]
	v_add_f64_e64 v[30:31], v[36:37], -v[30:31]
	v_add_f64_e32 v[18:19], 0x3ef13f58be9a2859, v[18:19]
	s_delay_alu instid0(VALU_DEP_4) | instskip(NEXT) | instid1(VALU_DEP_4)
	v_add_f64_e64 v[44:45], v[42:43], -v[40:41]
	v_add_f64_e32 v[28:29], 0x3e9102bce7f95efc, v[28:29]
	s_delay_alu instid0(VALU_DEP_4)
	v_add_f64_e64 v[24:25], v[24:25], -v[30:31]
	v_add_f64_e64 v[30:31], v[32:33], -v[38:39]
	v_mul_f64_e32 v[38:39], 0x3ff71547652b82fe, v[16:17]
	v_fma_f64 v[20:21], v[12:13], v[18:19], -v[20:21]
	v_add_f64_e64 v[46:47], v[42:43], -v[44:45]
	v_fma_f64 v[26:27], v[34:35], v[28:29], -v[26:27]
	v_add_f64_e64 v[36:37], v[36:37], -v[44:45]
	s_delay_alu instid0(VALU_DEP_4) | instskip(NEXT) | instid1(VALU_DEP_4)
	v_add_f64_e32 v[20:21], 0xbf0e2b2659c41d5a, v[20:21]
	v_add_f64_e64 v[32:33], v[40:41], -v[46:47]
	s_delay_alu instid0(VALU_DEP_4) | instskip(SKIP_1) | instid1(VALU_DEP_4)
	v_add_f64_e32 v[26:27], 0x3ef7f900fe8cfca0, v[26:27]
	v_add_f64_e32 v[40:41], v[30:31], v[24:25]
	v_fma_f64 v[18:19], v[12:13], v[20:21], -v[18:19]
	s_delay_alu instid0(VALU_DEP_4) | instskip(NEXT) | instid1(VALU_DEP_4)
	v_add_f64_e32 v[32:33], v[36:37], v[32:33]
	v_fma_f64 v[28:29], v[34:35], v[26:27], -v[28:29]
	v_rndne_f64_e32 v[36:37], v[38:39]
	v_add_f64_e64 v[38:39], v[40:41], -v[30:31]
	v_add_f64_e32 v[18:19], 0x3f28b51b74107cab, v[18:19]
	v_add_f64_e32 v[32:33], v[40:41], v[32:33]
	;; [unrolled: 1-line block ×3, first 2 shown]
	v_fmamk_f64 v[16:17], v[36:37], 0xbfe62e42fefa39ef, v[16:17]
	v_add_f64_e64 v[40:41], v[40:41], -v[38:39]
	v_add_f64_e64 v[24:25], v[24:25], -v[38:39]
	v_cvt_i32_f64_e32 v3, v[36:37]
	s_delay_alu instid0(VALU_DEP_4) | instskip(NEXT) | instid1(VALU_DEP_1)
	v_fmamk_f64 v[16:17], v[36:37], 0xbc7abc9e3b39803f, v[16:17]
	v_fmaak_f64 v[46:47], s[12:13], v[16:17], 0x3e928af3fca7ab0c
	s_delay_alu instid0(VALU_DEP_1) | instskip(SKIP_1) | instid1(VALU_DEP_2)
	v_fmaak_f64 v[46:47], v[16:17], v[46:47], 0x3ec71dee623fde64
	v_fma_f64 v[20:21], v[12:13], v[18:19], -v[20:21]
	v_fmaak_f64 v[46:47], v[16:17], v[46:47], 0x3efa01997c89e6b0
	v_add_f64_e32 v[44:45], v[42:43], v[32:33]
	v_fma_f64 v[26:27], v[34:35], v[28:29], -v[26:27]
	v_add_f64_e64 v[30:31], v[30:31], -v[40:41]
	s_delay_alu instid0(VALU_DEP_4) | instskip(NEXT) | instid1(VALU_DEP_1)
	v_fmaak_f64 v[46:47], v[16:17], v[46:47], 0x3f2a01a014761f6e
	v_fmaak_f64 v[40:41], v[16:17], v[46:47], 0x3f56c16c1852b7b0
	v_add_f64_e32 v[20:21], 0xbf42e2fd1f15eb52, v[20:21]
	v_add_f64_e64 v[38:39], v[44:45], -v[42:43]
	v_add_f64_e32 v[26:27], 0x3fa26bf6554a9085, v[26:27]
	v_add_f64_e32 v[24:25], v[24:25], v[30:31]
	s_delay_alu instid0(VALU_DEP_4) | instskip(NEXT) | instid1(VALU_DEP_4)
	v_fma_f64 v[18:19], v[12:13], v[20:21], -v[18:19]
	v_add_f64_e64 v[30:31], v[32:33], -v[38:39]
	s_delay_alu instid0(VALU_DEP_4) | instskip(NEXT) | instid1(VALU_DEP_3)
	v_fma_f64 v[28:29], v[34:35], v[26:27], -v[28:29]
	v_add_f64_e32 v[18:19], 0x3f5adc758a12100e, v[18:19]
	s_delay_alu instid0(VALU_DEP_3) | instskip(NEXT) | instid1(VALU_DEP_3)
	v_add_f64_e32 v[24:25], v[24:25], v[30:31]
	v_add_f64_e32 v[28:29], 0x3fd608d881213db9, v[28:29]
	s_delay_alu instid0(VALU_DEP_3) | instskip(NEXT) | instid1(VALU_DEP_1)
	v_fma_f64 v[20:21], v[12:13], v[18:19], -v[20:21]
	v_add_f64_e32 v[20:21], 0xbf71b65e201aa849, v[20:21]
	s_delay_alu instid0(VALU_DEP_1) | instskip(NEXT) | instid1(VALU_DEP_1)
	v_fma_f64 v[18:19], v[12:13], v[20:21], -v[18:19]
	v_add_f64_e32 v[18:19], 0x3f859961f3dde3dd, v[18:19]
	s_delay_alu instid0(VALU_DEP_1) | instskip(NEXT) | instid1(VALU_DEP_1)
	;; [unrolled: 3-line block ×6, first 2 shown]
	v_fma_f64 v[20:21], v[12:13], v[18:19], -v[20:21]
	v_add_f64_e32 v[20:21], 0xbfd37febc057cd8d, v[20:21]
	s_delay_alu instid0(VALU_DEP_1) | instskip(SKIP_1) | instid1(VALU_DEP_1)
	v_fma_f64 v[12:13], v[12:13], v[20:21], -v[18:19]
	v_fmaak_f64 v[20:21], v[16:17], v[40:41], 0x3f81111111122322
	v_fmaak_f64 v[20:21], v[16:17], v[20:21], 0x3fa55555555502a1
	s_delay_alu instid0(VALU_DEP_1) | instskip(NEXT) | instid1(VALU_DEP_1)
	v_fmaak_f64 v[20:21], v[16:17], v[20:21], 0x3fc5555555555511
	v_fmaak_f64 v[20:21], v[16:17], v[20:21], 0x3fe000000000000b
	s_delay_alu instid0(VALU_DEP_1) | instskip(SKIP_1) | instid1(VALU_DEP_2)
	v_fma_f64 v[20:21], v[16:17], v[20:21], 1.0
	v_add_f64_e32 v[12:13], 0x3fe5a84e9035a22a, v[12:13]
	v_fma_f64 v[16:17], v[16:17], v[20:21], 1.0
	v_fma_f64 v[20:21], v[34:35], v[28:29], -v[26:27]
	s_delay_alu instid0(VALU_DEP_3) | instskip(SKIP_1) | instid1(VALU_DEP_4)
	v_add_f64_e64 v[12:13], v[12:13], -v[18:19]
	v_add_f64_e32 v[18:19], v[44:45], v[24:25]
	v_ldexp_f64 v[16:17], v[16:17], v3
	s_delay_alu instid0(VALU_DEP_4) | instskip(NEXT) | instid1(VALU_DEP_4)
	v_add_f64_e32 v[20:21], 0xbfe12166e9d2f61f, v[20:21]
	v_mul_f64_e32 v[12:13], 0.5, v[12:13]
	s_delay_alu instid0(VALU_DEP_4) | instskip(SKIP_2) | instid1(VALU_DEP_2)
	v_cndmask_b32_e32 v3, 0x7ff00000, v19, vcc_lo
	s_and_b32 vcc_lo, s0, vcc_lo
	v_cndmask_b32_e32 v18, 0, v18, vcc_lo
	v_cndmask_b32_e64 v19, 0xfff00000, v3, s0
	v_add_f64_e64 v[20:21], v[20:21], -v[26:27]
	v_mul_f64_e32 v[12:13], v[16:17], v[12:13]
	s_delay_alu instid0(VALU_DEP_1) | instskip(NEXT) | instid1(VALU_DEP_1)
	v_mul_f64_e32 v[12:13], v[18:19], v[12:13]
	v_fma_f64 v[12:13], v[20:21], 0.5, -v[12:13]
	s_delay_alu instid0(VALU_DEP_1)
	v_mul_f64_e32 v[12:13], v[16:17], v[12:13]
                                        ; implicit-def: $vgpr16_vgpr17
.LBB9_1733:
	s_and_not1_saveexec_b32 s0, s10
	s_cbranch_execz .LBB9_1735
; %bb.1734:
	v_div_scale_f64 v[12:13], null, v[16:17], v[16:17], 0x40200000
	v_div_scale_f64 v[22:23], vcc_lo, 0x40200000, v[16:17], 0x40200000
	s_mov_b64 s[10:11], 0x3c5871a5cf8c9ee1
	v_rcp_f64_e32 v[18:19], v[12:13]
	v_nop
	s_delay_alu instid0(TRANS32_DEP_1) | instskip(NEXT) | instid1(VALU_DEP_1)
	v_fma_f64 v[20:21], -v[12:13], v[18:19], 1.0
	v_fmac_f64_e32 v[18:19], v[18:19], v[20:21]
	s_delay_alu instid0(VALU_DEP_1) | instskip(NEXT) | instid1(VALU_DEP_1)
	v_fma_f64 v[20:21], -v[12:13], v[18:19], 1.0
	v_fmac_f64_e32 v[18:19], v[18:19], v[20:21]
	s_delay_alu instid0(VALU_DEP_1) | instskip(NEXT) | instid1(VALU_DEP_1)
	v_mul_f64_e32 v[20:21], v[22:23], v[18:19]
	v_fma_f64 v[12:13], -v[12:13], v[20:21], v[22:23]
	s_delay_alu instid0(VALU_DEP_1) | instskip(SKIP_1) | instid1(VALU_DEP_2)
	v_div_fmas_f64 v[12:13], v[12:13], v[18:19], v[20:21]
	v_cmp_gt_f64_e32 vcc_lo, 0x10000000, v[16:17]
	v_div_fixup_f64 v[12:13], v[12:13], v[16:17], 0x40200000
	v_cndmask_b32_e64 v3, 0, 0x100, vcc_lo
	s_delay_alu instid0(VALU_DEP_1) | instskip(SKIP_1) | instid1(VALU_DEP_4)
	v_ldexp_f64 v[16:17], v[16:17], v3
	v_cndmask_b32_e64 v3, 0, 0xffffff80, vcc_lo
	v_add_f64_e32 v[12:13], -2.0, v[12:13]
	s_delay_alu instid0(VALU_DEP_3) | instskip(SKIP_1) | instid1(VALU_DEP_2)
	v_cmp_class_f64_e64 vcc_lo, v[16:17], 0x260
	v_rsq_f64_e32 v[22:23], v[16:17]
	v_fmaak_f64 v[18:19], s[10:11], v[12:13], 0xbc72fecc93812603
	s_delay_alu instid0(VALU_DEP_1) | instskip(NEXT) | instid1(TRANS32_DEP_1)
	v_fmaak_f64 v[20:21], v[12:13], v[18:19], 0xbc5871a5cf8c9ee1
	v_mul_f64_e32 v[24:25], v[16:17], v[22:23]
	s_delay_alu instid0(VALU_DEP_2) | instskip(SKIP_1) | instid1(VALU_DEP_2)
	v_add_f64_e32 v[20:21], 0x3c8e092e41a8cdf4, v[20:21]
	v_mul_f64_e32 v[22:23], 0.5, v[22:23]
	v_fma_f64 v[18:19], v[12:13], v[20:21], -v[18:19]
	s_delay_alu instid0(VALU_DEP_2) | instskip(NEXT) | instid1(VALU_DEP_2)
	v_fma_f64 v[26:27], -v[22:23], v[24:25], 0.5
	v_add_f64_e32 v[18:19], 0xbca82f9474d77641, v[18:19]
	s_delay_alu instid0(VALU_DEP_2) | instskip(SKIP_1) | instid1(VALU_DEP_3)
	v_fmac_f64_e32 v[24:25], v[24:25], v[26:27]
	v_fmac_f64_e32 v[22:23], v[22:23], v[26:27]
	v_fma_f64 v[20:21], v[12:13], v[18:19], -v[20:21]
	s_delay_alu instid0(VALU_DEP_3) | instskip(NEXT) | instid1(VALU_DEP_2)
	v_fma_f64 v[26:27], -v[24:25], v[24:25], v[16:17]
	v_add_f64_e32 v[20:21], 0x3cc3dbf96b94785b, v[20:21]
	s_delay_alu instid0(VALU_DEP_2) | instskip(NEXT) | instid1(VALU_DEP_2)
	v_fmac_f64_e32 v[24:25], v[26:27], v[22:23]
	v_fma_f64 v[18:19], v[12:13], v[20:21], -v[18:19]
	s_delay_alu instid0(VALU_DEP_1) | instskip(NEXT) | instid1(VALU_DEP_1)
	v_add_f64_e32 v[18:19], 0xbce0a690ecfadd36, v[18:19]
	v_fma_f64 v[20:21], v[12:13], v[18:19], -v[20:21]
	s_delay_alu instid0(VALU_DEP_1) | instskip(NEXT) | instid1(VALU_DEP_1)
	v_add_f64_e32 v[20:21], 0x3cfc8d9c4a7ddc98, v[20:21]
	;; [unrolled: 3-line block ×19, first 2 shown]
	v_fma_f64 v[12:13], v[12:13], v[18:19], -v[20:21]
	v_fma_f64 v[18:19], -v[24:25], v[24:25], v[16:17]
	s_delay_alu instid0(VALU_DEP_2) | instskip(NEXT) | instid1(VALU_DEP_2)
	v_add_f64_e32 v[12:13], 0x400385bd9f4e6907, v[12:13]
	v_fmac_f64_e32 v[24:25], v[18:19], v[22:23]
	s_delay_alu instid0(VALU_DEP_2) | instskip(NEXT) | instid1(VALU_DEP_2)
	v_add_f64_e64 v[12:13], v[12:13], -v[20:21]
	v_ldexp_f64 v[18:19], v[24:25], v3
	s_delay_alu instid0(VALU_DEP_2) | instskip(NEXT) | instid1(VALU_DEP_2)
	v_mul_f64_e32 v[12:13], 0.5, v[12:13]
	v_dual_cndmask_b32 v17, v19, v17 :: v_dual_cndmask_b32 v16, v18, v16
	s_delay_alu instid0(VALU_DEP_1) | instskip(NEXT) | instid1(VALU_DEP_1)
	v_div_scale_f64 v[18:19], null, v[16:17], v[16:17], v[12:13]
	v_rcp_f64_e32 v[20:21], v[18:19]
	v_nop
	s_delay_alu instid0(TRANS32_DEP_1) | instskip(NEXT) | instid1(VALU_DEP_1)
	v_fma_f64 v[22:23], -v[18:19], v[20:21], 1.0
	v_fmac_f64_e32 v[20:21], v[20:21], v[22:23]
	s_delay_alu instid0(VALU_DEP_1) | instskip(NEXT) | instid1(VALU_DEP_1)
	v_fma_f64 v[22:23], -v[18:19], v[20:21], 1.0
	v_fmac_f64_e32 v[20:21], v[20:21], v[22:23]
	v_div_scale_f64 v[22:23], vcc_lo, v[12:13], v[16:17], v[12:13]
	s_delay_alu instid0(VALU_DEP_1) | instskip(NEXT) | instid1(VALU_DEP_1)
	v_mul_f64_e32 v[24:25], v[22:23], v[20:21]
	v_fma_f64 v[18:19], -v[18:19], v[24:25], v[22:23]
	s_delay_alu instid0(VALU_DEP_1) | instskip(NEXT) | instid1(VALU_DEP_1)
	v_div_fmas_f64 v[18:19], v[18:19], v[20:21], v[24:25]
	v_div_fixup_f64 v[12:13], v[18:19], v[16:17], v[12:13]
.LBB9_1735:
	s_or_b32 exec_lo, exec_lo, s0
.LBB9_1736:
	s_delay_alu instid0(SALU_CYCLE_1)
	s_or_b32 exec_lo, exec_lo, s7
.LBB9_1737:
	s_delay_alu instid0(SALU_CYCLE_1)
	s_or_b32 exec_lo, exec_lo, s6
	v_mov_b32_e32 v3, 0
	global_load_u8 v7, v3, s[2:3] offset:345
	v_add_nc_u64_e32 v[16:17], s[4:5], v[2:3]
	s_wait_loadcnt 0x0
	v_and_b32_e32 v11, 0xffff, v7
	v_readfirstlane_b32 s6, v7
	s_delay_alu instid0(VALU_DEP_2)
	v_cmp_gt_i32_e32 vcc_lo, 11, v11
	s_cbranch_vccnz .LBB9_1860
; %bb.1738:
	s_wait_xcnt 0x0
	s_and_b32 s2, 0xffff, s6
	s_mov_b32 s10, -1
	s_mov_b32 s3, 0
	s_cmp_gt_i32 s2, 25
	s_mov_b32 s7, 0
	s_mov_b32 s0, 0
	s_cbranch_scc0 .LBB9_1771
; %bb.1739:
	s_cmp_gt_i32 s2, 28
	s_cbranch_scc0 .LBB9_1754
; %bb.1740:
	s_cmp_gt_i32 s2, 43
	;; [unrolled: 3-line block ×3, first 2 shown]
	s_cbranch_scc0 .LBB9_1744
; %bb.1742:
	s_mov_b32 s0, -1
	s_mov_b32 s10, 0
	s_cmp_eq_u32 s2, 46
	s_cbranch_scc0 .LBB9_1744
; %bb.1743:
	v_cvt_f32_f64_e32 v2, v[0:1]
	s_mov_b32 s0, 0
	s_mov_b32 s7, -1
	s_delay_alu instid0(VALU_DEP_1) | instskip(SKIP_1) | instid1(VALU_DEP_2)
	v_bfe_u32 v3, v2, 16, 1
	v_cmp_o_f32_e32 vcc_lo, v2, v2
	v_add3_u32 v3, v2, v3, 0x7fff
	s_delay_alu instid0(VALU_DEP_1) | instskip(NEXT) | instid1(VALU_DEP_1)
	v_lshrrev_b32_e32 v3, 16, v3
	v_cndmask_b32_e32 v2, 0x7fc0, v3, vcc_lo
	global_store_b32 v[16:17], v2, off
.LBB9_1744:
	s_and_b32 vcc_lo, exec_lo, s10
	s_cbranch_vccz .LBB9_1749
; %bb.1745:
	s_cmp_eq_u32 s2, 44
	s_mov_b32 s0, -1
	s_cbranch_scc0 .LBB9_1749
; %bb.1746:
	s_wait_xcnt 0x0
	v_cvt_f32_f64_e32 v2, v[0:1]
	v_mov_b32_e32 v3, 0xff
	s_mov_b32 s7, exec_lo
	s_delay_alu instid0(VALU_DEP_2) | instskip(NEXT) | instid1(VALU_DEP_1)
	v_bfe_u32 v7, v2, 23, 8
	v_cmpx_ne_u32_e32 0xff, v7
	s_cbranch_execz .LBB9_1748
; %bb.1747:
	v_and_b32_e32 v3, 0x400000, v2
	v_and_or_b32 v7, 0x3fffff, v2, v7
	v_lshrrev_b32_e32 v2, 23, v2
	s_delay_alu instid0(VALU_DEP_3) | instskip(NEXT) | instid1(VALU_DEP_3)
	v_cmp_ne_u32_e32 vcc_lo, 0, v3
	v_cmp_ne_u32_e64 s0, 0, v7
	s_and_b32 s0, vcc_lo, s0
	s_delay_alu instid0(SALU_CYCLE_1) | instskip(NEXT) | instid1(VALU_DEP_1)
	v_cndmask_b32_e64 v3, 0, 1, s0
	v_add_nc_u32_e32 v3, v2, v3
.LBB9_1748:
	s_or_b32 exec_lo, exec_lo, s7
	s_mov_b32 s0, 0
	s_mov_b32 s7, -1
	global_store_b8 v[16:17], v3, off
.LBB9_1749:
	s_mov_b32 s10, 0
.LBB9_1750:
	s_delay_alu instid0(SALU_CYCLE_1)
	s_and_b32 vcc_lo, exec_lo, s10
	s_cbranch_vccz .LBB9_1753
; %bb.1751:
	s_cmp_eq_u32 s2, 29
	s_mov_b32 s0, -1
	s_cbranch_scc0 .LBB9_1753
; %bb.1752:
	s_wait_xcnt 0x0
	v_trunc_f64_e32 v[2:3], v[0:1]
	s_mov_b32 s0, 0
	s_mov_b32 s7, -1
	s_delay_alu instid0(VALU_DEP_1) | instskip(NEXT) | instid1(VALU_DEP_1)
	v_ldexp_f64 v[18:19], v[2:3], 0xffffffe0
	v_floor_f64_e32 v[18:19], v[18:19]
	s_delay_alu instid0(VALU_DEP_1) | instskip(SKIP_1) | instid1(VALU_DEP_2)
	v_fmamk_f64 v[2:3], v[18:19], 0xc1f00000, v[2:3]
	v_cvt_u32_f64_e32 v19, v[18:19]
	v_cvt_u32_f64_e32 v18, v[2:3]
	global_store_b64 v[16:17], v[18:19], off
.LBB9_1753:
	s_mov_b32 s10, 0
.LBB9_1754:
	s_delay_alu instid0(SALU_CYCLE_1)
	s_and_b32 vcc_lo, exec_lo, s10
	s_cbranch_vccz .LBB9_1770
; %bb.1755:
	s_cmp_lt_i32 s2, 27
	s_mov_b32 s7, -1
	s_cbranch_scc1 .LBB9_1761
; %bb.1756:
	s_wait_xcnt 0x0
	v_cvt_u32_f64_e32 v2, v[0:1]
	s_cmp_gt_i32 s2, 27
	s_cbranch_scc0 .LBB9_1758
; %bb.1757:
	s_mov_b32 s7, 0
	global_store_b32 v[16:17], v2, off
.LBB9_1758:
	s_and_not1_b32 vcc_lo, exec_lo, s7
	s_cbranch_vccnz .LBB9_1760
; %bb.1759:
	global_store_b16 v[16:17], v2, off
.LBB9_1760:
	s_mov_b32 s7, 0
.LBB9_1761:
	s_delay_alu instid0(SALU_CYCLE_1)
	s_and_not1_b32 vcc_lo, exec_lo, s7
	s_cbranch_vccnz .LBB9_1769
; %bb.1762:
	s_wait_xcnt 0x0
	v_cvt_f32_f64_e32 v2, v[0:1]
	v_mov_b32_e32 v7, 0x80
	s_mov_b32 s7, exec_lo
	s_delay_alu instid0(VALU_DEP_2) | instskip(NEXT) | instid1(VALU_DEP_1)
	v_and_b32_e32 v3, 0x7fffffff, v2
	v_cmpx_gt_u32_e32 0x43800000, v3
	s_cbranch_execz .LBB9_1768
; %bb.1763:
	v_cmp_lt_u32_e32 vcc_lo, 0x3bffffff, v3
	s_mov_b32 s10, 0
                                        ; implicit-def: $vgpr3
	s_and_saveexec_b32 s11, vcc_lo
	s_delay_alu instid0(SALU_CYCLE_1)
	s_xor_b32 s11, exec_lo, s11
	s_cbranch_execz .LBB9_2218
; %bb.1764:
	v_bfe_u32 v3, v2, 20, 1
	s_mov_b32 s10, exec_lo
	s_delay_alu instid0(VALU_DEP_1) | instskip(NEXT) | instid1(VALU_DEP_1)
	v_add3_u32 v3, v2, v3, 0x487ffff
	v_lshrrev_b32_e32 v3, 20, v3
	s_and_not1_saveexec_b32 s11, s11
	s_cbranch_execnz .LBB9_2219
.LBB9_1765:
	s_or_b32 exec_lo, exec_lo, s11
	v_mov_b32_e32 v7, 0
	s_and_saveexec_b32 s11, s10
.LBB9_1766:
	v_lshrrev_b32_e32 v2, 24, v2
	s_delay_alu instid0(VALU_DEP_1)
	v_and_or_b32 v7, 0x80, v2, v3
.LBB9_1767:
	s_or_b32 exec_lo, exec_lo, s11
.LBB9_1768:
	s_delay_alu instid0(SALU_CYCLE_1)
	s_or_b32 exec_lo, exec_lo, s7
	global_store_b8 v[16:17], v7, off
.LBB9_1769:
	s_mov_b32 s7, -1
.LBB9_1770:
	s_mov_b32 s10, 0
.LBB9_1771:
	s_delay_alu instid0(SALU_CYCLE_1)
	s_and_b32 vcc_lo, exec_lo, s10
	s_cbranch_vccz .LBB9_1811
; %bb.1772:
	s_cmp_gt_i32 s2, 22
	s_mov_b32 s3, -1
	s_cbranch_scc0 .LBB9_1804
; %bb.1773:
	s_cmp_lt_i32 s2, 24
	s_cbranch_scc1 .LBB9_1793
; %bb.1774:
	s_cmp_gt_i32 s2, 24
	s_cbranch_scc0 .LBB9_1782
; %bb.1775:
	s_wait_xcnt 0x0
	v_cvt_f32_f64_e32 v2, v[0:1]
	v_mov_b32_e32 v7, 0x80
	s_mov_b32 s3, exec_lo
	s_delay_alu instid0(VALU_DEP_2) | instskip(NEXT) | instid1(VALU_DEP_1)
	v_and_b32_e32 v3, 0x7fffffff, v2
	v_cmpx_gt_u32_e32 0x47800000, v3
	s_cbranch_execz .LBB9_1781
; %bb.1776:
	v_cmp_lt_u32_e32 vcc_lo, 0x37ffffff, v3
	s_mov_b32 s7, 0
                                        ; implicit-def: $vgpr3
	s_and_saveexec_b32 s10, vcc_lo
	s_delay_alu instid0(SALU_CYCLE_1)
	s_xor_b32 s10, exec_lo, s10
	s_cbranch_execz .LBB9_2221
; %bb.1777:
	v_bfe_u32 v3, v2, 21, 1
	s_mov_b32 s7, exec_lo
	s_delay_alu instid0(VALU_DEP_1) | instskip(NEXT) | instid1(VALU_DEP_1)
	v_add3_u32 v3, v2, v3, 0x88fffff
	v_lshrrev_b32_e32 v3, 21, v3
	s_and_not1_saveexec_b32 s10, s10
	s_cbranch_execnz .LBB9_2222
.LBB9_1778:
	s_or_b32 exec_lo, exec_lo, s10
	v_mov_b32_e32 v7, 0
	s_and_saveexec_b32 s10, s7
.LBB9_1779:
	v_lshrrev_b32_e32 v2, 24, v2
	s_delay_alu instid0(VALU_DEP_1)
	v_and_or_b32 v7, 0x80, v2, v3
.LBB9_1780:
	s_or_b32 exec_lo, exec_lo, s10
.LBB9_1781:
	s_delay_alu instid0(SALU_CYCLE_1)
	s_or_b32 exec_lo, exec_lo, s3
	s_mov_b32 s3, 0
	global_store_b8 v[16:17], v7, off
.LBB9_1782:
	s_and_b32 vcc_lo, exec_lo, s3
	s_cbranch_vccz .LBB9_1792
; %bb.1783:
	s_wait_xcnt 0x0
	v_cvt_f32_f64_e32 v2, v[0:1]
	s_mov_b32 s3, exec_lo
                                        ; implicit-def: $vgpr3
	s_delay_alu instid0(VALU_DEP_1) | instskip(NEXT) | instid1(VALU_DEP_1)
	v_and_b32_e32 v7, 0x7fffffff, v2
	v_cmpx_gt_u32_e32 0x43f00000, v7
	s_xor_b32 s3, exec_lo, s3
	s_cbranch_execz .LBB9_1789
; %bb.1784:
	s_mov_b32 s7, exec_lo
                                        ; implicit-def: $vgpr3
	v_cmpx_lt_u32_e32 0x3c7fffff, v7
	s_xor_b32 s7, exec_lo, s7
; %bb.1785:
	v_bfe_u32 v3, v2, 20, 1
	s_delay_alu instid0(VALU_DEP_1) | instskip(NEXT) | instid1(VALU_DEP_1)
	v_add3_u32 v3, v2, v3, 0x407ffff
	v_and_b32_e32 v7, 0xff00000, v3
	v_lshrrev_b32_e32 v3, 20, v3
	s_delay_alu instid0(VALU_DEP_2) | instskip(NEXT) | instid1(VALU_DEP_2)
	v_cmp_ne_u32_e32 vcc_lo, 0x7f00000, v7
	v_cndmask_b32_e32 v3, 0x7e, v3, vcc_lo
; %bb.1786:
	s_and_not1_saveexec_b32 s7, s7
; %bb.1787:
	v_add_f32_e64 v3, 0x46800000, |v2|
; %bb.1788:
	s_or_b32 exec_lo, exec_lo, s7
                                        ; implicit-def: $vgpr7
.LBB9_1789:
	s_and_not1_saveexec_b32 s3, s3
; %bb.1790:
	v_mov_b32_e32 v3, 0x7f
	v_cmp_lt_u32_e32 vcc_lo, 0x7f800000, v7
	s_delay_alu instid0(VALU_DEP_2)
	v_cndmask_b32_e32 v3, 0x7e, v3, vcc_lo
; %bb.1791:
	s_or_b32 exec_lo, exec_lo, s3
	v_lshrrev_b32_e32 v2, 24, v2
	s_delay_alu instid0(VALU_DEP_1)
	v_and_or_b32 v2, 0x80, v2, v3
	global_store_b8 v[16:17], v2, off
.LBB9_1792:
	s_mov_b32 s3, 0
.LBB9_1793:
	s_delay_alu instid0(SALU_CYCLE_1)
	s_and_not1_b32 vcc_lo, exec_lo, s3
	s_cbranch_vccnz .LBB9_1803
; %bb.1794:
	s_wait_xcnt 0x0
	v_cvt_f32_f64_e32 v2, v[0:1]
	s_mov_b32 s3, exec_lo
                                        ; implicit-def: $vgpr3
	s_delay_alu instid0(VALU_DEP_1) | instskip(NEXT) | instid1(VALU_DEP_1)
	v_and_b32_e32 v7, 0x7fffffff, v2
	v_cmpx_gt_u32_e32 0x47800000, v7
	s_xor_b32 s3, exec_lo, s3
	s_cbranch_execz .LBB9_1800
; %bb.1795:
	s_mov_b32 s7, exec_lo
                                        ; implicit-def: $vgpr3
	v_cmpx_lt_u32_e32 0x387fffff, v7
	s_xor_b32 s7, exec_lo, s7
; %bb.1796:
	v_bfe_u32 v3, v2, 21, 1
	s_delay_alu instid0(VALU_DEP_1) | instskip(NEXT) | instid1(VALU_DEP_1)
	v_add3_u32 v3, v2, v3, 0x80fffff
	v_lshrrev_b32_e32 v3, 21, v3
; %bb.1797:
	s_and_not1_saveexec_b32 s7, s7
; %bb.1798:
	v_add_f32_e64 v3, 0x43000000, |v2|
; %bb.1799:
	s_or_b32 exec_lo, exec_lo, s7
                                        ; implicit-def: $vgpr7
.LBB9_1800:
	s_and_not1_saveexec_b32 s3, s3
; %bb.1801:
	v_mov_b32_e32 v3, 0x7f
	v_cmp_lt_u32_e32 vcc_lo, 0x7f800000, v7
	s_delay_alu instid0(VALU_DEP_2)
	v_cndmask_b32_e32 v3, 0x7c, v3, vcc_lo
; %bb.1802:
	s_or_b32 exec_lo, exec_lo, s3
	v_lshrrev_b32_e32 v2, 24, v2
	s_delay_alu instid0(VALU_DEP_1)
	v_and_or_b32 v2, 0x80, v2, v3
	global_store_b8 v[16:17], v2, off
.LBB9_1803:
	s_mov_b32 s3, 0
	s_mov_b32 s7, -1
.LBB9_1804:
	s_and_not1_b32 vcc_lo, exec_lo, s3
	s_mov_b32 s3, 0
	s_cbranch_vccnz .LBB9_1811
; %bb.1805:
	s_cmp_gt_i32 s2, 14
	s_mov_b32 s3, -1
	s_cbranch_scc0 .LBB9_1809
; %bb.1806:
	s_cmp_eq_u32 s2, 15
	s_mov_b32 s0, -1
	s_cbranch_scc0 .LBB9_1808
; %bb.1807:
	s_wait_xcnt 0x0
	v_cvt_f32_f64_e32 v2, v[0:1]
	s_mov_b32 s0, 0
	s_mov_b32 s7, -1
	s_delay_alu instid0(VALU_DEP_1) | instskip(SKIP_1) | instid1(VALU_DEP_2)
	v_bfe_u32 v3, v2, 16, 1
	v_cmp_o_f32_e32 vcc_lo, v2, v2
	v_add3_u32 v3, v2, v3, 0x7fff
	s_delay_alu instid0(VALU_DEP_1) | instskip(NEXT) | instid1(VALU_DEP_1)
	v_lshrrev_b32_e32 v3, 16, v3
	v_cndmask_b32_e32 v2, 0x7fc0, v3, vcc_lo
	global_store_b16 v[16:17], v2, off
.LBB9_1808:
	s_mov_b32 s3, 0
.LBB9_1809:
	s_delay_alu instid0(SALU_CYCLE_1)
	s_and_b32 vcc_lo, exec_lo, s3
	s_mov_b32 s3, 0
	s_cbranch_vccz .LBB9_1811
; %bb.1810:
	s_cmp_lg_u32 s2, 11
	s_mov_b32 s3, -1
	s_cselect_b32 s0, -1, 0
.LBB9_1811:
	s_delay_alu instid0(SALU_CYCLE_1)
	s_and_b32 vcc_lo, exec_lo, s0
	s_cbranch_vccnz .LBB9_2220
; %bb.1812:
	s_and_not1_b32 vcc_lo, exec_lo, s3
	s_cbranch_vccnz .LBB9_1814
.LBB9_1813:
	v_cmp_neq_f64_e32 vcc_lo, 0, v[0:1]
	s_mov_b32 s7, -1
	s_wait_xcnt 0x0
	v_cndmask_b32_e64 v2, 0, 1, vcc_lo
	global_store_b8 v[16:17], v2, off
.LBB9_1814:
	s_mov_b32 s0, 0
	s_branch .LBB9_1861
.LBB9_1815:
	s_mov_b32 s0, 0
	s_mov_b32 s3, 0
                                        ; implicit-def: $vgpr0_vgpr1
                                        ; implicit-def: $sgpr6
                                        ; implicit-def: $vgpr12_vgpr13
.LBB9_1816:
	s_and_not1_b32 s2, s8, exec_lo
	s_and_b32 s1, s1, exec_lo
	s_and_b32 s0, s0, exec_lo
	;; [unrolled: 1-line block ×3, first 2 shown]
	s_or_b32 s8, s2, s1
.LBB9_1817:
	s_wait_xcnt 0x0
	s_or_b32 exec_lo, exec_lo, s9
	s_and_saveexec_b32 s1, s8
	s_cbranch_execz .LBB9_1820
; %bb.1818:
	; divergent unreachable
	s_or_b32 exec_lo, exec_lo, s1
	s_and_saveexec_b32 s1, s30
	s_delay_alu instid0(SALU_CYCLE_1)
	s_xor_b32 s1, exec_lo, s1
	s_cbranch_execnz .LBB9_1821
.LBB9_1819:
	s_or_b32 exec_lo, exec_lo, s1
	s_and_saveexec_b32 s1, s0
	s_cbranch_execnz .LBB9_1822
	s_branch .LBB9_1859
.LBB9_1820:
	s_or_b32 exec_lo, exec_lo, s1
	s_and_saveexec_b32 s1, s30
	s_delay_alu instid0(SALU_CYCLE_1)
	s_xor_b32 s1, exec_lo, s1
	s_cbranch_execz .LBB9_1819
.LBB9_1821:
	v_cmp_neq_f64_e32 vcc_lo, 0, v[12:13]
	v_cndmask_b32_e64 v2, 0, 1, vcc_lo
	global_store_b8 v[0:1], v2, off
	s_wait_xcnt 0x0
	s_or_b32 exec_lo, exec_lo, s1
	s_and_saveexec_b32 s1, s0
	s_cbranch_execz .LBB9_1859
.LBB9_1822:
	s_sext_i32_i16 s1, s6
	s_mov_b32 s0, -1
	s_cmp_lt_i32 s1, 5
	s_cbranch_scc1 .LBB9_1843
; %bb.1823:
	s_cmp_lt_i32 s1, 8
	s_cbranch_scc1 .LBB9_1833
; %bb.1824:
	;; [unrolled: 3-line block ×3, first 2 shown]
	s_cmp_gt_i32 s1, 9
	s_cbranch_scc0 .LBB9_1827
; %bb.1826:
	v_mov_b32_e32 v14, 0
	s_mov_b32 s0, 0
	s_delay_alu instid0(VALU_DEP_1)
	v_mov_b32_e32 v15, v14
	global_store_b128 v[0:1], v[12:15], off
.LBB9_1827:
	s_and_not1_b32 vcc_lo, exec_lo, s0
	s_cbranch_vccnz .LBB9_1829
; %bb.1828:
	v_cvt_f32_f64_e32 v2, v[12:13]
	v_mov_b32_e32 v3, 0
	global_store_b64 v[0:1], v[2:3], off
.LBB9_1829:
	s_mov_b32 s0, 0
.LBB9_1830:
	s_delay_alu instid0(SALU_CYCLE_1)
	s_and_not1_b32 vcc_lo, exec_lo, s0
	s_cbranch_vccnz .LBB9_1832
; %bb.1831:
	s_wait_xcnt 0x0
	v_and_or_b32 v2, 0x1ff, v13, v12
	v_lshrrev_b32_e32 v3, 8, v13
	s_wait_loadcnt 0x0
	v_bfe_u32 v4, v13, 20, 11
	s_delay_alu instid0(VALU_DEP_3) | instskip(NEXT) | instid1(VALU_DEP_2)
	v_cmp_ne_u32_e32 vcc_lo, 0, v2
	v_sub_nc_u32_e32 v5, 0x3f1, v4
	v_add_nc_u32_e32 v4, 0xfffffc10, v4
	v_cndmask_b32_e64 v2, 0, 1, vcc_lo
	s_delay_alu instid0(VALU_DEP_1) | instskip(NEXT) | instid1(VALU_DEP_4)
	v_and_or_b32 v2, 0xffe, v3, v2
	v_med3_i32 v3, v5, 0, 13
	s_delay_alu instid0(VALU_DEP_2) | instskip(NEXT) | instid1(VALU_DEP_1)
	v_or_b32_e32 v5, 0x1000, v2
	v_lshrrev_b32_e32 v6, v3, v5
	s_delay_alu instid0(VALU_DEP_1) | instskip(NEXT) | instid1(VALU_DEP_1)
	v_lshlrev_b32_e32 v3, v3, v6
	v_cmp_ne_u32_e32 vcc_lo, v3, v5
	v_lshl_or_b32 v5, v4, 12, v2
	v_cndmask_b32_e64 v3, 0, 1, vcc_lo
	v_cmp_gt_i32_e32 vcc_lo, 1, v4
	s_delay_alu instid0(VALU_DEP_2) | instskip(NEXT) | instid1(VALU_DEP_1)
	v_or_b32_e32 v3, v6, v3
	v_cndmask_b32_e32 v3, v5, v3, vcc_lo
	s_delay_alu instid0(VALU_DEP_1) | instskip(NEXT) | instid1(VALU_DEP_1)
	v_dual_lshrrev_b32 v3, 2, v3 :: v_dual_bitop2_b32 v5, 7, v3 bitop3:0x40
	v_cmp_lt_i32_e32 vcc_lo, 5, v5
	v_cndmask_b32_e64 v6, 0, 1, vcc_lo
	v_cmp_eq_u32_e32 vcc_lo, 3, v5
	v_cndmask_b32_e64 v5, 0, 1, vcc_lo
	v_cmp_ne_u32_e32 vcc_lo, 0, v2
	s_delay_alu instid0(VALU_DEP_2) | instskip(NEXT) | instid1(VALU_DEP_1)
	v_or_b32_e32 v5, v5, v6
	v_dual_mov_b32 v6, 0x7e00 :: v_dual_add_nc_u32 v3, v3, v5
	s_delay_alu instid0(VALU_DEP_1) | instskip(SKIP_2) | instid1(VALU_DEP_4)
	v_cndmask_b32_e32 v2, 0x7c00, v6, vcc_lo
	v_cmp_gt_i32_e32 vcc_lo, 31, v4
	v_lshrrev_b32_e32 v5, 16, v13
	v_cndmask_b32_e32 v3, 0x7c00, v3, vcc_lo
	v_cmp_eq_u32_e32 vcc_lo, 0x40f, v4
	s_delay_alu instid0(VALU_DEP_2) | instskip(NEXT) | instid1(VALU_DEP_4)
	v_cndmask_b32_e32 v2, v3, v2, vcc_lo
	v_and_b32_e32 v3, 0x8000, v5
	s_delay_alu instid0(VALU_DEP_1)
	v_bitop3_b32 v2, v3, 0xffff, v2 bitop3:0xc8
	global_store_b32 v[0:1], v2, off
.LBB9_1832:
	s_mov_b32 s0, 0
.LBB9_1833:
	s_delay_alu instid0(SALU_CYCLE_1)
	s_and_not1_b32 vcc_lo, exec_lo, s0
	s_cbranch_vccnz .LBB9_1842
; %bb.1834:
	s_sext_i32_i16 s1, s6
	s_mov_b32 s0, -1
	s_cmp_lt_i32 s1, 6
	s_cbranch_scc1 .LBB9_1840
; %bb.1835:
	s_cmp_gt_i32 s1, 6
	s_cbranch_scc0 .LBB9_1837
; %bb.1836:
	s_mov_b32 s0, 0
	global_store_b64 v[0:1], v[12:13], off
.LBB9_1837:
	s_and_not1_b32 vcc_lo, exec_lo, s0
	s_cbranch_vccnz .LBB9_1839
; %bb.1838:
	s_wait_xcnt 0x0
	v_cvt_f32_f64_e32 v2, v[12:13]
	global_store_b32 v[0:1], v2, off
.LBB9_1839:
	s_mov_b32 s0, 0
.LBB9_1840:
	s_delay_alu instid0(SALU_CYCLE_1)
	s_and_not1_b32 vcc_lo, exec_lo, s0
	s_cbranch_vccnz .LBB9_1842
; %bb.1841:
	s_wait_xcnt 0x0
	v_and_or_b32 v2, 0x1ff, v13, v12
	v_lshrrev_b32_e32 v3, 8, v13
	s_wait_loadcnt 0x0
	v_bfe_u32 v4, v13, 20, 11
	s_delay_alu instid0(VALU_DEP_3) | instskip(NEXT) | instid1(VALU_DEP_2)
	v_cmp_ne_u32_e32 vcc_lo, 0, v2
	v_sub_nc_u32_e32 v5, 0x3f1, v4
	v_add_nc_u32_e32 v4, 0xfffffc10, v4
	v_cndmask_b32_e64 v2, 0, 1, vcc_lo
	s_delay_alu instid0(VALU_DEP_1) | instskip(NEXT) | instid1(VALU_DEP_4)
	v_and_or_b32 v2, 0xffe, v3, v2
	v_med3_i32 v3, v5, 0, 13
	s_delay_alu instid0(VALU_DEP_2) | instskip(NEXT) | instid1(VALU_DEP_1)
	v_or_b32_e32 v5, 0x1000, v2
	v_lshrrev_b32_e32 v6, v3, v5
	s_delay_alu instid0(VALU_DEP_1) | instskip(NEXT) | instid1(VALU_DEP_1)
	v_lshlrev_b32_e32 v3, v3, v6
	v_cmp_ne_u32_e32 vcc_lo, v3, v5
	v_lshl_or_b32 v5, v4, 12, v2
	v_cndmask_b32_e64 v3, 0, 1, vcc_lo
	v_cmp_gt_i32_e32 vcc_lo, 1, v4
	s_delay_alu instid0(VALU_DEP_2) | instskip(NEXT) | instid1(VALU_DEP_1)
	v_or_b32_e32 v3, v6, v3
	v_cndmask_b32_e32 v3, v5, v3, vcc_lo
	s_delay_alu instid0(VALU_DEP_1) | instskip(NEXT) | instid1(VALU_DEP_1)
	v_dual_lshrrev_b32 v3, 2, v3 :: v_dual_bitop2_b32 v5, 7, v3 bitop3:0x40
	v_cmp_lt_i32_e32 vcc_lo, 5, v5
	v_cndmask_b32_e64 v6, 0, 1, vcc_lo
	v_cmp_eq_u32_e32 vcc_lo, 3, v5
	v_cndmask_b32_e64 v5, 0, 1, vcc_lo
	v_cmp_ne_u32_e32 vcc_lo, 0, v2
	s_delay_alu instid0(VALU_DEP_2) | instskip(NEXT) | instid1(VALU_DEP_1)
	v_or_b32_e32 v5, v5, v6
	v_dual_mov_b32 v6, 0x7e00 :: v_dual_add_nc_u32 v3, v3, v5
	s_delay_alu instid0(VALU_DEP_1) | instskip(SKIP_1) | instid1(VALU_DEP_3)
	v_cndmask_b32_e32 v2, 0x7c00, v6, vcc_lo
	v_cmp_gt_i32_e32 vcc_lo, 31, v4
	v_cndmask_b32_e32 v3, 0x7c00, v3, vcc_lo
	v_cmp_eq_u32_e32 vcc_lo, 0x40f, v4
	s_delay_alu instid0(VALU_DEP_2) | instskip(NEXT) | instid1(VALU_DEP_1)
	v_dual_cndmask_b32 v2, v3, v2 :: v_dual_lshrrev_b32 v3, 16, v13
	v_and_or_b32 v2, 0x8000, v3, v2
	global_store_b16 v[0:1], v2, off
.LBB9_1842:
	s_mov_b32 s0, 0
.LBB9_1843:
	s_delay_alu instid0(SALU_CYCLE_1)
	s_and_not1_b32 vcc_lo, exec_lo, s0
	s_cbranch_vccnz .LBB9_1859
; %bb.1844:
	s_sext_i32_i16 s1, s6
	s_mov_b32 s0, -1
	s_cmp_lt_i32 s1, 2
	s_cbranch_scc1 .LBB9_1854
; %bb.1845:
	s_cmp_lt_i32 s1, 3
	s_cbranch_scc1 .LBB9_1851
; %bb.1846:
	s_cmp_gt_i32 s1, 3
	s_cbranch_scc0 .LBB9_1848
; %bb.1847:
	s_wait_xcnt 0x0
	v_trunc_f64_e32 v[2:3], v[12:13]
	s_mov_b32 s0, 0
	s_wait_loadcnt 0x0
	s_delay_alu instid0(VALU_DEP_1) | instskip(NEXT) | instid1(VALU_DEP_1)
	v_ldexp_f64 v[4:5], v[2:3], 0xffffffe0
	v_floor_f64_e32 v[4:5], v[4:5]
	s_delay_alu instid0(VALU_DEP_1) | instskip(SKIP_1) | instid1(VALU_DEP_2)
	v_fmamk_f64 v[2:3], v[4:5], 0xc1f00000, v[2:3]
	v_cvt_i32_f64_e32 v5, v[4:5]
	v_cvt_u32_f64_e32 v4, v[2:3]
	global_store_b64 v[0:1], v[4:5], off
.LBB9_1848:
	s_and_not1_b32 vcc_lo, exec_lo, s0
	s_cbranch_vccnz .LBB9_1850
; %bb.1849:
	s_wait_xcnt 0x0
	v_cvt_i32_f64_e32 v2, v[12:13]
	global_store_b32 v[0:1], v2, off
.LBB9_1850:
	s_mov_b32 s0, 0
.LBB9_1851:
	s_delay_alu instid0(SALU_CYCLE_1)
	s_and_not1_b32 vcc_lo, exec_lo, s0
	s_cbranch_vccnz .LBB9_1853
; %bb.1852:
	s_wait_xcnt 0x0
	v_cvt_i32_f64_e32 v2, v[12:13]
	global_store_b16 v[0:1], v2, off
.LBB9_1853:
	s_mov_b32 s0, 0
.LBB9_1854:
	s_delay_alu instid0(SALU_CYCLE_1)
	s_and_not1_b32 vcc_lo, exec_lo, s0
	s_cbranch_vccnz .LBB9_1859
; %bb.1855:
	s_sext_i32_i16 s0, s6
	s_delay_alu instid0(SALU_CYCLE_1)
	s_cmp_gt_i32 s0, 0
	s_mov_b32 s0, -1
	s_cbranch_scc0 .LBB9_1857
; %bb.1856:
	s_wait_xcnt 0x0
	v_cvt_i32_f64_e32 v2, v[12:13]
	s_mov_b32 s0, 0
	global_store_b8 v[0:1], v2, off
.LBB9_1857:
	s_and_not1_b32 vcc_lo, exec_lo, s0
	s_cbranch_vccnz .LBB9_1859
; %bb.1858:
	s_wait_xcnt 0x0
	v_trunc_f64_e32 v[2:3], v[12:13]
	s_wait_loadcnt 0x0
	s_delay_alu instid0(VALU_DEP_1) | instskip(NEXT) | instid1(VALU_DEP_1)
	v_ldexp_f64 v[4:5], v[2:3], 0xffffffe0
	v_floor_f64_e32 v[4:5], v[4:5]
	s_delay_alu instid0(VALU_DEP_1) | instskip(NEXT) | instid1(VALU_DEP_1)
	v_fmamk_f64 v[2:3], v[4:5], 0xc1f00000, v[2:3]
	v_cvt_u32_f64_e32 v2, v[2:3]
	global_store_b8 v[0:1], v2, off
	s_endpgm
.LBB9_1859:
	s_endpgm
.LBB9_1860:
	s_mov_b32 s0, -1
	s_mov_b32 s7, 0
.LBB9_1861:
	s_and_b32 vcc_lo, exec_lo, s0
	s_cbranch_vccz .LBB9_1900
; %bb.1862:
	s_and_b32 s0, 0xffff, s6
	s_wait_xcnt 0x0
	s_mov_b32 s2, -1
	s_cmp_lt_i32 s0, 5
	s_cbranch_scc1 .LBB9_1883
; %bb.1863:
	s_cmp_lt_i32 s0, 8
	s_cbranch_scc1 .LBB9_1873
; %bb.1864:
	;; [unrolled: 3-line block ×3, first 2 shown]
	s_cmp_gt_i32 s0, 9
	s_cbranch_scc0 .LBB9_1867
; %bb.1866:
	v_mov_b32_e32 v2, 0
	s_mov_b32 s2, 0
	s_delay_alu instid0(VALU_DEP_1)
	v_mov_b32_e32 v3, v2
	global_store_b128 v[16:17], v[0:3], off
.LBB9_1867:
	s_and_not1_b32 vcc_lo, exec_lo, s2
	s_cbranch_vccnz .LBB9_1869
; %bb.1868:
	s_wait_xcnt 0x0
	v_cvt_f32_f64_e32 v2, v[0:1]
	v_mov_b32_e32 v3, 0
	global_store_b64 v[16:17], v[2:3], off
.LBB9_1869:
	s_mov_b32 s2, 0
.LBB9_1870:
	s_delay_alu instid0(SALU_CYCLE_1)
	s_and_not1_b32 vcc_lo, exec_lo, s2
	s_cbranch_vccnz .LBB9_1872
; %bb.1871:
	s_wait_xcnt 0x0
	v_and_or_b32 v2, 0x1ff, v1, v0
	v_lshrrev_b32_e32 v3, 8, v1
	v_bfe_u32 v7, v1, 20, 11
	s_delay_alu instid0(VALU_DEP_3) | instskip(NEXT) | instid1(VALU_DEP_2)
	v_cmp_ne_u32_e32 vcc_lo, 0, v2
	v_sub_nc_u32_e32 v11, 0x3f1, v7
	v_add_nc_u32_e32 v7, 0xfffffc10, v7
	v_cndmask_b32_e64 v2, 0, 1, vcc_lo
	s_delay_alu instid0(VALU_DEP_1) | instskip(NEXT) | instid1(VALU_DEP_4)
	v_and_or_b32 v2, 0xffe, v3, v2
	v_med3_i32 v3, v11, 0, 13
	s_delay_alu instid0(VALU_DEP_2) | instskip(NEXT) | instid1(VALU_DEP_1)
	v_or_b32_e32 v11, 0x1000, v2
	v_lshrrev_b32_e32 v15, v3, v11
	s_delay_alu instid0(VALU_DEP_1) | instskip(NEXT) | instid1(VALU_DEP_1)
	v_lshlrev_b32_e32 v3, v3, v15
	v_cmp_ne_u32_e32 vcc_lo, v3, v11
	v_lshl_or_b32 v11, v7, 12, v2
	v_cndmask_b32_e64 v3, 0, 1, vcc_lo
	v_cmp_gt_i32_e32 vcc_lo, 1, v7
	s_delay_alu instid0(VALU_DEP_2) | instskip(NEXT) | instid1(VALU_DEP_1)
	v_or_b32_e32 v3, v15, v3
	v_cndmask_b32_e32 v3, v11, v3, vcc_lo
	s_delay_alu instid0(VALU_DEP_1) | instskip(NEXT) | instid1(VALU_DEP_1)
	v_dual_lshrrev_b32 v3, 2, v3 :: v_dual_bitop2_b32 v11, 7, v3 bitop3:0x40
	v_cmp_lt_i32_e32 vcc_lo, 5, v11
	v_cndmask_b32_e64 v15, 0, 1, vcc_lo
	v_cmp_eq_u32_e32 vcc_lo, 3, v11
	v_cndmask_b32_e64 v11, 0, 1, vcc_lo
	v_cmp_ne_u32_e32 vcc_lo, 0, v2
	s_delay_alu instid0(VALU_DEP_2) | instskip(SKIP_1) | instid1(VALU_DEP_2)
	v_or_b32_e32 v11, v11, v15
	v_mov_b32_e32 v15, 0x7e00
	v_add_nc_u32_e32 v3, v3, v11
	s_delay_alu instid0(VALU_DEP_2) | instskip(SKIP_2) | instid1(VALU_DEP_4)
	v_cndmask_b32_e32 v2, 0x7c00, v15, vcc_lo
	v_cmp_gt_i32_e32 vcc_lo, 31, v7
	v_lshrrev_b32_e32 v11, 16, v1
	v_cndmask_b32_e32 v3, 0x7c00, v3, vcc_lo
	v_cmp_eq_u32_e32 vcc_lo, 0x40f, v7
	s_delay_alu instid0(VALU_DEP_2) | instskip(NEXT) | instid1(VALU_DEP_4)
	v_cndmask_b32_e32 v2, v3, v2, vcc_lo
	v_and_b32_e32 v3, 0x8000, v11
	s_delay_alu instid0(VALU_DEP_1)
	v_bitop3_b32 v2, v3, 0xffff, v2 bitop3:0xc8
	global_store_b32 v[16:17], v2, off
.LBB9_1872:
	s_mov_b32 s2, 0
.LBB9_1873:
	s_delay_alu instid0(SALU_CYCLE_1)
	s_and_not1_b32 vcc_lo, exec_lo, s2
	s_cbranch_vccnz .LBB9_1882
; %bb.1874:
	s_cmp_lt_i32 s0, 6
	s_mov_b32 s2, -1
	s_cbranch_scc1 .LBB9_1880
; %bb.1875:
	s_cmp_gt_i32 s0, 6
	s_cbranch_scc0 .LBB9_1877
; %bb.1876:
	s_mov_b32 s2, 0
	global_store_b64 v[16:17], v[0:1], off
.LBB9_1877:
	s_and_not1_b32 vcc_lo, exec_lo, s2
	s_cbranch_vccnz .LBB9_1879
; %bb.1878:
	s_wait_xcnt 0x0
	v_cvt_f32_f64_e32 v2, v[0:1]
	global_store_b32 v[16:17], v2, off
.LBB9_1879:
	s_mov_b32 s2, 0
.LBB9_1880:
	s_delay_alu instid0(SALU_CYCLE_1)
	s_and_not1_b32 vcc_lo, exec_lo, s2
	s_cbranch_vccnz .LBB9_1882
; %bb.1881:
	s_wait_xcnt 0x0
	v_and_or_b32 v2, 0x1ff, v1, v0
	v_lshrrev_b32_e32 v3, 8, v1
	v_bfe_u32 v7, v1, 20, 11
	s_delay_alu instid0(VALU_DEP_3) | instskip(NEXT) | instid1(VALU_DEP_2)
	v_cmp_ne_u32_e32 vcc_lo, 0, v2
	v_sub_nc_u32_e32 v11, 0x3f1, v7
	v_add_nc_u32_e32 v7, 0xfffffc10, v7
	v_cndmask_b32_e64 v2, 0, 1, vcc_lo
	s_delay_alu instid0(VALU_DEP_1) | instskip(NEXT) | instid1(VALU_DEP_4)
	v_and_or_b32 v2, 0xffe, v3, v2
	v_med3_i32 v3, v11, 0, 13
	s_delay_alu instid0(VALU_DEP_2) | instskip(NEXT) | instid1(VALU_DEP_1)
	v_or_b32_e32 v11, 0x1000, v2
	v_lshrrev_b32_e32 v15, v3, v11
	s_delay_alu instid0(VALU_DEP_1) | instskip(NEXT) | instid1(VALU_DEP_1)
	v_lshlrev_b32_e32 v3, v3, v15
	v_cmp_ne_u32_e32 vcc_lo, v3, v11
	v_lshl_or_b32 v11, v7, 12, v2
	v_cndmask_b32_e64 v3, 0, 1, vcc_lo
	v_cmp_gt_i32_e32 vcc_lo, 1, v7
	s_delay_alu instid0(VALU_DEP_2) | instskip(NEXT) | instid1(VALU_DEP_1)
	v_or_b32_e32 v3, v15, v3
	v_cndmask_b32_e32 v3, v11, v3, vcc_lo
	s_delay_alu instid0(VALU_DEP_1) | instskip(NEXT) | instid1(VALU_DEP_1)
	v_dual_lshrrev_b32 v3, 2, v3 :: v_dual_bitop2_b32 v11, 7, v3 bitop3:0x40
	v_cmp_lt_i32_e32 vcc_lo, 5, v11
	v_cndmask_b32_e64 v15, 0, 1, vcc_lo
	v_cmp_eq_u32_e32 vcc_lo, 3, v11
	v_cndmask_b32_e64 v11, 0, 1, vcc_lo
	v_cmp_ne_u32_e32 vcc_lo, 0, v2
	s_delay_alu instid0(VALU_DEP_2) | instskip(SKIP_1) | instid1(VALU_DEP_2)
	v_or_b32_e32 v11, v11, v15
	v_mov_b32_e32 v15, 0x7e00
	v_add_nc_u32_e32 v3, v3, v11
	s_delay_alu instid0(VALU_DEP_2) | instskip(SKIP_1) | instid1(VALU_DEP_3)
	v_cndmask_b32_e32 v2, 0x7c00, v15, vcc_lo
	v_cmp_gt_i32_e32 vcc_lo, 31, v7
	v_cndmask_b32_e32 v3, 0x7c00, v3, vcc_lo
	v_cmp_eq_u32_e32 vcc_lo, 0x40f, v7
	s_delay_alu instid0(VALU_DEP_2) | instskip(NEXT) | instid1(VALU_DEP_1)
	v_dual_cndmask_b32 v2, v3, v2 :: v_dual_lshrrev_b32 v3, 16, v1
	v_and_or_b32 v2, 0x8000, v3, v2
	global_store_b16 v[16:17], v2, off
.LBB9_1882:
	s_mov_b32 s2, 0
.LBB9_1883:
	s_delay_alu instid0(SALU_CYCLE_1)
	s_and_not1_b32 vcc_lo, exec_lo, s2
	s_cbranch_vccnz .LBB9_1899
; %bb.1884:
	s_cmp_lt_i32 s0, 2
	s_mov_b32 s2, -1
	s_cbranch_scc1 .LBB9_1894
; %bb.1885:
	s_cmp_lt_i32 s0, 3
	s_cbranch_scc1 .LBB9_1891
; %bb.1886:
	s_cmp_gt_i32 s0, 3
	s_cbranch_scc0 .LBB9_1888
; %bb.1887:
	s_wait_xcnt 0x0
	v_trunc_f64_e32 v[2:3], v[0:1]
	s_mov_b32 s2, 0
	s_delay_alu instid0(VALU_DEP_1) | instskip(NEXT) | instid1(VALU_DEP_1)
	v_ldexp_f64 v[18:19], v[2:3], 0xffffffe0
	v_floor_f64_e32 v[18:19], v[18:19]
	s_delay_alu instid0(VALU_DEP_1) | instskip(SKIP_1) | instid1(VALU_DEP_2)
	v_fmamk_f64 v[2:3], v[18:19], 0xc1f00000, v[2:3]
	v_cvt_i32_f64_e32 v19, v[18:19]
	v_cvt_u32_f64_e32 v18, v[2:3]
	global_store_b64 v[16:17], v[18:19], off
.LBB9_1888:
	s_and_not1_b32 vcc_lo, exec_lo, s2
	s_cbranch_vccnz .LBB9_1890
; %bb.1889:
	s_wait_xcnt 0x0
	v_cvt_i32_f64_e32 v2, v[0:1]
	global_store_b32 v[16:17], v2, off
.LBB9_1890:
	s_mov_b32 s2, 0
.LBB9_1891:
	s_delay_alu instid0(SALU_CYCLE_1)
	s_and_not1_b32 vcc_lo, exec_lo, s2
	s_cbranch_vccnz .LBB9_1893
; %bb.1892:
	s_wait_xcnt 0x0
	v_cvt_i32_f64_e32 v2, v[0:1]
	global_store_b16 v[16:17], v2, off
.LBB9_1893:
	s_mov_b32 s2, 0
.LBB9_1894:
	s_delay_alu instid0(SALU_CYCLE_1)
	s_and_not1_b32 vcc_lo, exec_lo, s2
	s_cbranch_vccnz .LBB9_1899
; %bb.1895:
	s_cmp_gt_i32 s0, 0
	s_mov_b32 s0, -1
	s_cbranch_scc0 .LBB9_1897
; %bb.1896:
	s_wait_xcnt 0x0
	v_cvt_i32_f64_e32 v2, v[0:1]
	s_mov_b32 s0, 0
	global_store_b8 v[16:17], v2, off
.LBB9_1897:
	s_and_not1_b32 vcc_lo, exec_lo, s0
	s_cbranch_vccnz .LBB9_1899
; %bb.1898:
	s_wait_xcnt 0x0
	v_trunc_f64_e32 v[0:1], v[0:1]
	s_delay_alu instid0(VALU_DEP_1) | instskip(NEXT) | instid1(VALU_DEP_1)
	v_ldexp_f64 v[2:3], v[0:1], 0xffffffe0
	v_floor_f64_e32 v[2:3], v[2:3]
	s_delay_alu instid0(VALU_DEP_1) | instskip(NEXT) | instid1(VALU_DEP_1)
	v_fmamk_f64 v[0:1], v[2:3], 0xc1f00000, v[0:1]
	v_cvt_u32_f64_e32 v0, v[0:1]
	global_store_b8 v[16:17], v0, off
.LBB9_1899:
	s_mov_b32 s7, -1
.LBB9_1900:
	s_delay_alu instid0(SALU_CYCLE_1)
	s_and_not1_b32 vcc_lo, exec_lo, s7
	s_cbranch_vccnz .LBB9_2215
; %bb.1901:
	s_wait_xcnt 0x0
	v_mov_b32_e32 v7, 0
	s_and_b32 s2, 0xffff, s6
	s_delay_alu instid0(SALU_CYCLE_1) | instskip(NEXT) | instid1(VALU_DEP_1)
	s_cmp_lt_i32 s2, 11
	v_add_nc_u64_e32 v[0:1], s[4:5], v[6:7]
	s_cbranch_scc1 .LBB9_1979
; %bb.1902:
	s_mov_b32 s10, -1
	s_mov_b32 s3, 0
	s_cmp_gt_i32 s2, 25
	s_mov_b32 s7, 0
	s_mov_b32 s0, 0
	s_cbranch_scc0 .LBB9_1935
; %bb.1903:
	s_cmp_gt_i32 s2, 28
	s_cbranch_scc0 .LBB9_1918
; %bb.1904:
	s_cmp_gt_i32 s2, 43
	;; [unrolled: 3-line block ×3, first 2 shown]
	s_cbranch_scc0 .LBB9_1908
; %bb.1906:
	s_mov_b32 s0, -1
	s_mov_b32 s10, 0
	s_cmp_eq_u32 s2, 46
	s_cbranch_scc0 .LBB9_1908
; %bb.1907:
	v_cvt_f32_f64_e32 v2, v[4:5]
	s_mov_b32 s0, 0
	s_mov_b32 s7, -1
	s_delay_alu instid0(VALU_DEP_1) | instskip(SKIP_1) | instid1(VALU_DEP_2)
	v_bfe_u32 v3, v2, 16, 1
	v_cmp_o_f32_e32 vcc_lo, v2, v2
	v_add3_u32 v3, v2, v3, 0x7fff
	s_delay_alu instid0(VALU_DEP_1) | instskip(NEXT) | instid1(VALU_DEP_1)
	v_lshrrev_b32_e32 v3, 16, v3
	v_cndmask_b32_e32 v2, 0x7fc0, v3, vcc_lo
	global_store_b32 v[0:1], v2, off
.LBB9_1908:
	s_and_b32 vcc_lo, exec_lo, s10
	s_cbranch_vccz .LBB9_1913
; %bb.1909:
	s_cmp_eq_u32 s2, 44
	s_mov_b32 s0, -1
	s_cbranch_scc0 .LBB9_1913
; %bb.1910:
	s_wait_xcnt 0x0
	v_cvt_f32_f64_e32 v2, v[4:5]
	v_mov_b32_e32 v3, 0xff
	s_mov_b32 s7, exec_lo
	s_delay_alu instid0(VALU_DEP_2) | instskip(NEXT) | instid1(VALU_DEP_1)
	v_bfe_u32 v6, v2, 23, 8
	v_cmpx_ne_u32_e32 0xff, v6
	s_cbranch_execz .LBB9_1912
; %bb.1911:
	v_and_b32_e32 v3, 0x400000, v2
	v_and_or_b32 v6, 0x3fffff, v2, v6
	v_lshrrev_b32_e32 v2, 23, v2
	s_delay_alu instid0(VALU_DEP_3) | instskip(NEXT) | instid1(VALU_DEP_3)
	v_cmp_ne_u32_e32 vcc_lo, 0, v3
	v_cmp_ne_u32_e64 s0, 0, v6
	s_and_b32 s0, vcc_lo, s0
	s_delay_alu instid0(SALU_CYCLE_1) | instskip(NEXT) | instid1(VALU_DEP_1)
	v_cndmask_b32_e64 v3, 0, 1, s0
	v_add_nc_u32_e32 v3, v2, v3
.LBB9_1912:
	s_or_b32 exec_lo, exec_lo, s7
	s_mov_b32 s0, 0
	s_mov_b32 s7, -1
	global_store_b8 v[0:1], v3, off
.LBB9_1913:
	s_mov_b32 s10, 0
.LBB9_1914:
	s_delay_alu instid0(SALU_CYCLE_1)
	s_and_b32 vcc_lo, exec_lo, s10
	s_cbranch_vccz .LBB9_1917
; %bb.1915:
	s_cmp_eq_u32 s2, 29
	s_mov_b32 s0, -1
	s_cbranch_scc0 .LBB9_1917
; %bb.1916:
	s_wait_xcnt 0x0
	v_trunc_f64_e32 v[2:3], v[4:5]
	s_mov_b32 s0, 0
	s_mov_b32 s7, -1
	s_delay_alu instid0(VALU_DEP_1) | instskip(NEXT) | instid1(VALU_DEP_1)
	v_ldexp_f64 v[6:7], v[2:3], 0xffffffe0
	v_floor_f64_e32 v[6:7], v[6:7]
	s_delay_alu instid0(VALU_DEP_1) | instskip(SKIP_1) | instid1(VALU_DEP_2)
	v_fmamk_f64 v[2:3], v[6:7], 0xc1f00000, v[2:3]
	v_cvt_u32_f64_e32 v7, v[6:7]
	v_cvt_u32_f64_e32 v6, v[2:3]
	global_store_b64 v[0:1], v[6:7], off
.LBB9_1917:
	s_mov_b32 s10, 0
.LBB9_1918:
	s_delay_alu instid0(SALU_CYCLE_1)
	s_and_b32 vcc_lo, exec_lo, s10
	s_cbranch_vccz .LBB9_1934
; %bb.1919:
	s_cmp_lt_i32 s2, 27
	s_mov_b32 s7, -1
	s_cbranch_scc1 .LBB9_1925
; %bb.1920:
	s_cmp_gt_i32 s2, 27
	s_cbranch_scc0 .LBB9_1922
; %bb.1921:
	s_wait_xcnt 0x0
	v_cvt_u32_f64_e32 v2, v[4:5]
	s_mov_b32 s7, 0
	global_store_b32 v[0:1], v2, off
.LBB9_1922:
	s_and_not1_b32 vcc_lo, exec_lo, s7
	s_cbranch_vccnz .LBB9_1924
; %bb.1923:
	s_wait_xcnt 0x0
	v_cvt_u32_f64_e32 v2, v[4:5]
	global_store_b16 v[0:1], v2, off
.LBB9_1924:
	s_mov_b32 s7, 0
.LBB9_1925:
	s_delay_alu instid0(SALU_CYCLE_1)
	s_and_not1_b32 vcc_lo, exec_lo, s7
	s_cbranch_vccnz .LBB9_1933
; %bb.1926:
	s_wait_xcnt 0x0
	v_cvt_f32_f64_e32 v2, v[4:5]
	v_mov_b32_e32 v6, 0x80
	s_mov_b32 s7, exec_lo
	s_delay_alu instid0(VALU_DEP_2) | instskip(NEXT) | instid1(VALU_DEP_1)
	v_and_b32_e32 v3, 0x7fffffff, v2
	v_cmpx_gt_u32_e32 0x43800000, v3
	s_cbranch_execz .LBB9_1932
; %bb.1927:
	v_cmp_lt_u32_e32 vcc_lo, 0x3bffffff, v3
	s_mov_b32 s10, 0
                                        ; implicit-def: $vgpr3
	s_and_saveexec_b32 s11, vcc_lo
	s_delay_alu instid0(SALU_CYCLE_1)
	s_xor_b32 s11, exec_lo, s11
	s_cbranch_execz .LBB9_2223
; %bb.1928:
	v_bfe_u32 v3, v2, 20, 1
	s_mov_b32 s10, exec_lo
	s_delay_alu instid0(VALU_DEP_1) | instskip(NEXT) | instid1(VALU_DEP_1)
	v_add3_u32 v3, v2, v3, 0x487ffff
	v_lshrrev_b32_e32 v3, 20, v3
	s_and_not1_saveexec_b32 s11, s11
	s_cbranch_execnz .LBB9_2224
.LBB9_1929:
	s_or_b32 exec_lo, exec_lo, s11
	v_mov_b32_e32 v6, 0
	s_and_saveexec_b32 s11, s10
.LBB9_1930:
	v_lshrrev_b32_e32 v2, 24, v2
	s_delay_alu instid0(VALU_DEP_1)
	v_and_or_b32 v6, 0x80, v2, v3
.LBB9_1931:
	s_or_b32 exec_lo, exec_lo, s11
.LBB9_1932:
	s_delay_alu instid0(SALU_CYCLE_1)
	s_or_b32 exec_lo, exec_lo, s7
	global_store_b8 v[0:1], v6, off
.LBB9_1933:
	s_mov_b32 s7, -1
.LBB9_1934:
	s_mov_b32 s10, 0
.LBB9_1935:
	s_delay_alu instid0(SALU_CYCLE_1)
	s_and_b32 vcc_lo, exec_lo, s10
	s_cbranch_vccz .LBB9_1975
; %bb.1936:
	s_cmp_gt_i32 s2, 22
	s_mov_b32 s3, -1
	s_cbranch_scc0 .LBB9_1968
; %bb.1937:
	s_cmp_lt_i32 s2, 24
	s_cbranch_scc1 .LBB9_1957
; %bb.1938:
	s_cmp_gt_i32 s2, 24
	s_cbranch_scc0 .LBB9_1946
; %bb.1939:
	s_wait_xcnt 0x0
	v_cvt_f32_f64_e32 v2, v[4:5]
	v_mov_b32_e32 v6, 0x80
	s_mov_b32 s3, exec_lo
	s_delay_alu instid0(VALU_DEP_2) | instskip(NEXT) | instid1(VALU_DEP_1)
	v_and_b32_e32 v3, 0x7fffffff, v2
	v_cmpx_gt_u32_e32 0x47800000, v3
	s_cbranch_execz .LBB9_1945
; %bb.1940:
	v_cmp_lt_u32_e32 vcc_lo, 0x37ffffff, v3
	s_mov_b32 s7, 0
                                        ; implicit-def: $vgpr3
	s_and_saveexec_b32 s10, vcc_lo
	s_delay_alu instid0(SALU_CYCLE_1)
	s_xor_b32 s10, exec_lo, s10
	s_cbranch_execz .LBB9_2226
; %bb.1941:
	v_bfe_u32 v3, v2, 21, 1
	s_mov_b32 s7, exec_lo
	s_delay_alu instid0(VALU_DEP_1) | instskip(NEXT) | instid1(VALU_DEP_1)
	v_add3_u32 v3, v2, v3, 0x88fffff
	v_lshrrev_b32_e32 v3, 21, v3
	s_and_not1_saveexec_b32 s10, s10
	s_cbranch_execnz .LBB9_2227
.LBB9_1942:
	s_or_b32 exec_lo, exec_lo, s10
	v_mov_b32_e32 v6, 0
	s_and_saveexec_b32 s10, s7
.LBB9_1943:
	v_lshrrev_b32_e32 v2, 24, v2
	s_delay_alu instid0(VALU_DEP_1)
	v_and_or_b32 v6, 0x80, v2, v3
.LBB9_1944:
	s_or_b32 exec_lo, exec_lo, s10
.LBB9_1945:
	s_delay_alu instid0(SALU_CYCLE_1)
	s_or_b32 exec_lo, exec_lo, s3
	s_mov_b32 s3, 0
	global_store_b8 v[0:1], v6, off
.LBB9_1946:
	s_and_b32 vcc_lo, exec_lo, s3
	s_cbranch_vccz .LBB9_1956
; %bb.1947:
	s_wait_xcnt 0x0
	v_cvt_f32_f64_e32 v2, v[4:5]
	s_mov_b32 s3, exec_lo
                                        ; implicit-def: $vgpr3
	s_delay_alu instid0(VALU_DEP_1) | instskip(NEXT) | instid1(VALU_DEP_1)
	v_and_b32_e32 v6, 0x7fffffff, v2
	v_cmpx_gt_u32_e32 0x43f00000, v6
	s_xor_b32 s3, exec_lo, s3
	s_cbranch_execz .LBB9_1953
; %bb.1948:
	s_mov_b32 s7, exec_lo
                                        ; implicit-def: $vgpr3
	v_cmpx_lt_u32_e32 0x3c7fffff, v6
	s_xor_b32 s7, exec_lo, s7
; %bb.1949:
	v_bfe_u32 v3, v2, 20, 1
	s_delay_alu instid0(VALU_DEP_1) | instskip(NEXT) | instid1(VALU_DEP_1)
	v_add3_u32 v3, v2, v3, 0x407ffff
	v_and_b32_e32 v6, 0xff00000, v3
	v_lshrrev_b32_e32 v3, 20, v3
	s_delay_alu instid0(VALU_DEP_2) | instskip(NEXT) | instid1(VALU_DEP_2)
	v_cmp_ne_u32_e32 vcc_lo, 0x7f00000, v6
	v_cndmask_b32_e32 v3, 0x7e, v3, vcc_lo
; %bb.1950:
	s_and_not1_saveexec_b32 s7, s7
; %bb.1951:
	v_add_f32_e64 v3, 0x46800000, |v2|
; %bb.1952:
	s_or_b32 exec_lo, exec_lo, s7
                                        ; implicit-def: $vgpr6
.LBB9_1953:
	s_and_not1_saveexec_b32 s3, s3
; %bb.1954:
	v_mov_b32_e32 v3, 0x7f
	v_cmp_lt_u32_e32 vcc_lo, 0x7f800000, v6
	s_delay_alu instid0(VALU_DEP_2)
	v_cndmask_b32_e32 v3, 0x7e, v3, vcc_lo
; %bb.1955:
	s_or_b32 exec_lo, exec_lo, s3
	v_lshrrev_b32_e32 v2, 24, v2
	s_delay_alu instid0(VALU_DEP_1)
	v_and_or_b32 v2, 0x80, v2, v3
	global_store_b8 v[0:1], v2, off
.LBB9_1956:
	s_mov_b32 s3, 0
.LBB9_1957:
	s_delay_alu instid0(SALU_CYCLE_1)
	s_and_not1_b32 vcc_lo, exec_lo, s3
	s_cbranch_vccnz .LBB9_1967
; %bb.1958:
	s_wait_xcnt 0x0
	v_cvt_f32_f64_e32 v2, v[4:5]
	s_mov_b32 s3, exec_lo
                                        ; implicit-def: $vgpr3
	s_delay_alu instid0(VALU_DEP_1) | instskip(NEXT) | instid1(VALU_DEP_1)
	v_and_b32_e32 v6, 0x7fffffff, v2
	v_cmpx_gt_u32_e32 0x47800000, v6
	s_xor_b32 s3, exec_lo, s3
	s_cbranch_execz .LBB9_1964
; %bb.1959:
	s_mov_b32 s7, exec_lo
                                        ; implicit-def: $vgpr3
	v_cmpx_lt_u32_e32 0x387fffff, v6
	s_xor_b32 s7, exec_lo, s7
; %bb.1960:
	v_bfe_u32 v3, v2, 21, 1
	s_delay_alu instid0(VALU_DEP_1) | instskip(NEXT) | instid1(VALU_DEP_1)
	v_add3_u32 v3, v2, v3, 0x80fffff
	v_lshrrev_b32_e32 v3, 21, v3
; %bb.1961:
	s_and_not1_saveexec_b32 s7, s7
; %bb.1962:
	v_add_f32_e64 v3, 0x43000000, |v2|
; %bb.1963:
	s_or_b32 exec_lo, exec_lo, s7
                                        ; implicit-def: $vgpr6
.LBB9_1964:
	s_and_not1_saveexec_b32 s3, s3
; %bb.1965:
	v_mov_b32_e32 v3, 0x7f
	v_cmp_lt_u32_e32 vcc_lo, 0x7f800000, v6
	s_delay_alu instid0(VALU_DEP_2)
	v_cndmask_b32_e32 v3, 0x7c, v3, vcc_lo
; %bb.1966:
	s_or_b32 exec_lo, exec_lo, s3
	v_lshrrev_b32_e32 v2, 24, v2
	s_delay_alu instid0(VALU_DEP_1)
	v_and_or_b32 v2, 0x80, v2, v3
	global_store_b8 v[0:1], v2, off
.LBB9_1967:
	s_mov_b32 s3, 0
	s_mov_b32 s7, -1
.LBB9_1968:
	s_and_not1_b32 vcc_lo, exec_lo, s3
	s_mov_b32 s3, 0
	s_cbranch_vccnz .LBB9_1975
; %bb.1969:
	s_cmp_gt_i32 s2, 14
	s_mov_b32 s3, -1
	s_cbranch_scc0 .LBB9_1973
; %bb.1970:
	s_cmp_eq_u32 s2, 15
	s_mov_b32 s0, -1
	s_cbranch_scc0 .LBB9_1972
; %bb.1971:
	s_wait_xcnt 0x0
	v_cvt_f32_f64_e32 v2, v[4:5]
	s_mov_b32 s0, 0
	s_mov_b32 s7, -1
	s_delay_alu instid0(VALU_DEP_1) | instskip(SKIP_1) | instid1(VALU_DEP_2)
	v_bfe_u32 v3, v2, 16, 1
	v_cmp_o_f32_e32 vcc_lo, v2, v2
	v_add3_u32 v3, v2, v3, 0x7fff
	s_delay_alu instid0(VALU_DEP_1) | instskip(NEXT) | instid1(VALU_DEP_1)
	v_lshrrev_b32_e32 v3, 16, v3
	v_cndmask_b32_e32 v2, 0x7fc0, v3, vcc_lo
	global_store_b16 v[0:1], v2, off
.LBB9_1972:
	s_mov_b32 s3, 0
.LBB9_1973:
	s_delay_alu instid0(SALU_CYCLE_1)
	s_and_b32 vcc_lo, exec_lo, s3
	s_mov_b32 s3, 0
	s_cbranch_vccz .LBB9_1975
; %bb.1974:
	s_cmp_lg_u32 s2, 11
	s_mov_b32 s3, -1
	s_cselect_b32 s0, -1, 0
.LBB9_1975:
	s_delay_alu instid0(SALU_CYCLE_1)
	s_and_b32 vcc_lo, exec_lo, s0
	s_cbranch_vccnz .LBB9_2225
; %bb.1976:
	s_and_not1_b32 vcc_lo, exec_lo, s3
	s_cbranch_vccnz .LBB9_1978
.LBB9_1977:
	v_cmp_neq_f64_e32 vcc_lo, 0, v[4:5]
	s_mov_b32 s7, -1
	s_wait_xcnt 0x0
	v_cndmask_b32_e64 v2, 0, 1, vcc_lo
	global_store_b8 v[0:1], v2, off
.LBB9_1978:
	s_mov_b32 s0, 0
	s_branch .LBB9_1980
.LBB9_1979:
	s_mov_b32 s0, -1
	s_mov_b32 s7, 0
.LBB9_1980:
	s_and_b32 vcc_lo, exec_lo, s0
	s_cbranch_vccz .LBB9_2019
; %bb.1981:
	s_cmp_lt_i32 s2, 5
	s_mov_b32 s0, -1
	s_cbranch_scc1 .LBB9_2002
; %bb.1982:
	s_cmp_lt_i32 s2, 8
	s_cbranch_scc1 .LBB9_1992
; %bb.1983:
	s_cmp_lt_i32 s2, 9
	s_cbranch_scc1 .LBB9_1989
; %bb.1984:
	s_cmp_gt_i32 s2, 9
	s_cbranch_scc0 .LBB9_1986
; %bb.1985:
	s_wait_xcnt 0x0
	v_mov_b32_e32 v6, 0
	s_mov_b32 s0, 0
	s_delay_alu instid0(VALU_DEP_1)
	v_mov_b32_e32 v7, v6
	global_store_b128 v[0:1], v[4:7], off
.LBB9_1986:
	s_and_not1_b32 vcc_lo, exec_lo, s0
	s_cbranch_vccnz .LBB9_1988
; %bb.1987:
	s_wait_xcnt 0x0
	v_cvt_f32_f64_e32 v2, v[4:5]
	v_mov_b32_e32 v3, 0
	global_store_b64 v[0:1], v[2:3], off
.LBB9_1988:
	s_mov_b32 s0, 0
.LBB9_1989:
	s_delay_alu instid0(SALU_CYCLE_1)
	s_and_not1_b32 vcc_lo, exec_lo, s0
	s_cbranch_vccnz .LBB9_1991
; %bb.1990:
	s_wait_xcnt 0x0
	v_and_or_b32 v2, 0x1ff, v5, v4
	v_lshrrev_b32_e32 v3, 8, v5
	v_bfe_u32 v6, v5, 20, 11
	s_delay_alu instid0(VALU_DEP_3) | instskip(NEXT) | instid1(VALU_DEP_2)
	v_cmp_ne_u32_e32 vcc_lo, 0, v2
	v_sub_nc_u32_e32 v7, 0x3f1, v6
	v_cndmask_b32_e64 v2, 0, 1, vcc_lo
	s_delay_alu instid0(VALU_DEP_1) | instskip(NEXT) | instid1(VALU_DEP_3)
	v_and_or_b32 v2, 0xffe, v3, v2
	v_med3_i32 v3, v7, 0, 13
	s_delay_alu instid0(VALU_DEP_2) | instskip(NEXT) | instid1(VALU_DEP_1)
	v_or_b32_e32 v7, 0x1000, v2
	v_lshrrev_b32_e32 v11, v3, v7
	s_delay_alu instid0(VALU_DEP_1) | instskip(NEXT) | instid1(VALU_DEP_1)
	v_lshlrev_b32_e32 v3, v3, v11
	v_cmp_ne_u32_e32 vcc_lo, v3, v7
	v_cndmask_b32_e64 v3, 0, 1, vcc_lo
	s_delay_alu instid0(VALU_DEP_1) | instskip(SKIP_1) | instid1(VALU_DEP_1)
	v_or_b32_e32 v3, v11, v3
	v_add_nc_u32_e32 v6, 0xfffffc10, v6
	v_lshl_or_b32 v7, v6, 12, v2
	v_cmp_gt_i32_e32 vcc_lo, 1, v6
	s_delay_alu instid0(VALU_DEP_2) | instskip(NEXT) | instid1(VALU_DEP_1)
	v_cndmask_b32_e32 v3, v7, v3, vcc_lo
	v_dual_lshrrev_b32 v3, 2, v3 :: v_dual_bitop2_b32 v7, 7, v3 bitop3:0x40
	s_delay_alu instid0(VALU_DEP_1) | instskip(SKIP_4) | instid1(VALU_DEP_2)
	v_cmp_lt_i32_e32 vcc_lo, 5, v7
	v_cndmask_b32_e64 v11, 0, 1, vcc_lo
	v_cmp_eq_u32_e32 vcc_lo, 3, v7
	v_cndmask_b32_e64 v7, 0, 1, vcc_lo
	v_cmp_ne_u32_e32 vcc_lo, 0, v2
	v_or_b32_e32 v7, v7, v11
	v_mov_b32_e32 v11, 0x7e00
	s_delay_alu instid0(VALU_DEP_2) | instskip(NEXT) | instid1(VALU_DEP_2)
	v_add_nc_u32_e32 v3, v3, v7
	v_cndmask_b32_e32 v2, 0x7c00, v11, vcc_lo
	v_cmp_gt_i32_e32 vcc_lo, 31, v6
	v_lshrrev_b32_e32 v7, 16, v5
	s_delay_alu instid0(VALU_DEP_4) | instskip(SKIP_1) | instid1(VALU_DEP_2)
	v_cndmask_b32_e32 v3, 0x7c00, v3, vcc_lo
	v_cmp_eq_u32_e32 vcc_lo, 0x40f, v6
	v_cndmask_b32_e32 v2, v3, v2, vcc_lo
	s_delay_alu instid0(VALU_DEP_4) | instskip(NEXT) | instid1(VALU_DEP_1)
	v_and_b32_e32 v3, 0x8000, v7
	v_bitop3_b32 v2, v3, 0xffff, v2 bitop3:0xc8
	global_store_b32 v[0:1], v2, off
.LBB9_1991:
	s_mov_b32 s0, 0
.LBB9_1992:
	s_delay_alu instid0(SALU_CYCLE_1)
	s_and_not1_b32 vcc_lo, exec_lo, s0
	s_cbranch_vccnz .LBB9_2001
; %bb.1993:
	s_cmp_lt_i32 s2, 6
	s_mov_b32 s0, -1
	s_cbranch_scc1 .LBB9_1999
; %bb.1994:
	s_cmp_gt_i32 s2, 6
	s_cbranch_scc0 .LBB9_1996
; %bb.1995:
	s_mov_b32 s0, 0
	global_store_b64 v[0:1], v[4:5], off
.LBB9_1996:
	s_and_not1_b32 vcc_lo, exec_lo, s0
	s_cbranch_vccnz .LBB9_1998
; %bb.1997:
	s_wait_xcnt 0x0
	v_cvt_f32_f64_e32 v2, v[4:5]
	global_store_b32 v[0:1], v2, off
.LBB9_1998:
	s_mov_b32 s0, 0
.LBB9_1999:
	s_delay_alu instid0(SALU_CYCLE_1)
	s_and_not1_b32 vcc_lo, exec_lo, s0
	s_cbranch_vccnz .LBB9_2001
; %bb.2000:
	s_wait_xcnt 0x0
	v_and_or_b32 v2, 0x1ff, v5, v4
	v_lshrrev_b32_e32 v3, 8, v5
	v_bfe_u32 v6, v5, 20, 11
	s_delay_alu instid0(VALU_DEP_3) | instskip(NEXT) | instid1(VALU_DEP_2)
	v_cmp_ne_u32_e32 vcc_lo, 0, v2
	v_sub_nc_u32_e32 v7, 0x3f1, v6
	v_cndmask_b32_e64 v2, 0, 1, vcc_lo
	s_delay_alu instid0(VALU_DEP_1) | instskip(NEXT) | instid1(VALU_DEP_3)
	v_and_or_b32 v2, 0xffe, v3, v2
	v_med3_i32 v3, v7, 0, 13
	s_delay_alu instid0(VALU_DEP_2) | instskip(NEXT) | instid1(VALU_DEP_1)
	v_or_b32_e32 v7, 0x1000, v2
	v_lshrrev_b32_e32 v11, v3, v7
	s_delay_alu instid0(VALU_DEP_1) | instskip(NEXT) | instid1(VALU_DEP_1)
	v_lshlrev_b32_e32 v3, v3, v11
	v_cmp_ne_u32_e32 vcc_lo, v3, v7
	v_cndmask_b32_e64 v3, 0, 1, vcc_lo
	s_delay_alu instid0(VALU_DEP_1) | instskip(SKIP_1) | instid1(VALU_DEP_1)
	v_or_b32_e32 v3, v11, v3
	v_add_nc_u32_e32 v6, 0xfffffc10, v6
	v_lshl_or_b32 v7, v6, 12, v2
	v_cmp_gt_i32_e32 vcc_lo, 1, v6
	s_delay_alu instid0(VALU_DEP_2) | instskip(NEXT) | instid1(VALU_DEP_1)
	v_cndmask_b32_e32 v3, v7, v3, vcc_lo
	v_dual_lshrrev_b32 v3, 2, v3 :: v_dual_bitop2_b32 v7, 7, v3 bitop3:0x40
	s_delay_alu instid0(VALU_DEP_1) | instskip(SKIP_4) | instid1(VALU_DEP_2)
	v_cmp_lt_i32_e32 vcc_lo, 5, v7
	v_cndmask_b32_e64 v11, 0, 1, vcc_lo
	v_cmp_eq_u32_e32 vcc_lo, 3, v7
	v_cndmask_b32_e64 v7, 0, 1, vcc_lo
	v_cmp_ne_u32_e32 vcc_lo, 0, v2
	v_or_b32_e32 v7, v7, v11
	v_mov_b32_e32 v11, 0x7e00
	s_delay_alu instid0(VALU_DEP_2) | instskip(NEXT) | instid1(VALU_DEP_2)
	v_add_nc_u32_e32 v3, v3, v7
	v_cndmask_b32_e32 v2, 0x7c00, v11, vcc_lo
	v_cmp_gt_i32_e32 vcc_lo, 31, v6
	s_delay_alu instid0(VALU_DEP_3) | instskip(SKIP_1) | instid1(VALU_DEP_2)
	v_cndmask_b32_e32 v3, 0x7c00, v3, vcc_lo
	v_cmp_eq_u32_e32 vcc_lo, 0x40f, v6
	v_dual_cndmask_b32 v2, v3, v2 :: v_dual_lshrrev_b32 v3, 16, v5
	s_delay_alu instid0(VALU_DEP_1)
	v_and_or_b32 v2, 0x8000, v3, v2
	global_store_b16 v[0:1], v2, off
.LBB9_2001:
	s_mov_b32 s0, 0
.LBB9_2002:
	s_delay_alu instid0(SALU_CYCLE_1)
	s_and_not1_b32 vcc_lo, exec_lo, s0
	s_cbranch_vccnz .LBB9_2018
; %bb.2003:
	s_cmp_lt_i32 s2, 2
	s_mov_b32 s0, -1
	s_cbranch_scc1 .LBB9_2013
; %bb.2004:
	s_cmp_lt_i32 s2, 3
	s_cbranch_scc1 .LBB9_2010
; %bb.2005:
	s_cmp_gt_i32 s2, 3
	s_cbranch_scc0 .LBB9_2007
; %bb.2006:
	s_wait_xcnt 0x0
	v_trunc_f64_e32 v[2:3], v[4:5]
	s_mov_b32 s0, 0
	s_delay_alu instid0(VALU_DEP_1) | instskip(NEXT) | instid1(VALU_DEP_1)
	v_ldexp_f64 v[6:7], v[2:3], 0xffffffe0
	v_floor_f64_e32 v[6:7], v[6:7]
	s_delay_alu instid0(VALU_DEP_1) | instskip(SKIP_1) | instid1(VALU_DEP_2)
	v_fmamk_f64 v[2:3], v[6:7], 0xc1f00000, v[2:3]
	v_cvt_i32_f64_e32 v7, v[6:7]
	v_cvt_u32_f64_e32 v6, v[2:3]
	global_store_b64 v[0:1], v[6:7], off
.LBB9_2007:
	s_and_not1_b32 vcc_lo, exec_lo, s0
	s_cbranch_vccnz .LBB9_2009
; %bb.2008:
	s_wait_xcnt 0x0
	v_cvt_i32_f64_e32 v2, v[4:5]
	global_store_b32 v[0:1], v2, off
.LBB9_2009:
	s_mov_b32 s0, 0
.LBB9_2010:
	s_delay_alu instid0(SALU_CYCLE_1)
	s_and_not1_b32 vcc_lo, exec_lo, s0
	s_cbranch_vccnz .LBB9_2012
; %bb.2011:
	s_wait_xcnt 0x0
	v_cvt_i32_f64_e32 v2, v[4:5]
	global_store_b16 v[0:1], v2, off
.LBB9_2012:
	s_mov_b32 s0, 0
.LBB9_2013:
	s_delay_alu instid0(SALU_CYCLE_1)
	s_and_not1_b32 vcc_lo, exec_lo, s0
	s_cbranch_vccnz .LBB9_2018
; %bb.2014:
	s_cmp_gt_i32 s2, 0
	s_mov_b32 s0, -1
	s_cbranch_scc0 .LBB9_2016
; %bb.2015:
	s_wait_xcnt 0x0
	v_cvt_i32_f64_e32 v2, v[4:5]
	s_mov_b32 s0, 0
	global_store_b8 v[0:1], v2, off
.LBB9_2016:
	s_and_not1_b32 vcc_lo, exec_lo, s0
	s_cbranch_vccnz .LBB9_2018
; %bb.2017:
	s_wait_xcnt 0x0
	v_trunc_f64_e32 v[2:3], v[4:5]
	s_delay_alu instid0(VALU_DEP_1) | instskip(NEXT) | instid1(VALU_DEP_1)
	v_ldexp_f64 v[4:5], v[2:3], 0xffffffe0
	v_floor_f64_e32 v[4:5], v[4:5]
	s_delay_alu instid0(VALU_DEP_1) | instskip(NEXT) | instid1(VALU_DEP_1)
	v_fmamk_f64 v[2:3], v[4:5], 0xc1f00000, v[2:3]
	v_cvt_u32_f64_e32 v2, v[2:3]
	global_store_b8 v[0:1], v2, off
.LBB9_2018:
	s_mov_b32 s7, -1
.LBB9_2019:
	s_delay_alu instid0(SALU_CYCLE_1)
	s_and_not1_b32 vcc_lo, exec_lo, s7
	s_cbranch_vccnz .LBB9_2215
; %bb.2020:
	v_mov_b32_e32 v11, 0
	s_cmp_lt_i32 s2, 11
	s_wait_xcnt 0x0
	s_delay_alu instid0(VALU_DEP_1)
	v_add_nc_u64_e32 v[0:1], s[4:5], v[10:11]
	s_cbranch_scc1 .LBB9_2098
; %bb.2021:
	s_mov_b32 s10, -1
	s_mov_b32 s3, 0
	s_cmp_gt_i32 s2, 25
	s_mov_b32 s7, 0
	s_mov_b32 s0, 0
	s_cbranch_scc0 .LBB9_2054
; %bb.2022:
	s_cmp_gt_i32 s2, 28
	s_cbranch_scc0 .LBB9_2037
; %bb.2023:
	s_cmp_gt_i32 s2, 43
	;; [unrolled: 3-line block ×3, first 2 shown]
	s_cbranch_scc0 .LBB9_2027
; %bb.2025:
	s_mov_b32 s0, -1
	s_mov_b32 s10, 0
	s_cmp_eq_u32 s2, 46
	s_cbranch_scc0 .LBB9_2027
; %bb.2026:
	v_cvt_f32_f64_e32 v2, v[8:9]
	s_mov_b32 s0, 0
	s_mov_b32 s7, -1
	s_delay_alu instid0(VALU_DEP_1) | instskip(SKIP_1) | instid1(VALU_DEP_2)
	v_bfe_u32 v3, v2, 16, 1
	v_cmp_o_f32_e32 vcc_lo, v2, v2
	v_add3_u32 v3, v2, v3, 0x7fff
	s_delay_alu instid0(VALU_DEP_1) | instskip(NEXT) | instid1(VALU_DEP_1)
	v_lshrrev_b32_e32 v3, 16, v3
	v_cndmask_b32_e32 v2, 0x7fc0, v3, vcc_lo
	global_store_b32 v[0:1], v2, off
.LBB9_2027:
	s_and_b32 vcc_lo, exec_lo, s10
	s_cbranch_vccz .LBB9_2032
; %bb.2028:
	s_cmp_eq_u32 s2, 44
	s_mov_b32 s0, -1
	s_cbranch_scc0 .LBB9_2032
; %bb.2029:
	s_wait_xcnt 0x0
	v_cvt_f32_f64_e32 v2, v[8:9]
	v_mov_b32_e32 v3, 0xff
	s_mov_b32 s7, exec_lo
	s_delay_alu instid0(VALU_DEP_2) | instskip(NEXT) | instid1(VALU_DEP_1)
	v_bfe_u32 v4, v2, 23, 8
	v_cmpx_ne_u32_e32 0xff, v4
	s_cbranch_execz .LBB9_2031
; %bb.2030:
	v_and_b32_e32 v3, 0x400000, v2
	v_and_or_b32 v4, 0x3fffff, v2, v4
	v_lshrrev_b32_e32 v2, 23, v2
	s_delay_alu instid0(VALU_DEP_3) | instskip(NEXT) | instid1(VALU_DEP_3)
	v_cmp_ne_u32_e32 vcc_lo, 0, v3
	v_cmp_ne_u32_e64 s0, 0, v4
	s_and_b32 s0, vcc_lo, s0
	s_delay_alu instid0(SALU_CYCLE_1) | instskip(NEXT) | instid1(VALU_DEP_1)
	v_cndmask_b32_e64 v3, 0, 1, s0
	v_add_nc_u32_e32 v3, v2, v3
.LBB9_2031:
	s_or_b32 exec_lo, exec_lo, s7
	s_mov_b32 s0, 0
	s_mov_b32 s7, -1
	global_store_b8 v[0:1], v3, off
.LBB9_2032:
	s_mov_b32 s10, 0
.LBB9_2033:
	s_delay_alu instid0(SALU_CYCLE_1)
	s_and_b32 vcc_lo, exec_lo, s10
	s_cbranch_vccz .LBB9_2036
; %bb.2034:
	s_cmp_eq_u32 s2, 29
	s_mov_b32 s0, -1
	s_cbranch_scc0 .LBB9_2036
; %bb.2035:
	s_wait_xcnt 0x0
	v_trunc_f64_e32 v[2:3], v[8:9]
	s_mov_b32 s0, 0
	s_mov_b32 s7, -1
	s_delay_alu instid0(VALU_DEP_1) | instskip(NEXT) | instid1(VALU_DEP_1)
	v_ldexp_f64 v[4:5], v[2:3], 0xffffffe0
	v_floor_f64_e32 v[4:5], v[4:5]
	s_delay_alu instid0(VALU_DEP_1) | instskip(SKIP_1) | instid1(VALU_DEP_2)
	v_fmamk_f64 v[2:3], v[4:5], 0xc1f00000, v[2:3]
	v_cvt_u32_f64_e32 v5, v[4:5]
	v_cvt_u32_f64_e32 v4, v[2:3]
	global_store_b64 v[0:1], v[4:5], off
.LBB9_2036:
	s_mov_b32 s10, 0
.LBB9_2037:
	s_delay_alu instid0(SALU_CYCLE_1)
	s_and_b32 vcc_lo, exec_lo, s10
	s_cbranch_vccz .LBB9_2053
; %bb.2038:
	s_cmp_lt_i32 s2, 27
	s_mov_b32 s7, -1
	s_cbranch_scc1 .LBB9_2044
; %bb.2039:
	s_wait_xcnt 0x0
	v_cvt_u32_f64_e32 v2, v[8:9]
	s_cmp_gt_i32 s2, 27
	s_cbranch_scc0 .LBB9_2041
; %bb.2040:
	s_mov_b32 s7, 0
	global_store_b32 v[0:1], v2, off
.LBB9_2041:
	s_and_not1_b32 vcc_lo, exec_lo, s7
	s_cbranch_vccnz .LBB9_2043
; %bb.2042:
	global_store_b16 v[0:1], v2, off
.LBB9_2043:
	s_mov_b32 s7, 0
.LBB9_2044:
	s_delay_alu instid0(SALU_CYCLE_1)
	s_and_not1_b32 vcc_lo, exec_lo, s7
	s_cbranch_vccnz .LBB9_2052
; %bb.2045:
	s_wait_xcnt 0x0
	v_cvt_f32_f64_e32 v2, v[8:9]
	v_mov_b32_e32 v4, 0x80
	s_mov_b32 s7, exec_lo
	s_delay_alu instid0(VALU_DEP_2) | instskip(NEXT) | instid1(VALU_DEP_1)
	v_and_b32_e32 v3, 0x7fffffff, v2
	v_cmpx_gt_u32_e32 0x43800000, v3
	s_cbranch_execz .LBB9_2051
; %bb.2046:
	v_cmp_lt_u32_e32 vcc_lo, 0x3bffffff, v3
	s_mov_b32 s10, 0
                                        ; implicit-def: $vgpr3
	s_and_saveexec_b32 s11, vcc_lo
	s_delay_alu instid0(SALU_CYCLE_1)
	s_xor_b32 s11, exec_lo, s11
	s_cbranch_execz .LBB9_2228
; %bb.2047:
	v_bfe_u32 v3, v2, 20, 1
	s_mov_b32 s10, exec_lo
	s_delay_alu instid0(VALU_DEP_1) | instskip(NEXT) | instid1(VALU_DEP_1)
	v_add3_u32 v3, v2, v3, 0x487ffff
	v_lshrrev_b32_e32 v3, 20, v3
	s_and_not1_saveexec_b32 s11, s11
	s_cbranch_execnz .LBB9_2229
.LBB9_2048:
	s_or_b32 exec_lo, exec_lo, s11
	v_mov_b32_e32 v4, 0
	s_and_saveexec_b32 s11, s10
.LBB9_2049:
	v_lshrrev_b32_e32 v2, 24, v2
	s_delay_alu instid0(VALU_DEP_1)
	v_and_or_b32 v4, 0x80, v2, v3
.LBB9_2050:
	s_or_b32 exec_lo, exec_lo, s11
.LBB9_2051:
	s_delay_alu instid0(SALU_CYCLE_1)
	s_or_b32 exec_lo, exec_lo, s7
	global_store_b8 v[0:1], v4, off
.LBB9_2052:
	s_mov_b32 s7, -1
.LBB9_2053:
	s_mov_b32 s10, 0
.LBB9_2054:
	s_delay_alu instid0(SALU_CYCLE_1)
	s_and_b32 vcc_lo, exec_lo, s10
	s_cbranch_vccz .LBB9_2094
; %bb.2055:
	s_cmp_gt_i32 s2, 22
	s_mov_b32 s3, -1
	s_cbranch_scc0 .LBB9_2087
; %bb.2056:
	s_cmp_lt_i32 s2, 24
	s_cbranch_scc1 .LBB9_2076
; %bb.2057:
	s_cmp_gt_i32 s2, 24
	s_cbranch_scc0 .LBB9_2065
; %bb.2058:
	s_wait_xcnt 0x0
	v_cvt_f32_f64_e32 v2, v[8:9]
	v_mov_b32_e32 v4, 0x80
	s_mov_b32 s3, exec_lo
	s_delay_alu instid0(VALU_DEP_2) | instskip(NEXT) | instid1(VALU_DEP_1)
	v_and_b32_e32 v3, 0x7fffffff, v2
	v_cmpx_gt_u32_e32 0x47800000, v3
	s_cbranch_execz .LBB9_2064
; %bb.2059:
	v_cmp_lt_u32_e32 vcc_lo, 0x37ffffff, v3
	s_mov_b32 s7, 0
                                        ; implicit-def: $vgpr3
	s_and_saveexec_b32 s10, vcc_lo
	s_delay_alu instid0(SALU_CYCLE_1)
	s_xor_b32 s10, exec_lo, s10
	s_cbranch_execz .LBB9_2231
; %bb.2060:
	v_bfe_u32 v3, v2, 21, 1
	s_mov_b32 s7, exec_lo
	s_delay_alu instid0(VALU_DEP_1) | instskip(NEXT) | instid1(VALU_DEP_1)
	v_add3_u32 v3, v2, v3, 0x88fffff
	v_lshrrev_b32_e32 v3, 21, v3
	s_and_not1_saveexec_b32 s10, s10
	s_cbranch_execnz .LBB9_2232
.LBB9_2061:
	s_or_b32 exec_lo, exec_lo, s10
	v_mov_b32_e32 v4, 0
	s_and_saveexec_b32 s10, s7
.LBB9_2062:
	v_lshrrev_b32_e32 v2, 24, v2
	s_delay_alu instid0(VALU_DEP_1)
	v_and_or_b32 v4, 0x80, v2, v3
.LBB9_2063:
	s_or_b32 exec_lo, exec_lo, s10
.LBB9_2064:
	s_delay_alu instid0(SALU_CYCLE_1)
	s_or_b32 exec_lo, exec_lo, s3
	s_mov_b32 s3, 0
	global_store_b8 v[0:1], v4, off
.LBB9_2065:
	s_and_b32 vcc_lo, exec_lo, s3
	s_cbranch_vccz .LBB9_2075
; %bb.2066:
	s_wait_xcnt 0x0
	v_cvt_f32_f64_e32 v2, v[8:9]
	s_mov_b32 s3, exec_lo
                                        ; implicit-def: $vgpr3
	s_delay_alu instid0(VALU_DEP_1) | instskip(NEXT) | instid1(VALU_DEP_1)
	v_and_b32_e32 v4, 0x7fffffff, v2
	v_cmpx_gt_u32_e32 0x43f00000, v4
	s_xor_b32 s3, exec_lo, s3
	s_cbranch_execz .LBB9_2072
; %bb.2067:
	s_mov_b32 s7, exec_lo
                                        ; implicit-def: $vgpr3
	v_cmpx_lt_u32_e32 0x3c7fffff, v4
	s_xor_b32 s7, exec_lo, s7
; %bb.2068:
	v_bfe_u32 v3, v2, 20, 1
	s_delay_alu instid0(VALU_DEP_1) | instskip(NEXT) | instid1(VALU_DEP_1)
	v_add3_u32 v3, v2, v3, 0x407ffff
	v_and_b32_e32 v4, 0xff00000, v3
	v_lshrrev_b32_e32 v3, 20, v3
	s_delay_alu instid0(VALU_DEP_2) | instskip(NEXT) | instid1(VALU_DEP_2)
	v_cmp_ne_u32_e32 vcc_lo, 0x7f00000, v4
	v_cndmask_b32_e32 v3, 0x7e, v3, vcc_lo
; %bb.2069:
	s_and_not1_saveexec_b32 s7, s7
; %bb.2070:
	v_add_f32_e64 v3, 0x46800000, |v2|
; %bb.2071:
	s_or_b32 exec_lo, exec_lo, s7
                                        ; implicit-def: $vgpr4
.LBB9_2072:
	s_and_not1_saveexec_b32 s3, s3
; %bb.2073:
	v_mov_b32_e32 v3, 0x7f
	v_cmp_lt_u32_e32 vcc_lo, 0x7f800000, v4
	s_delay_alu instid0(VALU_DEP_2)
	v_cndmask_b32_e32 v3, 0x7e, v3, vcc_lo
; %bb.2074:
	s_or_b32 exec_lo, exec_lo, s3
	v_lshrrev_b32_e32 v2, 24, v2
	s_delay_alu instid0(VALU_DEP_1)
	v_and_or_b32 v2, 0x80, v2, v3
	global_store_b8 v[0:1], v2, off
.LBB9_2075:
	s_mov_b32 s3, 0
.LBB9_2076:
	s_delay_alu instid0(SALU_CYCLE_1)
	s_and_not1_b32 vcc_lo, exec_lo, s3
	s_cbranch_vccnz .LBB9_2086
; %bb.2077:
	s_wait_xcnt 0x0
	v_cvt_f32_f64_e32 v2, v[8:9]
	s_mov_b32 s3, exec_lo
                                        ; implicit-def: $vgpr3
	s_delay_alu instid0(VALU_DEP_1) | instskip(NEXT) | instid1(VALU_DEP_1)
	v_and_b32_e32 v4, 0x7fffffff, v2
	v_cmpx_gt_u32_e32 0x47800000, v4
	s_xor_b32 s3, exec_lo, s3
	s_cbranch_execz .LBB9_2083
; %bb.2078:
	s_mov_b32 s7, exec_lo
                                        ; implicit-def: $vgpr3
	v_cmpx_lt_u32_e32 0x387fffff, v4
	s_xor_b32 s7, exec_lo, s7
; %bb.2079:
	v_bfe_u32 v3, v2, 21, 1
	s_delay_alu instid0(VALU_DEP_1) | instskip(NEXT) | instid1(VALU_DEP_1)
	v_add3_u32 v3, v2, v3, 0x80fffff
	v_lshrrev_b32_e32 v3, 21, v3
; %bb.2080:
	s_and_not1_saveexec_b32 s7, s7
; %bb.2081:
	v_add_f32_e64 v3, 0x43000000, |v2|
; %bb.2082:
	s_or_b32 exec_lo, exec_lo, s7
                                        ; implicit-def: $vgpr4
.LBB9_2083:
	s_and_not1_saveexec_b32 s3, s3
; %bb.2084:
	v_mov_b32_e32 v3, 0x7f
	v_cmp_lt_u32_e32 vcc_lo, 0x7f800000, v4
	s_delay_alu instid0(VALU_DEP_2)
	v_cndmask_b32_e32 v3, 0x7c, v3, vcc_lo
; %bb.2085:
	s_or_b32 exec_lo, exec_lo, s3
	v_lshrrev_b32_e32 v2, 24, v2
	s_delay_alu instid0(VALU_DEP_1)
	v_and_or_b32 v2, 0x80, v2, v3
	global_store_b8 v[0:1], v2, off
.LBB9_2086:
	s_mov_b32 s3, 0
	s_mov_b32 s7, -1
.LBB9_2087:
	s_and_not1_b32 vcc_lo, exec_lo, s3
	s_mov_b32 s3, 0
	s_cbranch_vccnz .LBB9_2094
; %bb.2088:
	s_cmp_gt_i32 s2, 14
	s_mov_b32 s3, -1
	s_cbranch_scc0 .LBB9_2092
; %bb.2089:
	s_cmp_eq_u32 s2, 15
	s_mov_b32 s0, -1
	s_cbranch_scc0 .LBB9_2091
; %bb.2090:
	s_wait_xcnt 0x0
	v_cvt_f32_f64_e32 v2, v[8:9]
	s_mov_b32 s0, 0
	s_mov_b32 s7, -1
	s_delay_alu instid0(VALU_DEP_1) | instskip(SKIP_1) | instid1(VALU_DEP_2)
	v_bfe_u32 v3, v2, 16, 1
	v_cmp_o_f32_e32 vcc_lo, v2, v2
	v_add3_u32 v3, v2, v3, 0x7fff
	s_delay_alu instid0(VALU_DEP_1) | instskip(NEXT) | instid1(VALU_DEP_1)
	v_lshrrev_b32_e32 v3, 16, v3
	v_cndmask_b32_e32 v2, 0x7fc0, v3, vcc_lo
	global_store_b16 v[0:1], v2, off
.LBB9_2091:
	s_mov_b32 s3, 0
.LBB9_2092:
	s_delay_alu instid0(SALU_CYCLE_1)
	s_and_b32 vcc_lo, exec_lo, s3
	s_mov_b32 s3, 0
	s_cbranch_vccz .LBB9_2094
; %bb.2093:
	s_cmp_lg_u32 s2, 11
	s_mov_b32 s3, -1
	s_cselect_b32 s0, -1, 0
.LBB9_2094:
	s_delay_alu instid0(SALU_CYCLE_1)
	s_and_b32 vcc_lo, exec_lo, s0
	s_cbranch_vccnz .LBB9_2230
; %bb.2095:
	s_and_not1_b32 vcc_lo, exec_lo, s3
	s_cbranch_vccnz .LBB9_2097
.LBB9_2096:
	v_cmp_neq_f64_e32 vcc_lo, 0, v[8:9]
	s_mov_b32 s7, -1
	s_wait_xcnt 0x0
	v_cndmask_b32_e64 v2, 0, 1, vcc_lo
	global_store_b8 v[0:1], v2, off
.LBB9_2097:
	s_mov_b32 s0, 0
	s_branch .LBB9_2099
.LBB9_2098:
	s_mov_b32 s0, -1
	s_mov_b32 s7, 0
.LBB9_2099:
	s_and_b32 vcc_lo, exec_lo, s0
	s_cbranch_vccz .LBB9_2138
; %bb.2100:
	s_cmp_lt_i32 s2, 5
	s_mov_b32 s0, -1
	s_cbranch_scc1 .LBB9_2121
; %bb.2101:
	s_cmp_lt_i32 s2, 8
	s_cbranch_scc1 .LBB9_2111
; %bb.2102:
	s_cmp_lt_i32 s2, 9
	s_cbranch_scc1 .LBB9_2108
; %bb.2103:
	s_cmp_gt_i32 s2, 9
	s_cbranch_scc0 .LBB9_2105
; %bb.2104:
	v_mov_b32_e32 v10, 0
	s_mov_b32 s0, 0
	s_delay_alu instid0(VALU_DEP_1)
	v_mov_b32_e32 v11, v10
	global_store_b128 v[0:1], v[8:11], off
.LBB9_2105:
	s_and_not1_b32 vcc_lo, exec_lo, s0
	s_cbranch_vccnz .LBB9_2107
; %bb.2106:
	s_wait_xcnt 0x0
	v_cvt_f32_f64_e32 v2, v[8:9]
	v_mov_b32_e32 v3, 0
	global_store_b64 v[0:1], v[2:3], off
.LBB9_2107:
	s_mov_b32 s0, 0
.LBB9_2108:
	s_delay_alu instid0(SALU_CYCLE_1)
	s_and_not1_b32 vcc_lo, exec_lo, s0
	s_cbranch_vccnz .LBB9_2110
; %bb.2109:
	s_wait_xcnt 0x0
	v_and_or_b32 v2, 0x1ff, v9, v8
	v_lshrrev_b32_e32 v3, 8, v9
	v_bfe_u32 v4, v9, 20, 11
	s_delay_alu instid0(VALU_DEP_3) | instskip(NEXT) | instid1(VALU_DEP_2)
	v_cmp_ne_u32_e32 vcc_lo, 0, v2
	v_sub_nc_u32_e32 v5, 0x3f1, v4
	v_add_nc_u32_e32 v4, 0xfffffc10, v4
	v_cndmask_b32_e64 v2, 0, 1, vcc_lo
	s_delay_alu instid0(VALU_DEP_1) | instskip(NEXT) | instid1(VALU_DEP_4)
	v_and_or_b32 v2, 0xffe, v3, v2
	v_med3_i32 v3, v5, 0, 13
	s_delay_alu instid0(VALU_DEP_2) | instskip(NEXT) | instid1(VALU_DEP_1)
	v_or_b32_e32 v5, 0x1000, v2
	v_lshrrev_b32_e32 v6, v3, v5
	s_delay_alu instid0(VALU_DEP_1) | instskip(NEXT) | instid1(VALU_DEP_1)
	v_lshlrev_b32_e32 v3, v3, v6
	v_cmp_ne_u32_e32 vcc_lo, v3, v5
	v_lshl_or_b32 v5, v4, 12, v2
	v_cndmask_b32_e64 v3, 0, 1, vcc_lo
	v_cmp_gt_i32_e32 vcc_lo, 1, v4
	s_delay_alu instid0(VALU_DEP_2) | instskip(NEXT) | instid1(VALU_DEP_1)
	v_or_b32_e32 v3, v6, v3
	v_cndmask_b32_e32 v3, v5, v3, vcc_lo
	s_delay_alu instid0(VALU_DEP_1) | instskip(NEXT) | instid1(VALU_DEP_1)
	v_dual_lshrrev_b32 v3, 2, v3 :: v_dual_bitop2_b32 v5, 7, v3 bitop3:0x40
	v_cmp_lt_i32_e32 vcc_lo, 5, v5
	v_cndmask_b32_e64 v6, 0, 1, vcc_lo
	v_cmp_eq_u32_e32 vcc_lo, 3, v5
	v_cndmask_b32_e64 v5, 0, 1, vcc_lo
	v_cmp_ne_u32_e32 vcc_lo, 0, v2
	s_delay_alu instid0(VALU_DEP_2) | instskip(NEXT) | instid1(VALU_DEP_1)
	v_or_b32_e32 v5, v5, v6
	v_dual_mov_b32 v6, 0x7e00 :: v_dual_add_nc_u32 v3, v3, v5
	s_delay_alu instid0(VALU_DEP_1) | instskip(SKIP_2) | instid1(VALU_DEP_4)
	v_cndmask_b32_e32 v2, 0x7c00, v6, vcc_lo
	v_cmp_gt_i32_e32 vcc_lo, 31, v4
	v_lshrrev_b32_e32 v5, 16, v9
	v_cndmask_b32_e32 v3, 0x7c00, v3, vcc_lo
	v_cmp_eq_u32_e32 vcc_lo, 0x40f, v4
	s_delay_alu instid0(VALU_DEP_2) | instskip(NEXT) | instid1(VALU_DEP_4)
	v_cndmask_b32_e32 v2, v3, v2, vcc_lo
	v_and_b32_e32 v3, 0x8000, v5
	s_delay_alu instid0(VALU_DEP_1)
	v_bitop3_b32 v2, v3, 0xffff, v2 bitop3:0xc8
	global_store_b32 v[0:1], v2, off
.LBB9_2110:
	s_mov_b32 s0, 0
.LBB9_2111:
	s_delay_alu instid0(SALU_CYCLE_1)
	s_and_not1_b32 vcc_lo, exec_lo, s0
	s_cbranch_vccnz .LBB9_2120
; %bb.2112:
	s_cmp_lt_i32 s2, 6
	s_mov_b32 s0, -1
	s_cbranch_scc1 .LBB9_2118
; %bb.2113:
	s_cmp_gt_i32 s2, 6
	s_cbranch_scc0 .LBB9_2115
; %bb.2114:
	s_mov_b32 s0, 0
	global_store_b64 v[0:1], v[8:9], off
.LBB9_2115:
	s_and_not1_b32 vcc_lo, exec_lo, s0
	s_cbranch_vccnz .LBB9_2117
; %bb.2116:
	s_wait_xcnt 0x0
	v_cvt_f32_f64_e32 v2, v[8:9]
	global_store_b32 v[0:1], v2, off
.LBB9_2117:
	s_mov_b32 s0, 0
.LBB9_2118:
	s_delay_alu instid0(SALU_CYCLE_1)
	s_and_not1_b32 vcc_lo, exec_lo, s0
	s_cbranch_vccnz .LBB9_2120
; %bb.2119:
	s_wait_xcnt 0x0
	v_and_or_b32 v2, 0x1ff, v9, v8
	v_lshrrev_b32_e32 v3, 8, v9
	v_bfe_u32 v4, v9, 20, 11
	s_delay_alu instid0(VALU_DEP_3) | instskip(NEXT) | instid1(VALU_DEP_2)
	v_cmp_ne_u32_e32 vcc_lo, 0, v2
	v_sub_nc_u32_e32 v5, 0x3f1, v4
	v_add_nc_u32_e32 v4, 0xfffffc10, v4
	v_cndmask_b32_e64 v2, 0, 1, vcc_lo
	s_delay_alu instid0(VALU_DEP_1) | instskip(NEXT) | instid1(VALU_DEP_4)
	v_and_or_b32 v2, 0xffe, v3, v2
	v_med3_i32 v3, v5, 0, 13
	s_delay_alu instid0(VALU_DEP_2) | instskip(NEXT) | instid1(VALU_DEP_1)
	v_or_b32_e32 v5, 0x1000, v2
	v_lshrrev_b32_e32 v6, v3, v5
	s_delay_alu instid0(VALU_DEP_1) | instskip(NEXT) | instid1(VALU_DEP_1)
	v_lshlrev_b32_e32 v3, v3, v6
	v_cmp_ne_u32_e32 vcc_lo, v3, v5
	v_lshl_or_b32 v5, v4, 12, v2
	v_cndmask_b32_e64 v3, 0, 1, vcc_lo
	v_cmp_gt_i32_e32 vcc_lo, 1, v4
	s_delay_alu instid0(VALU_DEP_2) | instskip(NEXT) | instid1(VALU_DEP_1)
	v_or_b32_e32 v3, v6, v3
	v_cndmask_b32_e32 v3, v5, v3, vcc_lo
	s_delay_alu instid0(VALU_DEP_1) | instskip(NEXT) | instid1(VALU_DEP_1)
	v_dual_lshrrev_b32 v3, 2, v3 :: v_dual_bitop2_b32 v5, 7, v3 bitop3:0x40
	v_cmp_lt_i32_e32 vcc_lo, 5, v5
	v_cndmask_b32_e64 v6, 0, 1, vcc_lo
	v_cmp_eq_u32_e32 vcc_lo, 3, v5
	v_cndmask_b32_e64 v5, 0, 1, vcc_lo
	v_cmp_ne_u32_e32 vcc_lo, 0, v2
	s_delay_alu instid0(VALU_DEP_2) | instskip(NEXT) | instid1(VALU_DEP_1)
	v_or_b32_e32 v5, v5, v6
	v_dual_mov_b32 v6, 0x7e00 :: v_dual_add_nc_u32 v3, v3, v5
	s_delay_alu instid0(VALU_DEP_1) | instskip(SKIP_1) | instid1(VALU_DEP_3)
	v_cndmask_b32_e32 v2, 0x7c00, v6, vcc_lo
	v_cmp_gt_i32_e32 vcc_lo, 31, v4
	v_cndmask_b32_e32 v3, 0x7c00, v3, vcc_lo
	v_cmp_eq_u32_e32 vcc_lo, 0x40f, v4
	s_delay_alu instid0(VALU_DEP_2) | instskip(NEXT) | instid1(VALU_DEP_1)
	v_dual_cndmask_b32 v2, v3, v2 :: v_dual_lshrrev_b32 v3, 16, v9
	v_and_or_b32 v2, 0x8000, v3, v2
	global_store_b16 v[0:1], v2, off
.LBB9_2120:
	s_mov_b32 s0, 0
.LBB9_2121:
	s_delay_alu instid0(SALU_CYCLE_1)
	s_and_not1_b32 vcc_lo, exec_lo, s0
	s_cbranch_vccnz .LBB9_2137
; %bb.2122:
	s_cmp_lt_i32 s2, 2
	s_mov_b32 s0, -1
	s_cbranch_scc1 .LBB9_2132
; %bb.2123:
	s_cmp_lt_i32 s2, 3
	s_cbranch_scc1 .LBB9_2129
; %bb.2124:
	s_cmp_gt_i32 s2, 3
	s_cbranch_scc0 .LBB9_2126
; %bb.2125:
	s_wait_xcnt 0x0
	v_trunc_f64_e32 v[2:3], v[8:9]
	s_mov_b32 s0, 0
	s_delay_alu instid0(VALU_DEP_1) | instskip(NEXT) | instid1(VALU_DEP_1)
	v_ldexp_f64 v[4:5], v[2:3], 0xffffffe0
	v_floor_f64_e32 v[4:5], v[4:5]
	s_delay_alu instid0(VALU_DEP_1) | instskip(SKIP_1) | instid1(VALU_DEP_2)
	v_fmamk_f64 v[2:3], v[4:5], 0xc1f00000, v[2:3]
	v_cvt_i32_f64_e32 v5, v[4:5]
	v_cvt_u32_f64_e32 v4, v[2:3]
	global_store_b64 v[0:1], v[4:5], off
.LBB9_2126:
	s_and_not1_b32 vcc_lo, exec_lo, s0
	s_cbranch_vccnz .LBB9_2128
; %bb.2127:
	s_wait_xcnt 0x0
	v_cvt_i32_f64_e32 v2, v[8:9]
	global_store_b32 v[0:1], v2, off
.LBB9_2128:
	s_mov_b32 s0, 0
.LBB9_2129:
	s_delay_alu instid0(SALU_CYCLE_1)
	s_and_not1_b32 vcc_lo, exec_lo, s0
	s_cbranch_vccnz .LBB9_2131
; %bb.2130:
	s_wait_xcnt 0x0
	v_cvt_i32_f64_e32 v2, v[8:9]
	global_store_b16 v[0:1], v2, off
.LBB9_2131:
	s_mov_b32 s0, 0
.LBB9_2132:
	s_delay_alu instid0(SALU_CYCLE_1)
	s_and_not1_b32 vcc_lo, exec_lo, s0
	s_cbranch_vccnz .LBB9_2137
; %bb.2133:
	s_cmp_gt_i32 s2, 0
	s_mov_b32 s0, -1
	s_cbranch_scc0 .LBB9_2135
; %bb.2134:
	s_wait_xcnt 0x0
	v_cvt_i32_f64_e32 v2, v[8:9]
	s_mov_b32 s0, 0
	global_store_b8 v[0:1], v2, off
.LBB9_2135:
	s_and_not1_b32 vcc_lo, exec_lo, s0
	s_cbranch_vccnz .LBB9_2137
; %bb.2136:
	s_wait_xcnt 0x0
	v_trunc_f64_e32 v[2:3], v[8:9]
	s_delay_alu instid0(VALU_DEP_1) | instskip(NEXT) | instid1(VALU_DEP_1)
	v_ldexp_f64 v[4:5], v[2:3], 0xffffffe0
	v_floor_f64_e32 v[4:5], v[4:5]
	s_delay_alu instid0(VALU_DEP_1) | instskip(NEXT) | instid1(VALU_DEP_1)
	v_fmamk_f64 v[2:3], v[4:5], 0xc1f00000, v[2:3]
	v_cvt_u32_f64_e32 v2, v[2:3]
	global_store_b8 v[0:1], v2, off
.LBB9_2137:
	s_mov_b32 s7, -1
.LBB9_2138:
	s_delay_alu instid0(SALU_CYCLE_1)
	s_and_not1_b32 vcc_lo, exec_lo, s7
	s_cbranch_vccnz .LBB9_2215
; %bb.2139:
	v_mov_b32_e32 v15, 0
	s_cmp_lt_i32 s2, 11
	s_wait_xcnt 0x0
	s_delay_alu instid0(VALU_DEP_1)
	v_add_nc_u64_e32 v[0:1], s[4:5], v[14:15]
	s_cbranch_scc1 .LBB9_2216
; %bb.2140:
	s_mov_b32 s4, -1
	s_mov_b32 s3, 0
	s_cmp_gt_i32 s2, 25
	s_mov_b32 s0, 0
	s_cbranch_scc0 .LBB9_2173
; %bb.2141:
	s_cmp_gt_i32 s2, 28
	s_cbranch_scc0 .LBB9_2157
; %bb.2142:
	s_cmp_gt_i32 s2, 43
	;; [unrolled: 3-line block ×3, first 2 shown]
	s_cbranch_scc0 .LBB9_2147
; %bb.2144:
	s_cmp_eq_u32 s2, 46
	s_mov_b32 s0, -1
	s_cbranch_scc0 .LBB9_2146
; %bb.2145:
	v_cvt_f32_f64_e32 v2, v[12:13]
	s_mov_b32 s0, 0
	s_delay_alu instid0(VALU_DEP_1) | instskip(SKIP_1) | instid1(VALU_DEP_2)
	v_bfe_u32 v3, v2, 16, 1
	v_cmp_o_f32_e32 vcc_lo, v2, v2
	v_add3_u32 v3, v2, v3, 0x7fff
	s_delay_alu instid0(VALU_DEP_1) | instskip(NEXT) | instid1(VALU_DEP_1)
	v_lshrrev_b32_e32 v3, 16, v3
	v_cndmask_b32_e32 v2, 0x7fc0, v3, vcc_lo
	global_store_b32 v[0:1], v2, off
.LBB9_2146:
	s_mov_b32 s4, 0
.LBB9_2147:
	s_delay_alu instid0(SALU_CYCLE_1)
	s_and_b32 vcc_lo, exec_lo, s4
	s_cbranch_vccz .LBB9_2152
; %bb.2148:
	s_cmp_eq_u32 s2, 44
	s_mov_b32 s0, -1
	s_cbranch_scc0 .LBB9_2152
; %bb.2149:
	s_wait_xcnt 0x0
	v_cvt_f32_f64_e32 v2, v[12:13]
	v_mov_b32_e32 v3, 0xff
	s_mov_b32 s4, exec_lo
	s_delay_alu instid0(VALU_DEP_2) | instskip(NEXT) | instid1(VALU_DEP_1)
	v_bfe_u32 v4, v2, 23, 8
	v_cmpx_ne_u32_e32 0xff, v4
	s_cbranch_execz .LBB9_2151
; %bb.2150:
	v_and_b32_e32 v3, 0x400000, v2
	v_and_or_b32 v4, 0x3fffff, v2, v4
	v_lshrrev_b32_e32 v2, 23, v2
	s_delay_alu instid0(VALU_DEP_3) | instskip(NEXT) | instid1(VALU_DEP_3)
	v_cmp_ne_u32_e32 vcc_lo, 0, v3
	v_cmp_ne_u32_e64 s0, 0, v4
	s_and_b32 s0, vcc_lo, s0
	s_delay_alu instid0(SALU_CYCLE_1) | instskip(NEXT) | instid1(VALU_DEP_1)
	v_cndmask_b32_e64 v3, 0, 1, s0
	v_add_nc_u32_e32 v3, v2, v3
.LBB9_2151:
	s_or_b32 exec_lo, exec_lo, s4
	s_mov_b32 s0, 0
	global_store_b8 v[0:1], v3, off
.LBB9_2152:
	s_mov_b32 s4, 0
.LBB9_2153:
	s_delay_alu instid0(SALU_CYCLE_1)
	s_and_b32 vcc_lo, exec_lo, s4
	s_cbranch_vccz .LBB9_2156
; %bb.2154:
	s_cmp_eq_u32 s2, 29
	s_mov_b32 s0, -1
	s_cbranch_scc0 .LBB9_2156
; %bb.2155:
	s_wait_xcnt 0x0
	v_trunc_f64_e32 v[2:3], v[12:13]
	s_mov_b32 s0, 0
	s_delay_alu instid0(VALU_DEP_1) | instskip(NEXT) | instid1(VALU_DEP_1)
	v_ldexp_f64 v[4:5], v[2:3], 0xffffffe0
	v_floor_f64_e32 v[4:5], v[4:5]
	s_delay_alu instid0(VALU_DEP_1) | instskip(SKIP_1) | instid1(VALU_DEP_2)
	v_fmamk_f64 v[2:3], v[4:5], 0xc1f00000, v[2:3]
	v_cvt_u32_f64_e32 v5, v[4:5]
	v_cvt_u32_f64_e32 v4, v[2:3]
	global_store_b64 v[0:1], v[4:5], off
.LBB9_2156:
	s_mov_b32 s4, 0
.LBB9_2157:
	s_delay_alu instid0(SALU_CYCLE_1)
	s_and_b32 vcc_lo, exec_lo, s4
	s_cbranch_vccz .LBB9_2172
; %bb.2158:
	s_cmp_lt_i32 s2, 27
	s_mov_b32 s4, -1
	s_cbranch_scc1 .LBB9_2164
; %bb.2159:
	s_cmp_gt_i32 s2, 27
	s_cbranch_scc0 .LBB9_2161
; %bb.2160:
	s_wait_xcnt 0x0
	v_cvt_u32_f64_e32 v2, v[12:13]
	s_mov_b32 s4, 0
	global_store_b32 v[0:1], v2, off
.LBB9_2161:
	s_and_not1_b32 vcc_lo, exec_lo, s4
	s_cbranch_vccnz .LBB9_2163
; %bb.2162:
	s_wait_xcnt 0x0
	v_cvt_u32_f64_e32 v2, v[12:13]
	global_store_b16 v[0:1], v2, off
.LBB9_2163:
	s_mov_b32 s4, 0
.LBB9_2164:
	s_delay_alu instid0(SALU_CYCLE_1)
	s_and_not1_b32 vcc_lo, exec_lo, s4
	s_cbranch_vccnz .LBB9_2172
; %bb.2165:
	s_wait_xcnt 0x0
	v_cvt_f32_f64_e32 v2, v[12:13]
	v_mov_b32_e32 v4, 0x80
	s_mov_b32 s4, exec_lo
	s_delay_alu instid0(VALU_DEP_2) | instskip(NEXT) | instid1(VALU_DEP_1)
	v_and_b32_e32 v3, 0x7fffffff, v2
	v_cmpx_gt_u32_e32 0x43800000, v3
	s_cbranch_execz .LBB9_2171
; %bb.2166:
	v_cmp_lt_u32_e32 vcc_lo, 0x3bffffff, v3
	s_mov_b32 s5, 0
                                        ; implicit-def: $vgpr3
	s_and_saveexec_b32 s7, vcc_lo
	s_delay_alu instid0(SALU_CYCLE_1)
	s_xor_b32 s7, exec_lo, s7
	s_cbranch_execz .LBB9_2233
; %bb.2167:
	v_bfe_u32 v3, v2, 20, 1
	s_mov_b32 s5, exec_lo
	s_delay_alu instid0(VALU_DEP_1) | instskip(NEXT) | instid1(VALU_DEP_1)
	v_add3_u32 v3, v2, v3, 0x487ffff
	v_lshrrev_b32_e32 v3, 20, v3
	s_and_not1_saveexec_b32 s7, s7
	s_cbranch_execnz .LBB9_2234
.LBB9_2168:
	s_or_b32 exec_lo, exec_lo, s7
	v_mov_b32_e32 v4, 0
	s_and_saveexec_b32 s7, s5
.LBB9_2169:
	v_lshrrev_b32_e32 v2, 24, v2
	s_delay_alu instid0(VALU_DEP_1)
	v_and_or_b32 v4, 0x80, v2, v3
.LBB9_2170:
	s_or_b32 exec_lo, exec_lo, s7
.LBB9_2171:
	s_delay_alu instid0(SALU_CYCLE_1)
	s_or_b32 exec_lo, exec_lo, s4
	global_store_b8 v[0:1], v4, off
.LBB9_2172:
	s_mov_b32 s4, 0
.LBB9_2173:
	s_delay_alu instid0(SALU_CYCLE_1)
	s_and_b32 vcc_lo, exec_lo, s4
	s_cbranch_vccz .LBB9_2213
; %bb.2174:
	s_cmp_gt_i32 s2, 22
	s_mov_b32 s3, -1
	s_cbranch_scc0 .LBB9_2206
; %bb.2175:
	s_cmp_lt_i32 s2, 24
	s_cbranch_scc1 .LBB9_2195
; %bb.2176:
	s_cmp_gt_i32 s2, 24
	s_cbranch_scc0 .LBB9_2184
; %bb.2177:
	s_wait_xcnt 0x0
	v_cvt_f32_f64_e32 v2, v[12:13]
	v_mov_b32_e32 v4, 0x80
	s_mov_b32 s3, exec_lo
	s_delay_alu instid0(VALU_DEP_2) | instskip(NEXT) | instid1(VALU_DEP_1)
	v_and_b32_e32 v3, 0x7fffffff, v2
	v_cmpx_gt_u32_e32 0x47800000, v3
	s_cbranch_execz .LBB9_2183
; %bb.2178:
	v_cmp_lt_u32_e32 vcc_lo, 0x37ffffff, v3
	s_mov_b32 s4, 0
                                        ; implicit-def: $vgpr3
	s_and_saveexec_b32 s5, vcc_lo
	s_delay_alu instid0(SALU_CYCLE_1)
	s_xor_b32 s5, exec_lo, s5
	s_cbranch_execz .LBB9_2236
; %bb.2179:
	v_bfe_u32 v3, v2, 21, 1
	s_mov_b32 s4, exec_lo
	s_delay_alu instid0(VALU_DEP_1) | instskip(NEXT) | instid1(VALU_DEP_1)
	v_add3_u32 v3, v2, v3, 0x88fffff
	v_lshrrev_b32_e32 v3, 21, v3
	s_and_not1_saveexec_b32 s5, s5
	s_cbranch_execnz .LBB9_2237
.LBB9_2180:
	s_or_b32 exec_lo, exec_lo, s5
	v_mov_b32_e32 v4, 0
	s_and_saveexec_b32 s5, s4
.LBB9_2181:
	v_lshrrev_b32_e32 v2, 24, v2
	s_delay_alu instid0(VALU_DEP_1)
	v_and_or_b32 v4, 0x80, v2, v3
.LBB9_2182:
	s_or_b32 exec_lo, exec_lo, s5
.LBB9_2183:
	s_delay_alu instid0(SALU_CYCLE_1)
	s_or_b32 exec_lo, exec_lo, s3
	s_mov_b32 s3, 0
	global_store_b8 v[0:1], v4, off
.LBB9_2184:
	s_and_b32 vcc_lo, exec_lo, s3
	s_cbranch_vccz .LBB9_2194
; %bb.2185:
	s_wait_xcnt 0x0
	v_cvt_f32_f64_e32 v2, v[12:13]
	s_mov_b32 s3, exec_lo
                                        ; implicit-def: $vgpr3
	s_delay_alu instid0(VALU_DEP_1) | instskip(NEXT) | instid1(VALU_DEP_1)
	v_and_b32_e32 v4, 0x7fffffff, v2
	v_cmpx_gt_u32_e32 0x43f00000, v4
	s_xor_b32 s3, exec_lo, s3
	s_cbranch_execz .LBB9_2191
; %bb.2186:
	s_mov_b32 s4, exec_lo
                                        ; implicit-def: $vgpr3
	v_cmpx_lt_u32_e32 0x3c7fffff, v4
	s_xor_b32 s4, exec_lo, s4
; %bb.2187:
	v_bfe_u32 v3, v2, 20, 1
	s_delay_alu instid0(VALU_DEP_1) | instskip(NEXT) | instid1(VALU_DEP_1)
	v_add3_u32 v3, v2, v3, 0x407ffff
	v_and_b32_e32 v4, 0xff00000, v3
	v_lshrrev_b32_e32 v3, 20, v3
	s_delay_alu instid0(VALU_DEP_2) | instskip(NEXT) | instid1(VALU_DEP_2)
	v_cmp_ne_u32_e32 vcc_lo, 0x7f00000, v4
	v_cndmask_b32_e32 v3, 0x7e, v3, vcc_lo
; %bb.2188:
	s_and_not1_saveexec_b32 s4, s4
; %bb.2189:
	v_add_f32_e64 v3, 0x46800000, |v2|
; %bb.2190:
	s_or_b32 exec_lo, exec_lo, s4
                                        ; implicit-def: $vgpr4
.LBB9_2191:
	s_and_not1_saveexec_b32 s3, s3
; %bb.2192:
	v_mov_b32_e32 v3, 0x7f
	v_cmp_lt_u32_e32 vcc_lo, 0x7f800000, v4
	s_delay_alu instid0(VALU_DEP_2)
	v_cndmask_b32_e32 v3, 0x7e, v3, vcc_lo
; %bb.2193:
	s_or_b32 exec_lo, exec_lo, s3
	v_lshrrev_b32_e32 v2, 24, v2
	s_delay_alu instid0(VALU_DEP_1)
	v_and_or_b32 v2, 0x80, v2, v3
	global_store_b8 v[0:1], v2, off
.LBB9_2194:
	s_mov_b32 s3, 0
.LBB9_2195:
	s_delay_alu instid0(SALU_CYCLE_1)
	s_and_not1_b32 vcc_lo, exec_lo, s3
	s_cbranch_vccnz .LBB9_2205
; %bb.2196:
	s_wait_xcnt 0x0
	v_cvt_f32_f64_e32 v2, v[12:13]
	s_mov_b32 s3, exec_lo
                                        ; implicit-def: $vgpr3
	s_delay_alu instid0(VALU_DEP_1) | instskip(NEXT) | instid1(VALU_DEP_1)
	v_and_b32_e32 v4, 0x7fffffff, v2
	v_cmpx_gt_u32_e32 0x47800000, v4
	s_xor_b32 s3, exec_lo, s3
	s_cbranch_execz .LBB9_2202
; %bb.2197:
	s_mov_b32 s4, exec_lo
                                        ; implicit-def: $vgpr3
	v_cmpx_lt_u32_e32 0x387fffff, v4
	s_xor_b32 s4, exec_lo, s4
; %bb.2198:
	v_bfe_u32 v3, v2, 21, 1
	s_delay_alu instid0(VALU_DEP_1) | instskip(NEXT) | instid1(VALU_DEP_1)
	v_add3_u32 v3, v2, v3, 0x80fffff
	v_lshrrev_b32_e32 v3, 21, v3
; %bb.2199:
	s_and_not1_saveexec_b32 s4, s4
; %bb.2200:
	v_add_f32_e64 v3, 0x43000000, |v2|
; %bb.2201:
	s_or_b32 exec_lo, exec_lo, s4
                                        ; implicit-def: $vgpr4
.LBB9_2202:
	s_and_not1_saveexec_b32 s3, s3
; %bb.2203:
	v_mov_b32_e32 v3, 0x7f
	v_cmp_lt_u32_e32 vcc_lo, 0x7f800000, v4
	s_delay_alu instid0(VALU_DEP_2)
	v_cndmask_b32_e32 v3, 0x7c, v3, vcc_lo
; %bb.2204:
	s_or_b32 exec_lo, exec_lo, s3
	v_lshrrev_b32_e32 v2, 24, v2
	s_delay_alu instid0(VALU_DEP_1)
	v_and_or_b32 v2, 0x80, v2, v3
	global_store_b8 v[0:1], v2, off
.LBB9_2205:
	s_mov_b32 s3, 0
.LBB9_2206:
	s_delay_alu instid0(SALU_CYCLE_1)
	s_and_not1_b32 vcc_lo, exec_lo, s3
	s_mov_b32 s3, 0
	s_cbranch_vccnz .LBB9_2213
; %bb.2207:
	s_cmp_gt_i32 s2, 14
	s_mov_b32 s3, -1
	s_cbranch_scc0 .LBB9_2211
; %bb.2208:
	s_cmp_eq_u32 s2, 15
	s_mov_b32 s0, -1
	s_cbranch_scc0 .LBB9_2210
; %bb.2209:
	s_wait_xcnt 0x0
	v_cvt_f32_f64_e32 v2, v[12:13]
	s_mov_b32 s0, 0
	s_delay_alu instid0(VALU_DEP_1) | instskip(SKIP_1) | instid1(VALU_DEP_2)
	v_bfe_u32 v3, v2, 16, 1
	v_cmp_o_f32_e32 vcc_lo, v2, v2
	v_add3_u32 v3, v2, v3, 0x7fff
	s_delay_alu instid0(VALU_DEP_1) | instskip(NEXT) | instid1(VALU_DEP_1)
	v_lshrrev_b32_e32 v3, 16, v3
	v_cndmask_b32_e32 v2, 0x7fc0, v3, vcc_lo
	global_store_b16 v[0:1], v2, off
.LBB9_2210:
	s_mov_b32 s3, 0
.LBB9_2211:
	s_delay_alu instid0(SALU_CYCLE_1)
	s_and_b32 vcc_lo, exec_lo, s3
	s_mov_b32 s3, 0
	s_cbranch_vccz .LBB9_2213
; %bb.2212:
	s_cmp_lg_u32 s2, 11
	s_mov_b32 s3, -1
	s_cselect_b32 s0, -1, 0
.LBB9_2213:
	s_delay_alu instid0(SALU_CYCLE_1)
	s_and_b32 vcc_lo, exec_lo, s0
	s_cbranch_vccnz .LBB9_2235
.LBB9_2214:
	s_mov_b32 s0, 0
	s_branch .LBB9_1816
.LBB9_2215:
	s_mov_b32 s0, 0
	s_wait_xcnt 0x0
	s_mov_b32 s3, 0
                                        ; implicit-def: $vgpr0_vgpr1
                                        ; implicit-def: $sgpr6
	s_branch .LBB9_1816
.LBB9_2216:
	s_mov_b32 s3, 0
	s_mov_b32 s0, -1
	s_branch .LBB9_1816
.LBB9_2217:
	s_or_b32 s1, s1, exec_lo
	s_trap 2
	s_cbranch_execz .LBB9_1677
	s_branch .LBB9_1678
.LBB9_2218:
	s_and_not1_saveexec_b32 s11, s11
	s_cbranch_execz .LBB9_1765
.LBB9_2219:
	v_add_f32_e64 v3, 0x46000000, |v2|
	s_and_not1_b32 s10, s10, exec_lo
	s_delay_alu instid0(VALU_DEP_1) | instskip(NEXT) | instid1(VALU_DEP_1)
	v_and_b32_e32 v3, 0xff, v3
	v_cmp_ne_u32_e32 vcc_lo, 0, v3
	s_and_b32 s12, vcc_lo, exec_lo
	s_delay_alu instid0(SALU_CYCLE_1)
	s_or_b32 s10, s10, s12
	s_or_b32 exec_lo, exec_lo, s11
	v_mov_b32_e32 v7, 0
	s_and_saveexec_b32 s11, s10
	s_cbranch_execnz .LBB9_1766
	s_branch .LBB9_1767
.LBB9_2220:
	s_or_b32 s1, s1, exec_lo
	s_trap 2
	s_cbranch_execz .LBB9_1813
	s_branch .LBB9_1814
.LBB9_2221:
	s_and_not1_saveexec_b32 s10, s10
	s_cbranch_execz .LBB9_1778
.LBB9_2222:
	v_add_f32_e64 v3, 0x42800000, |v2|
	s_and_not1_b32 s7, s7, exec_lo
	s_delay_alu instid0(VALU_DEP_1) | instskip(NEXT) | instid1(VALU_DEP_1)
	v_and_b32_e32 v3, 0xff, v3
	v_cmp_ne_u32_e32 vcc_lo, 0, v3
	s_and_b32 s11, vcc_lo, exec_lo
	s_delay_alu instid0(SALU_CYCLE_1)
	s_or_b32 s7, s7, s11
	s_or_b32 exec_lo, exec_lo, s10
	v_mov_b32_e32 v7, 0
	s_and_saveexec_b32 s10, s7
	s_cbranch_execnz .LBB9_1779
	s_branch .LBB9_1780
.LBB9_2223:
	s_and_not1_saveexec_b32 s11, s11
	s_cbranch_execz .LBB9_1929
.LBB9_2224:
	v_add_f32_e64 v3, 0x46000000, |v2|
	s_and_not1_b32 s10, s10, exec_lo
	s_delay_alu instid0(VALU_DEP_1) | instskip(NEXT) | instid1(VALU_DEP_1)
	v_and_b32_e32 v3, 0xff, v3
	v_cmp_ne_u32_e32 vcc_lo, 0, v3
	s_and_b32 s12, vcc_lo, exec_lo
	s_delay_alu instid0(SALU_CYCLE_1)
	s_or_b32 s10, s10, s12
	s_or_b32 exec_lo, exec_lo, s11
	v_mov_b32_e32 v6, 0
	s_and_saveexec_b32 s11, s10
	s_cbranch_execnz .LBB9_1930
	s_branch .LBB9_1931
.LBB9_2225:
	s_or_b32 s1, s1, exec_lo
	s_trap 2
	s_cbranch_execz .LBB9_1977
	s_branch .LBB9_1978
.LBB9_2226:
	s_and_not1_saveexec_b32 s10, s10
	s_cbranch_execz .LBB9_1942
.LBB9_2227:
	v_add_f32_e64 v3, 0x42800000, |v2|
	s_and_not1_b32 s7, s7, exec_lo
	s_delay_alu instid0(VALU_DEP_1) | instskip(NEXT) | instid1(VALU_DEP_1)
	v_and_b32_e32 v3, 0xff, v3
	v_cmp_ne_u32_e32 vcc_lo, 0, v3
	s_and_b32 s11, vcc_lo, exec_lo
	s_delay_alu instid0(SALU_CYCLE_1)
	s_or_b32 s7, s7, s11
	s_or_b32 exec_lo, exec_lo, s10
	v_mov_b32_e32 v6, 0
	s_and_saveexec_b32 s10, s7
	s_cbranch_execnz .LBB9_1943
	s_branch .LBB9_1944
.LBB9_2228:
	s_and_not1_saveexec_b32 s11, s11
	s_cbranch_execz .LBB9_2048
.LBB9_2229:
	v_add_f32_e64 v3, 0x46000000, |v2|
	s_and_not1_b32 s10, s10, exec_lo
	s_delay_alu instid0(VALU_DEP_1) | instskip(NEXT) | instid1(VALU_DEP_1)
	v_and_b32_e32 v3, 0xff, v3
	v_cmp_ne_u32_e32 vcc_lo, 0, v3
	s_and_b32 s12, vcc_lo, exec_lo
	s_delay_alu instid0(SALU_CYCLE_1)
	s_or_b32 s10, s10, s12
	s_or_b32 exec_lo, exec_lo, s11
	v_mov_b32_e32 v4, 0
	s_and_saveexec_b32 s11, s10
	s_cbranch_execnz .LBB9_2049
	s_branch .LBB9_2050
.LBB9_2230:
	s_or_b32 s1, s1, exec_lo
	s_trap 2
	s_cbranch_execz .LBB9_2096
	s_branch .LBB9_2097
.LBB9_2231:
	s_and_not1_saveexec_b32 s10, s10
	s_cbranch_execz .LBB9_2061
.LBB9_2232:
	v_add_f32_e64 v3, 0x42800000, |v2|
	s_and_not1_b32 s7, s7, exec_lo
	s_delay_alu instid0(VALU_DEP_1) | instskip(NEXT) | instid1(VALU_DEP_1)
	v_and_b32_e32 v3, 0xff, v3
	v_cmp_ne_u32_e32 vcc_lo, 0, v3
	s_and_b32 s11, vcc_lo, exec_lo
	s_delay_alu instid0(SALU_CYCLE_1)
	s_or_b32 s7, s7, s11
	s_or_b32 exec_lo, exec_lo, s10
	v_mov_b32_e32 v4, 0
	s_and_saveexec_b32 s10, s7
	s_cbranch_execnz .LBB9_2062
	s_branch .LBB9_2063
.LBB9_2233:
	s_and_not1_saveexec_b32 s7, s7
	s_cbranch_execz .LBB9_2168
.LBB9_2234:
	v_add_f32_e64 v3, 0x46000000, |v2|
	s_and_not1_b32 s5, s5, exec_lo
	s_delay_alu instid0(VALU_DEP_1) | instskip(NEXT) | instid1(VALU_DEP_1)
	v_and_b32_e32 v3, 0xff, v3
	v_cmp_ne_u32_e32 vcc_lo, 0, v3
	s_and_b32 s10, vcc_lo, exec_lo
	s_delay_alu instid0(SALU_CYCLE_1)
	s_or_b32 s5, s5, s10
	s_or_b32 exec_lo, exec_lo, s7
	v_mov_b32_e32 v4, 0
	s_and_saveexec_b32 s7, s5
	s_cbranch_execnz .LBB9_2169
	s_branch .LBB9_2170
.LBB9_2235:
	s_mov_b32 s3, 0
	s_or_b32 s1, s1, exec_lo
	s_trap 2
	s_branch .LBB9_2214
.LBB9_2236:
	s_and_not1_saveexec_b32 s5, s5
	s_cbranch_execz .LBB9_2180
.LBB9_2237:
	v_add_f32_e64 v3, 0x42800000, |v2|
	s_and_not1_b32 s4, s4, exec_lo
	s_delay_alu instid0(VALU_DEP_1) | instskip(NEXT) | instid1(VALU_DEP_1)
	v_and_b32_e32 v3, 0xff, v3
	v_cmp_ne_u32_e32 vcc_lo, 0, v3
	s_and_b32 s7, vcc_lo, exec_lo
	s_delay_alu instid0(SALU_CYCLE_1)
	s_or_b32 s4, s4, s7
	s_or_b32 exec_lo, exec_lo, s5
	v_mov_b32_e32 v4, 0
	s_and_saveexec_b32 s5, s4
	s_cbranch_execnz .LBB9_2181
	s_branch .LBB9_2182
	.section	.rodata,"a",@progbits
	.p2align	6, 0x0
	.amdhsa_kernel _ZN2at6native32elementwise_kernel_manual_unrollILi128ELi4EZNS0_15gpu_kernel_implIZZZNS0_12_GLOBAL__N_137scaled_modified_bessel_k0_kernel_cudaERNS_18TensorIteratorBaseEENKUlvE_clEvENKUlvE_clEvEUldE_EEvS5_RKT_EUlibE0_EEviT1_
		.amdhsa_group_segment_fixed_size 0
		.amdhsa_private_segment_fixed_size 0
		.amdhsa_kernarg_size 360
		.amdhsa_user_sgpr_count 2
		.amdhsa_user_sgpr_dispatch_ptr 0
		.amdhsa_user_sgpr_queue_ptr 0
		.amdhsa_user_sgpr_kernarg_segment_ptr 1
		.amdhsa_user_sgpr_dispatch_id 0
		.amdhsa_user_sgpr_kernarg_preload_length 0
		.amdhsa_user_sgpr_kernarg_preload_offset 0
		.amdhsa_user_sgpr_private_segment_size 0
		.amdhsa_wavefront_size32 1
		.amdhsa_uses_dynamic_stack 0
		.amdhsa_enable_private_segment 0
		.amdhsa_system_sgpr_workgroup_id_x 1
		.amdhsa_system_sgpr_workgroup_id_y 0
		.amdhsa_system_sgpr_workgroup_id_z 0
		.amdhsa_system_sgpr_workgroup_info 0
		.amdhsa_system_vgpr_workitem_id 0
		.amdhsa_next_free_vgpr 48
		.amdhsa_next_free_sgpr 68
		.amdhsa_named_barrier_count 0
		.amdhsa_reserve_vcc 1
		.amdhsa_float_round_mode_32 0
		.amdhsa_float_round_mode_16_64 0
		.amdhsa_float_denorm_mode_32 3
		.amdhsa_float_denorm_mode_16_64 3
		.amdhsa_fp16_overflow 0
		.amdhsa_memory_ordered 1
		.amdhsa_forward_progress 1
		.amdhsa_inst_pref_size 255
		.amdhsa_round_robin_scheduling 0
		.amdhsa_exception_fp_ieee_invalid_op 0
		.amdhsa_exception_fp_denorm_src 0
		.amdhsa_exception_fp_ieee_div_zero 0
		.amdhsa_exception_fp_ieee_overflow 0
		.amdhsa_exception_fp_ieee_underflow 0
		.amdhsa_exception_fp_ieee_inexact 0
		.amdhsa_exception_int_div_zero 0
	.end_amdhsa_kernel
	.section	.text._ZN2at6native32elementwise_kernel_manual_unrollILi128ELi4EZNS0_15gpu_kernel_implIZZZNS0_12_GLOBAL__N_137scaled_modified_bessel_k0_kernel_cudaERNS_18TensorIteratorBaseEENKUlvE_clEvENKUlvE_clEvEUldE_EEvS5_RKT_EUlibE0_EEviT1_,"axG",@progbits,_ZN2at6native32elementwise_kernel_manual_unrollILi128ELi4EZNS0_15gpu_kernel_implIZZZNS0_12_GLOBAL__N_137scaled_modified_bessel_k0_kernel_cudaERNS_18TensorIteratorBaseEENKUlvE_clEvENKUlvE_clEvEUldE_EEvS5_RKT_EUlibE0_EEviT1_,comdat
.Lfunc_end9:
	.size	_ZN2at6native32elementwise_kernel_manual_unrollILi128ELi4EZNS0_15gpu_kernel_implIZZZNS0_12_GLOBAL__N_137scaled_modified_bessel_k0_kernel_cudaERNS_18TensorIteratorBaseEENKUlvE_clEvENKUlvE_clEvEUldE_EEvS5_RKT_EUlibE0_EEviT1_, .Lfunc_end9-_ZN2at6native32elementwise_kernel_manual_unrollILi128ELi4EZNS0_15gpu_kernel_implIZZZNS0_12_GLOBAL__N_137scaled_modified_bessel_k0_kernel_cudaERNS_18TensorIteratorBaseEENKUlvE_clEvENKUlvE_clEvEUldE_EEvS5_RKT_EUlibE0_EEviT1_
                                        ; -- End function
	.set _ZN2at6native32elementwise_kernel_manual_unrollILi128ELi4EZNS0_15gpu_kernel_implIZZZNS0_12_GLOBAL__N_137scaled_modified_bessel_k0_kernel_cudaERNS_18TensorIteratorBaseEENKUlvE_clEvENKUlvE_clEvEUldE_EEvS5_RKT_EUlibE0_EEviT1_.num_vgpr, 48
	.set _ZN2at6native32elementwise_kernel_manual_unrollILi128ELi4EZNS0_15gpu_kernel_implIZZZNS0_12_GLOBAL__N_137scaled_modified_bessel_k0_kernel_cudaERNS_18TensorIteratorBaseEENKUlvE_clEvENKUlvE_clEvEUldE_EEvS5_RKT_EUlibE0_EEviT1_.num_agpr, 0
	.set _ZN2at6native32elementwise_kernel_manual_unrollILi128ELi4EZNS0_15gpu_kernel_implIZZZNS0_12_GLOBAL__N_137scaled_modified_bessel_k0_kernel_cudaERNS_18TensorIteratorBaseEENKUlvE_clEvENKUlvE_clEvEUldE_EEvS5_RKT_EUlibE0_EEviT1_.numbered_sgpr, 68
	.set _ZN2at6native32elementwise_kernel_manual_unrollILi128ELi4EZNS0_15gpu_kernel_implIZZZNS0_12_GLOBAL__N_137scaled_modified_bessel_k0_kernel_cudaERNS_18TensorIteratorBaseEENKUlvE_clEvENKUlvE_clEvEUldE_EEvS5_RKT_EUlibE0_EEviT1_.num_named_barrier, 0
	.set _ZN2at6native32elementwise_kernel_manual_unrollILi128ELi4EZNS0_15gpu_kernel_implIZZZNS0_12_GLOBAL__N_137scaled_modified_bessel_k0_kernel_cudaERNS_18TensorIteratorBaseEENKUlvE_clEvENKUlvE_clEvEUldE_EEvS5_RKT_EUlibE0_EEviT1_.private_seg_size, 0
	.set _ZN2at6native32elementwise_kernel_manual_unrollILi128ELi4EZNS0_15gpu_kernel_implIZZZNS0_12_GLOBAL__N_137scaled_modified_bessel_k0_kernel_cudaERNS_18TensorIteratorBaseEENKUlvE_clEvENKUlvE_clEvEUldE_EEvS5_RKT_EUlibE0_EEviT1_.uses_vcc, 1
	.set _ZN2at6native32elementwise_kernel_manual_unrollILi128ELi4EZNS0_15gpu_kernel_implIZZZNS0_12_GLOBAL__N_137scaled_modified_bessel_k0_kernel_cudaERNS_18TensorIteratorBaseEENKUlvE_clEvENKUlvE_clEvEUldE_EEvS5_RKT_EUlibE0_EEviT1_.uses_flat_scratch, 0
	.set _ZN2at6native32elementwise_kernel_manual_unrollILi128ELi4EZNS0_15gpu_kernel_implIZZZNS0_12_GLOBAL__N_137scaled_modified_bessel_k0_kernel_cudaERNS_18TensorIteratorBaseEENKUlvE_clEvENKUlvE_clEvEUldE_EEvS5_RKT_EUlibE0_EEviT1_.has_dyn_sized_stack, 0
	.set _ZN2at6native32elementwise_kernel_manual_unrollILi128ELi4EZNS0_15gpu_kernel_implIZZZNS0_12_GLOBAL__N_137scaled_modified_bessel_k0_kernel_cudaERNS_18TensorIteratorBaseEENKUlvE_clEvENKUlvE_clEvEUldE_EEvS5_RKT_EUlibE0_EEviT1_.has_recursion, 0
	.set _ZN2at6native32elementwise_kernel_manual_unrollILi128ELi4EZNS0_15gpu_kernel_implIZZZNS0_12_GLOBAL__N_137scaled_modified_bessel_k0_kernel_cudaERNS_18TensorIteratorBaseEENKUlvE_clEvENKUlvE_clEvEUldE_EEvS5_RKT_EUlibE0_EEviT1_.has_indirect_call, 0
	.section	.AMDGPU.csdata,"",@progbits
; Kernel info:
; codeLenInByte = 70600
; TotalNumSgprs: 70
; NumVgprs: 48
; ScratchSize: 0
; MemoryBound: 1
; FloatMode: 240
; IeeeMode: 1
; LDSByteSize: 0 bytes/workgroup (compile time only)
; SGPRBlocks: 0
; VGPRBlocks: 2
; NumSGPRsForWavesPerEU: 70
; NumVGPRsForWavesPerEU: 48
; NamedBarCnt: 0
; Occupancy: 16
; WaveLimiterHint : 1
; COMPUTE_PGM_RSRC2:SCRATCH_EN: 0
; COMPUTE_PGM_RSRC2:USER_SGPR: 2
; COMPUTE_PGM_RSRC2:TRAP_HANDLER: 0
; COMPUTE_PGM_RSRC2:TGID_X_EN: 1
; COMPUTE_PGM_RSRC2:TGID_Y_EN: 0
; COMPUTE_PGM_RSRC2:TGID_Z_EN: 0
; COMPUTE_PGM_RSRC2:TIDIG_COMP_CNT: 0
	.text
	.p2align	2                               ; -- Begin function _ZN2at6native25elementwise_kernel_helperILb0EZZZNS0_12_GLOBAL__N_137scaled_modified_bessel_k0_kernel_cudaERNS_18TensorIteratorBaseEENKUlvE_clEvENKUlvE0_clEvEUlfE_NS0_6memory8policies11unroll_baseILi256ESt5arrayIPcLm2EE23TrivialOffsetCalculatorILi1EjESF_NS8_15LoadWithoutCastENS8_16StoreWithoutCastELi4ELi1EEEEEvT0_T1_
	.type	_ZN2at6native25elementwise_kernel_helperILb0EZZZNS0_12_GLOBAL__N_137scaled_modified_bessel_k0_kernel_cudaERNS_18TensorIteratorBaseEENKUlvE_clEvENKUlvE0_clEvEUlfE_NS0_6memory8policies11unroll_baseILi256ESt5arrayIPcLm2EE23TrivialOffsetCalculatorILi1EjESF_NS8_15LoadWithoutCastENS8_16StoreWithoutCastELi4ELi1EEEEEvT0_T1_,@function
_ZN2at6native25elementwise_kernel_helperILb0EZZZNS0_12_GLOBAL__N_137scaled_modified_bessel_k0_kernel_cudaERNS_18TensorIteratorBaseEENKUlvE_clEvENKUlvE0_clEvEUlfE_NS0_6memory8policies11unroll_baseILi256ESt5arrayIPcLm2EE23TrivialOffsetCalculatorILi1EjESF_NS8_15LoadWithoutCastENS8_16StoreWithoutCastELi4ELi1EEEEEvT0_T1_: ; @_ZN2at6native25elementwise_kernel_helperILb0EZZZNS0_12_GLOBAL__N_137scaled_modified_bessel_k0_kernel_cudaERNS_18TensorIteratorBaseEENKUlvE_clEvENKUlvE0_clEvEUlfE_NS0_6memory8policies11unroll_baseILi256ESt5arrayIPcLm2EE23TrivialOffsetCalculatorILi1EjESF_NS8_15LoadWithoutCastENS8_16StoreWithoutCastELi4ELi1EEEEEvT0_T1_
; %bb.0:
	s_wait_loadcnt_dscnt 0x0
	s_wait_kmcnt 0x0
	s_bfe_u32 s0, ttmp6, 0x4000c
	s_and_b32 s1, ttmp6, 15
	s_add_co_i32 s0, s0, 1
	s_getreg_b32 s2, hwreg(HW_REG_IB_STS2, 6, 4)
	s_mul_i32 s0, ttmp9, s0
	v_and_b32_e32 v7, 0x3ff, v31
	s_add_co_i32 s1, s1, s0
	s_cmp_eq_u32 s2, 0
	v_mov_b32_e32 v16, 0
	s_cselect_b32 s0, ttmp9, s1
	v_dual_mov_b32 v5, v7 :: v_dual_add_nc_u32 v18, 0x100, v7
	s_lshl_b32 s2, s0, 10
	v_cmp_lt_i32_e64 s0, v7, v4
	v_dual_mov_b32 v14, 0 :: v_dual_bitop2_b32 v8, s2, v7 bitop3:0x54
	s_and_saveexec_b32 s1, s0
	s_cbranch_execz .LBB10_2
; %bb.1:
	v_mov_b32_e32 v9, 0
	v_add_nc_u32_e32 v5, 0x100, v7
	s_delay_alu instid0(VALU_DEP_2)
	v_lshl_add_u64 v[10:11], v[8:9], 2, v[2:3]
	flat_load_b32 v16, v[10:11]
.LBB10_2:
	s_wait_xcnt 0x0
	s_or_b32 exec_lo, exec_lo, s1
	s_delay_alu instid0(SALU_CYCLE_1)
	s_mov_b32 s1, exec_lo
	v_cmpx_lt_i32_e64 v5, v4
	s_cbranch_execz .LBB10_4
; %bb.3:
	v_dual_mov_b32 v11, 0 :: v_dual_add_nc_u32 v10, s2, v5
	v_add_nc_u32_e32 v5, 0x100, v5
	s_delay_alu instid0(VALU_DEP_2)
	v_lshl_add_u64 v[10:11], v[10:11], 2, v[2:3]
	flat_load_b32 v14, v[10:11]
.LBB10_4:
	s_wait_xcnt 0x0
	s_or_b32 exec_lo, exec_lo, s1
	v_dual_mov_b32 v10, 0 :: v_dual_mov_b32 v12, 0
	s_mov_b32 s1, exec_lo
	v_cmpx_lt_i32_e64 v5, v4
	s_cbranch_execz .LBB10_6
; %bb.5:
	v_dual_mov_b32 v13, 0 :: v_dual_add_nc_u32 v12, s2, v5
	v_add_nc_u32_e32 v5, 0x100, v5
	s_delay_alu instid0(VALU_DEP_2)
	v_lshl_add_u64 v[12:13], v[12:13], 2, v[2:3]
	flat_load_b32 v12, v[12:13]
.LBB10_6:
	s_wait_xcnt 0x0
	s_or_b32 exec_lo, exec_lo, s1
	s_delay_alu instid0(SALU_CYCLE_1)
	s_mov_b32 s1, exec_lo
	v_cmpx_lt_i32_e64 v5, v4
	s_cbranch_execz .LBB10_8
; %bb.7:
	v_dual_mov_b32 v11, 0 :: v_dual_add_nc_u32 v10, s2, v5
	s_delay_alu instid0(VALU_DEP_1)
	v_lshl_add_u64 v[2:3], v[10:11], 2, v[2:3]
	flat_load_b32 v10, v[2:3]
.LBB10_8:
	s_wait_xcnt 0x0
	s_or_b32 exec_lo, exec_lo, s1
	v_mov_b32_e32 v2, 0
	s_delay_alu instid0(VALU_DEP_1)
	v_dual_mov_b32 v5, v2 :: v_dual_mov_b32 v6, v2
	v_mov_b32_e32 v3, v2
	s_and_saveexec_b32 s3, s0
	s_cbranch_execz .LBB10_18
; %bb.9:
	v_mov_b32_e32 v2, 0x7f800000
	s_mov_b32 s4, exec_lo
	s_wait_loadcnt_dscnt 0x0
	v_cmpx_neq_f32_e32 0, v16
	s_cbranch_execz .LBB10_17
; %bb.10:
	v_mov_b32_e32 v2, 0x7fc00000
	s_mov_b32 s5, exec_lo
	v_cmpx_ngt_f32_e32 0, v16
	s_cbranch_execz .LBB10_16
; %bb.11:
                                        ; implicit-def: $vgpr2
	s_mov_b32 s1, exec_lo
	v_cmpx_ge_f32_e32 2.0, v16
	s_xor_b32 s6, exec_lo, s1
	s_cbranch_execz .LBB10_13
; %bb.12:
	v_mov_b32_e32 v17, 0.5
	s_mov_b32 s1, 0xa2a2e5b9
	v_mov_b64_e32 v[22:23], 0x3ad6e3ac293fd856
	v_mov_b32_e32 v20, 0xa51e770f
	s_mov_b32 s8, 0xa51e770f
	v_pk_fma_f32 v[2:3], v[16:17], v[16:17], -2.0 op_sel_hi:[0,1,0]
	v_mov_b64_e32 v[26:27], 0xbb8db2f12d3612e2
	v_mov_b64_e32 v[30:31], 0xbdc25b823aa5c174
	s_delay_alu instid0(VALU_DEP_3) | instskip(SKIP_2) | instid1(VALU_DEP_3)
	v_fmaak_f32 v5, s1, v3, 0x24199b15
	v_cmp_ngt_f32_e64 s1, 0xc2ce8ed0, v16
	v_mul_f32_e32 v24, 0x251e770f, v2
	v_fmaak_f32 v6, v3, v5, 0x22a2e5b9
	v_pk_mul_f32 v[28:29], v[16:17], v[16:17] op_sel_hi:[0,1]
	s_delay_alu instid0(VALU_DEP_2) | instskip(NEXT) | instid1(VALU_DEP_2)
	v_add_f32_e32 v6, 0xa58c275c, v6
	v_cmp_gt_f32_e32 vcc_lo, 0x800000, v29
	s_delay_alu instid0(VALU_DEP_2) | instskip(SKIP_1) | instid1(VALU_DEP_2)
	v_fma_f32 v5, v3, v6, -v5
	v_cndmask_b32_e64 v11, 0, 32, vcc_lo
	v_add_f32_e32 v5, 0x26f736c5, v5
	s_delay_alu instid0(VALU_DEP_2) | instskip(NEXT) | instid1(VALU_DEP_2)
	v_ldexp_f32 v11, v29, v11
	v_fma_f32 v6, v3, v5, -v6
	s_delay_alu instid0(VALU_DEP_1) | instskip(NEXT) | instid1(VALU_DEP_1)
	v_add_f32_e32 v6, 0xa8528116, v6
	v_fma_f32 v5, v3, v6, -v5
	s_delay_alu instid0(VALU_DEP_1) | instskip(NEXT) | instid1(VALU_DEP_1)
	v_add_f32_e32 v5, 0x29acda32, v5
	;; [unrolled: 3-line block ×17, first 2 shown]
	v_fma_f32 v25, v3, v21, -v5
	v_mul_f32_e32 v5, 0x3fb8aa3b, v16
	s_delay_alu instid0(VALU_DEP_1) | instskip(SKIP_1) | instid1(VALU_DEP_2)
	v_rndne_f32_e32 v6, v5
	v_fma_f32 v9, 0x3fb8aa3b, v16, -v5
	v_sub_f32_e32 v5, v5, v6
	v_pk_add_f32 v[22:23], v[24:25], v[22:23]
	v_mov_b64_e32 v[24:25], s[8:9]
	s_delay_alu instid0(VALU_DEP_4) | instskip(SKIP_1) | instid1(VALU_DEP_4)
	v_fmamk_f32 v9, v16, 0x32a5705f, v9
	v_cvt_i32_f32_e32 v6, v6
	v_pk_fma_f32 v[20:21], v[2:3], v[22:23], v[20:21] neg_lo:[0,0,1] neg_hi:[0,0,1]
	s_delay_alu instid0(VALU_DEP_3) | instskip(SKIP_2) | instid1(VALU_DEP_3)
	v_add_f32_e32 v5, v5, v9
	v_pk_fma_f32 v[24:25], v[2:3], v[22:23], v[24:25]
	v_log_f32_e32 v9, v11
	v_mov_b32_e32 v25, v21
	s_delay_alu instid0(VALU_DEP_3) | instskip(NEXT) | instid1(VALU_DEP_1)
	v_exp_f32_e32 v5, v5
	v_pk_add_f32 v[20:21], v[24:25], v[26:27]
	v_mov_b64_e32 v[24:25], 0x3c2ccb103102e09b
	v_mov_b64_e32 v[26:27], 0xc000000037bfc808
	s_delay_alu instid0(TRANS32_DEP_2) | instskip(NEXT) | instid1(TRANS32_DEP_1)
	v_mul_f32_e32 v13, 0x3f317217, v9
	v_ldexp_f32 v5, v5, v6
	v_pk_fma_f32 v[22:23], v[2:3], v[20:21], v[22:23] neg_lo:[0,0,1] neg_hi:[0,0,1]
	s_delay_alu instid0(VALU_DEP_3) | instskip(NEXT) | instid1(VALU_DEP_3)
	v_fma_f32 v6, 0x3f317217, v9, -v13
	v_cndmask_b32_e64 v5, 0, v5, s1
	s_delay_alu instid0(VALU_DEP_3) | instskip(SKIP_2) | instid1(VALU_DEP_3)
	v_pk_add_f32 v[22:23], v[22:23], v[24:25]
	v_mov_b64_e32 v[24:25], 0xbcc274f8348815e7
	v_cmp_nlt_f32_e64 s1, 0x42b17218, v16
	v_pk_fma_f32 v[20:21], v[2:3], v[22:23], v[20:21] neg_lo:[0,0,1] neg_hi:[0,0,1]
	s_delay_alu instid0(VALU_DEP_1) | instskip(SKIP_1) | instid1(VALU_DEP_2)
	v_pk_add_f32 v[20:21], v[20:21], v[24:25]
	v_mov_b64_e32 v[24:25], 0x3d49f45637bfc808
	v_pk_fma_f32 v[22:23], v[2:3], v[20:21], v[22:23] neg_lo:[0,0,1] neg_hi:[0,0,1]
	s_delay_alu instid0(VALU_DEP_1) | instskip(NEXT) | instid1(VALU_DEP_2)
	v_mov_b32_e32 v28, v22
	v_pk_add_f32 v[22:23], v[22:23], v[24:25]
	v_mov_b32_e32 v24, v2
	s_delay_alu instid0(VALU_DEP_3) | instskip(NEXT) | instid1(VALU_DEP_3)
	v_pk_add_f32 v[26:27], v[28:29], v[26:27]
	v_mov_b32_e32 v25, v23
	s_delay_alu instid0(VALU_DEP_1) | instskip(SKIP_2) | instid1(VALU_DEP_3)
	v_pk_fma_f32 v[20:21], v[26:27], v[24:25], v[20:21] neg_lo:[0,0,1] neg_hi:[0,0,1]
	v_mov_b64_e32 v[24:25], 0x3e2fbd643d135fb3
	v_mov_b32_e32 v26, v17
	v_pk_add_f32 v[20:21], v[20:21], v[30:31]
	s_delay_alu instid0(VALU_DEP_1) | instskip(NEXT) | instid1(VALU_DEP_1)
	v_pk_fma_f32 v[22:23], v[2:3], v[20:21], v[22:23] neg_lo:[0,0,1] neg_hi:[0,0,1]
	v_pk_add_f32 v[22:23], v[22:23], v[24:25]
	s_delay_alu instid0(VALU_DEP_1) | instskip(NEXT) | instid1(VALU_DEP_1)
	v_pk_fma_f32 v[20:21], v[2:3], v[22:23], v[20:21] neg_lo:[0,0,1] neg_hi:[0,0,1]
	v_add_f32_e32 v11, 0xbe9bff5e, v21
	s_delay_alu instid0(VALU_DEP_2)
	v_add_f32_e32 v15, 0x3eb046c4, v20
	v_cndmask_b32_e64 v21, 0x7f800000, v5, s1
	v_mov_b32_e32 v20, v22
	v_cndmask_b32_e64 v5, 0, 0x41b17218, vcc_lo
	v_fma_f32 v3, v3, v11, -v23
	v_dual_mul_f32 v2, v2, v15 :: v_dual_fmamk_f32 v11, v9, 0x3377d1cf, v6
	v_mov_b32_e32 v6, 0xbf090b37
	v_cmp_gt_f32_e64 vcc_lo, 0x7f800000, |v9|
	s_delay_alu instid0(VALU_DEP_4) | instskip(NEXT) | instid1(VALU_DEP_4)
	v_add_f32_e32 v3, 0x3f2d4275, v3
	v_fmac_f32_e32 v11, 0x3f317217, v9
	s_delay_alu instid0(VALU_DEP_2) | instskip(NEXT) | instid1(VALU_DEP_2)
	v_pk_add_f32 v[2:3], v[2:3], v[22:23] neg_lo:[0,1] neg_hi:[0,1]
	v_cndmask_b32_e32 v9, v9, v11, vcc_lo
	s_delay_alu instid0(VALU_DEP_2) | instskip(SKIP_1) | instid1(VALU_DEP_3)
	v_pk_mul_f32 v[24:25], v[2:3], v[16:17]
	v_pk_add_f32 v[2:3], v[2:3], v[6:7]
	v_sub_f32_e32 v27, v9, v5
                                        ; implicit-def: $vgpr16
	s_delay_alu instid0(VALU_DEP_3) | instskip(NEXT) | instid1(VALU_DEP_3)
	v_pk_mul_f32 v[24:25], v[24:25], v[20:21]
	v_pk_add_f32 v[2:3], v[2:3], v[22:23] neg_lo:[0,1] neg_hi:[0,1]
	s_delay_alu instid0(VALU_DEP_2) | instskip(NEXT) | instid1(VALU_DEP_1)
	v_mov_b32_e32 v3, v25
	v_pk_mul_f32 v[2:3], v[26:27], v[2:3]
	s_delay_alu instid0(VALU_DEP_1) | instskip(NEXT) | instid1(VALU_DEP_1)
	v_sub_f32_e32 v2, v2, v3
	v_mul_f32_e32 v2, v21, v2
.LBB10_13:
	s_and_not1_saveexec_b32 s6, s6
	s_cbranch_execz .LBB10_15
; %bb.14:
	v_div_scale_f32 v2, null, v16, v16, 0x41000000
	v_div_scale_f32 v6, vcc_lo, 0x41000000, v16, 0x41000000
	s_mov_b32 s1, 0x22c38d2e
	v_rcp_f32_e32 v3, v2
	v_nop
	s_delay_alu instid0(TRANS32_DEP_1) | instskip(NEXT) | instid1(VALU_DEP_1)
	v_fma_f32 v5, -v2, v3, 1.0
	v_fmac_f32_e32 v3, v5, v3
	s_delay_alu instid0(VALU_DEP_1) | instskip(NEXT) | instid1(VALU_DEP_1)
	v_mul_f32_e32 v5, v6, v3
	v_fma_f32 v9, -v2, v5, v6
	s_delay_alu instid0(VALU_DEP_1) | instskip(NEXT) | instid1(VALU_DEP_1)
	v_fmac_f32_e32 v5, v9, v3
	v_fma_f32 v2, -v2, v5, v6
	v_mul_f32_e32 v6, 0x4f800000, v16
	s_delay_alu instid0(VALU_DEP_2) | instskip(SKIP_1) | instid1(VALU_DEP_2)
	v_div_fmas_f32 v2, v2, v3, v5
	v_cmp_gt_f32_e32 vcc_lo, 0xf800000, v16
	v_div_fixup_f32 v2, v2, v16, 0x41000000
	s_delay_alu instid0(VALU_DEP_4) | instskip(NEXT) | instid1(VALU_DEP_2)
	v_cndmask_b32_e32 v6, v16, v6, vcc_lo
	v_add_f32_e32 v2, -2.0, v2
	s_delay_alu instid0(VALU_DEP_2) | instskip(NEXT) | instid1(VALU_DEP_1)
	v_sqrt_f32_e32 v9, v6
	v_fmaak_f32 v3, s1, v2, 0xa397f665
	s_delay_alu instid0(TRANS32_DEP_1) | instskip(NEXT) | instid1(VALU_DEP_2)
	v_dual_add_nc_u32 v11, -1, v9 :: v_dual_add_nc_u32 v13, 1, v9
	v_fmaak_f32 v5, v2, v3, 0xa2c38d2e
	s_delay_alu instid0(VALU_DEP_2) | instskip(NEXT) | instid1(VALU_DEP_2)
	v_dual_fma_f32 v15, -v11, v9, v6 :: v_dual_fma_f32 v16, -v13, v9, v6
	v_add_f32_e32 v5, 0x24704972, v5
	s_delay_alu instid0(VALU_DEP_2) | instskip(NEXT) | instid1(VALU_DEP_1)
	v_cmp_ge_f32_e64 s1, 0, v15
	v_dual_fma_f32 v3, v2, v5, -v3 :: v_dual_cndmask_b32 v9, v9, v11, s1
	s_delay_alu instid0(VALU_DEP_4) | instskip(NEXT) | instid1(VALU_DEP_2)
	v_cmp_lt_f32_e64 s1, 0, v16
	v_add_f32_e32 v3, 0xa5417ca4, v3
	s_delay_alu instid0(VALU_DEP_1) | instskip(NEXT) | instid1(VALU_DEP_1)
	v_dual_cndmask_b32 v9, v9, v13, s1 :: v_dual_fma_f32 v5, v2, v3, -v5
	v_add_f32_e32 v5, 0x261edfcb, v5
	s_delay_alu instid0(VALU_DEP_1) | instskip(NEXT) | instid1(VALU_DEP_1)
	v_fma_f32 v3, v2, v5, -v3
	v_add_f32_e32 v3, 0xa7053487, v3
	s_delay_alu instid0(VALU_DEP_1) | instskip(NEXT) | instid1(VALU_DEP_1)
	v_fma_f32 v5, v2, v3, -v5
	;; [unrolled: 3-line block ×19, first 2 shown]
	v_add_f32_e32 v3, 0xbd00cfb9, v3
	s_delay_alu instid0(VALU_DEP_1) | instskip(SKIP_1) | instid1(VALU_DEP_1)
	v_fma_f32 v2, v2, v3, -v5
	v_mul_f32_e32 v3, 0x37800000, v9
	v_dual_add_f32 v2, 0x401c2ded, v2 :: v_dual_cndmask_b32 v3, v9, v3
	v_cmp_class_f32_e64 vcc_lo, v6, 0x260
	s_delay_alu instid0(VALU_DEP_2) | instskip(NEXT) | instid1(VALU_DEP_1)
	v_dual_sub_f32 v2, v2, v5 :: v_dual_cndmask_b32 v3, v3, v6
	v_mul_f32_e32 v2, 0.5, v2
	s_delay_alu instid0(VALU_DEP_1) | instskip(NEXT) | instid1(VALU_DEP_1)
	v_div_scale_f32 v5, null, v3, v3, v2
	v_rcp_f32_e32 v6, v5
	v_nop
	s_delay_alu instid0(TRANS32_DEP_1) | instskip(NEXT) | instid1(VALU_DEP_1)
	v_fma_f32 v9, -v5, v6, 1.0
	v_fmac_f32_e32 v6, v9, v6
	v_div_scale_f32 v9, vcc_lo, v2, v3, v2
	s_delay_alu instid0(VALU_DEP_1) | instskip(NEXT) | instid1(VALU_DEP_1)
	v_mul_f32_e32 v11, v9, v6
	v_fma_f32 v13, -v5, v11, v9
	s_delay_alu instid0(VALU_DEP_1) | instskip(NEXT) | instid1(VALU_DEP_1)
	v_fmac_f32_e32 v11, v13, v6
	v_fma_f32 v5, -v5, v11, v9
	s_delay_alu instid0(VALU_DEP_1) | instskip(NEXT) | instid1(VALU_DEP_1)
	v_div_fmas_f32 v5, v5, v6, v11
	v_div_fixup_f32 v2, v5, v3, v2
.LBB10_15:
	s_or_b32 exec_lo, exec_lo, s6
.LBB10_16:
	s_delay_alu instid0(SALU_CYCLE_1)
	s_or_b32 exec_lo, exec_lo, s5
.LBB10_17:
	s_delay_alu instid0(SALU_CYCLE_1) | instskip(SKIP_1) | instid1(VALU_DEP_1)
	s_or_b32 exec_lo, exec_lo, s4
	v_mov_b32_e32 v5, 0
	v_dual_mov_b32 v6, v5 :: v_dual_mov_b32 v3, v5
.LBB10_18:
	s_or_b32 exec_lo, exec_lo, s3
	s_delay_alu instid0(SALU_CYCLE_1)
	s_mov_b32 s3, exec_lo
	v_cmpx_lt_i32_e64 v18, v4
	s_cbranch_execz .LBB10_28
; %bb.19:
	v_mov_b32_e32 v5, 0x7f800000
	s_mov_b32 s4, exec_lo
	s_wait_loadcnt_dscnt 0x0
	v_cmpx_neq_f32_e32 0, v14
	s_cbranch_execz .LBB10_27
; %bb.20:
	v_mov_b32_e32 v5, 0x7fc00000
	s_mov_b32 s5, exec_lo
	v_cmpx_ngt_f32_e32 0, v14
	s_cbranch_execz .LBB10_26
; %bb.21:
	s_mov_b32 s1, exec_lo
	v_cmpx_ge_f32_e32 2.0, v14
	s_xor_b32 s6, exec_lo, s1
                                        ; implicit-def: $vgpr5
	s_cbranch_execz .LBB10_23
; %bb.22:
	v_mov_b32_e32 v15, 0.5
	s_mov_b32 s1, 0xa2a2e5b9
	v_mov_b64_e32 v[22:23], 0x3ad6e3ac293fd856
	s_mov_b32 s8, 0xa51e770f
	v_mov_b64_e32 v[26:27], 0xbb8db2f12d3612e2
	v_pk_fma_f32 v[16:17], v[14:15], v[14:15], -2.0 op_sel_hi:[0,1,0]
	v_mov_b64_e32 v[30:31], 0xbdc25b823aa5c174
	s_delay_alu instid0(VALU_DEP_2) | instskip(SKIP_1) | instid1(VALU_DEP_4)
	v_fmaak_f32 v5, s1, v17, 0x24199b15
	v_cmp_ngt_f32_e64 s1, 0xc2ce8ed0, v14
	v_mul_f32_e32 v24, 0x251e770f, v16
	s_delay_alu instid0(VALU_DEP_3) | instskip(NEXT) | instid1(VALU_DEP_1)
	v_fmaak_f32 v9, v17, v5, 0x22a2e5b9
	v_add_f32_e32 v9, 0xa58c275c, v9
	s_delay_alu instid0(VALU_DEP_1) | instskip(SKIP_1) | instid1(VALU_DEP_2)
	v_fma_f32 v5, v17, v9, -v5
	v_pk_mul_f32 v[28:29], v[14:15], v[14:15] op_sel_hi:[0,1]
	v_add_f32_e32 v5, 0x26f736c5, v5
	s_delay_alu instid0(VALU_DEP_2) | instskip(NEXT) | instid1(VALU_DEP_2)
	v_cmp_gt_f32_e32 vcc_lo, 0x800000, v29
	v_fma_f32 v9, v17, v5, -v9
	v_cndmask_b32_e64 v13, 0, 32, vcc_lo
	s_delay_alu instid0(VALU_DEP_2) | instskip(NEXT) | instid1(VALU_DEP_2)
	v_add_f32_e32 v9, 0xa8528116, v9
	v_ldexp_f32 v13, v29, v13
	s_delay_alu instid0(VALU_DEP_2) | instskip(NEXT) | instid1(VALU_DEP_1)
	v_fma_f32 v5, v17, v9, -v5
	v_add_f32_e32 v5, 0x29acda32, v5
	s_delay_alu instid0(VALU_DEP_1) | instskip(NEXT) | instid1(VALU_DEP_1)
	v_fma_f32 v9, v17, v5, -v9
	v_add_f32_e32 v9, 0xab08b263, v9
	s_delay_alu instid0(VALU_DEP_1) | instskip(NEXT) | instid1(VALU_DEP_1)
	;; [unrolled: 3-line block ×15, first 2 shown]
	v_fma_f32 v9, v17, v5, -v9
	v_add_f32_e32 v21, 0xba1717e9, v9
	s_delay_alu instid0(VALU_DEP_1) | instskip(SKIP_1) | instid1(VALU_DEP_2)
	v_fma_f32 v25, v17, v21, -v5
	v_mul_f32_e32 v5, 0x3fb8aa3b, v14
	v_pk_add_f32 v[22:23], v[24:25], v[22:23]
	s_delay_alu instid0(VALU_DEP_2) | instskip(SKIP_3) | instid1(VALU_DEP_4)
	v_rndne_f32_e32 v9, v5
	v_mov_b32_e32 v20, 0xa51e770f
	v_mov_b64_e32 v[24:25], s[8:9]
	v_fma_f32 v11, 0x3fb8aa3b, v14, -v5
	v_sub_f32_e32 v5, v5, v9
	s_delay_alu instid0(VALU_DEP_4) | instskip(SKIP_1) | instid1(VALU_DEP_4)
	v_pk_fma_f32 v[20:21], v[16:17], v[22:23], v[20:21] neg_lo:[0,0,1] neg_hi:[0,0,1]
	v_cvt_i32_f32_e32 v9, v9
	v_fmamk_f32 v11, v14, 0x32a5705f, v11
	v_pk_fma_f32 v[24:25], v[16:17], v[22:23], v[24:25]
	s_delay_alu instid0(VALU_DEP_4) | instskip(NEXT) | instid1(VALU_DEP_1)
	v_mov_b32_e32 v25, v21
	v_pk_add_f32 v[20:21], v[24:25], v[26:27]
	v_mov_b64_e32 v[24:25], 0x3c2ccb103102e09b
	v_mov_b64_e32 v[26:27], 0xc000000037bfc808
	s_delay_alu instid0(VALU_DEP_3) | instskip(NEXT) | instid1(VALU_DEP_1)
	v_pk_fma_f32 v[22:23], v[16:17], v[20:21], v[22:23] neg_lo:[0,0,1] neg_hi:[0,0,1]
	v_pk_add_f32 v[22:23], v[22:23], v[24:25]
	v_mov_b64_e32 v[24:25], 0xbcc274f8348815e7
	s_delay_alu instid0(VALU_DEP_2) | instskip(NEXT) | instid1(VALU_DEP_1)
	v_pk_fma_f32 v[20:21], v[16:17], v[22:23], v[20:21] neg_lo:[0,0,1] neg_hi:[0,0,1]
	v_pk_add_f32 v[20:21], v[20:21], v[24:25]
	v_mov_b64_e32 v[24:25], 0x3d49f45637bfc808
	s_delay_alu instid0(VALU_DEP_2) | instskip(NEXT) | instid1(VALU_DEP_1)
	v_pk_fma_f32 v[22:23], v[16:17], v[20:21], v[22:23] neg_lo:[0,0,1] neg_hi:[0,0,1]
	v_mov_b32_e32 v28, v22
	s_delay_alu instid0(VALU_DEP_2) | instskip(SKIP_1) | instid1(VALU_DEP_3)
	v_pk_add_f32 v[22:23], v[22:23], v[24:25]
	v_mov_b32_e32 v24, v16
	v_pk_add_f32 v[26:27], v[28:29], v[26:27]
	s_delay_alu instid0(VALU_DEP_3) | instskip(NEXT) | instid1(VALU_DEP_1)
	v_mov_b32_e32 v25, v23
	v_pk_fma_f32 v[20:21], v[26:27], v[24:25], v[20:21] neg_lo:[0,0,1] neg_hi:[0,0,1]
	v_mov_b64_e32 v[24:25], 0x3e2fbd643d135fb3
	s_delay_alu instid0(VALU_DEP_2) | instskip(NEXT) | instid1(VALU_DEP_1)
	v_pk_add_f32 v[20:21], v[20:21], v[30:31]
	v_pk_fma_f32 v[22:23], v[16:17], v[20:21], v[22:23] neg_lo:[0,0,1] neg_hi:[0,0,1]
	s_delay_alu instid0(VALU_DEP_1) | instskip(NEXT) | instid1(VALU_DEP_1)
	v_pk_add_f32 v[22:23], v[22:23], v[24:25]
	v_pk_fma_f32 v[20:21], v[16:17], v[22:23], v[20:21] neg_lo:[0,0,1] neg_hi:[0,0,1]
	v_add_f32_e32 v5, v5, v11
	v_log_f32_e32 v11, v13
	v_mov_b32_e32 v24, v22
	s_delay_alu instid0(VALU_DEP_3) | instskip(NEXT) | instid1(VALU_DEP_3)
	v_add_f32_e32 v20, 0x3eb046c4, v20
	v_exp_f32_e32 v5, v5
	v_add_f32_e32 v13, 0xbe9bff5e, v21
	s_delay_alu instid0(TRANS32_DEP_2) | instid1(VALU_DEP_2)
	v_dual_mul_f32 v19, 0x3f317217, v11 :: v_dual_mul_f32 v16, v16, v20
	s_delay_alu instid0(VALU_DEP_2) | instskip(NEXT) | instid1(TRANS32_DEP_1)
	v_fma_f32 v13, v17, v13, -v23
	v_ldexp_f32 v5, v5, v9
	s_delay_alu instid0(VALU_DEP_3) | instskip(NEXT) | instid1(VALU_DEP_3)
	v_fma_f32 v9, 0x3f317217, v11, -v19
	v_add_f32_e32 v17, 0x3f2d4275, v13
	s_delay_alu instid0(VALU_DEP_3) | instskip(NEXT) | instid1(VALU_DEP_3)
	v_cndmask_b32_e64 v5, 0, v5, s1
	v_fmamk_f32 v9, v11, 0x3377d1cf, v9
	v_cmp_nlt_f32_e64 s1, 0x42b17218, v14
	s_delay_alu instid0(VALU_DEP_4) | instskip(NEXT) | instid1(VALU_DEP_3)
	v_pk_add_f32 v[16:17], v[16:17], v[22:23] neg_lo:[0,1] neg_hi:[0,1]
	v_fmac_f32_e32 v9, 0x3f317217, v11
	s_delay_alu instid0(VALU_DEP_3) | instskip(SKIP_4) | instid1(VALU_DEP_1)
	v_cndmask_b32_e64 v25, 0x7f800000, v5, s1
	v_cndmask_b32_e64 v5, 0, 0x41b17218, vcc_lo
	v_cmp_gt_f32_e64 vcc_lo, 0x7f800000, |v11|
	v_pk_mul_f32 v[26:27], v[16:17], v[14:15]
	v_dual_cndmask_b32 v9, v11, v9 :: v_dual_mov_b32 v20, 0xbf090b37
	v_pk_add_f32 v[16:17], v[16:17], v[20:21]
	s_delay_alu instid0(VALU_DEP_3) | instskip(NEXT) | instid1(VALU_DEP_3)
	v_pk_mul_f32 v[20:21], v[26:27], v[24:25]
	v_dual_sub_f32 v27, v9, v5 :: v_dual_mov_b32 v26, v15
	s_delay_alu instid0(VALU_DEP_3) | instskip(NEXT) | instid1(VALU_DEP_3)
	v_pk_add_f32 v[16:17], v[16:17], v[22:23] neg_lo:[0,1] neg_hi:[0,1]
	v_mov_b32_e32 v17, v21
	s_delay_alu instid0(VALU_DEP_1) | instskip(NEXT) | instid1(VALU_DEP_1)
	v_pk_mul_f32 v[14:15], v[26:27], v[16:17]
	v_sub_f32_e32 v5, v14, v15
                                        ; implicit-def: $vgpr14
	s_delay_alu instid0(VALU_DEP_1)
	v_mul_f32_e32 v5, v25, v5
.LBB10_23:
	s_and_not1_saveexec_b32 s6, s6
	s_cbranch_execz .LBB10_25
; %bb.24:
	v_div_scale_f32 v5, null, v14, v14, 0x41000000
	v_div_scale_f32 v13, vcc_lo, 0x41000000, v14, 0x41000000
	s_mov_b32 s1, 0x22c38d2e
	v_rcp_f32_e32 v9, v5
	v_nop
	s_delay_alu instid0(TRANS32_DEP_1) | instskip(NEXT) | instid1(VALU_DEP_1)
	v_fma_f32 v11, -v5, v9, 1.0
	v_fmac_f32_e32 v9, v11, v9
	s_delay_alu instid0(VALU_DEP_1) | instskip(NEXT) | instid1(VALU_DEP_1)
	v_mul_f32_e32 v11, v13, v9
	v_fma_f32 v15, -v5, v11, v13
	s_delay_alu instid0(VALU_DEP_1) | instskip(NEXT) | instid1(VALU_DEP_1)
	v_fmac_f32_e32 v11, v15, v9
	v_fma_f32 v5, -v5, v11, v13
	v_mul_f32_e32 v13, 0x4f800000, v14
	s_delay_alu instid0(VALU_DEP_2) | instskip(SKIP_1) | instid1(VALU_DEP_2)
	v_div_fmas_f32 v5, v5, v9, v11
	v_cmp_gt_f32_e32 vcc_lo, 0xf800000, v14
	v_div_fixup_f32 v5, v5, v14, 0x41000000
	s_delay_alu instid0(VALU_DEP_4) | instskip(NEXT) | instid1(VALU_DEP_1)
	v_cndmask_b32_e32 v13, v14, v13, vcc_lo
	v_sqrt_f32_e32 v14, v13
	v_nop
	s_delay_alu instid0(TRANS32_DEP_1) | instskip(NEXT) | instid1(VALU_DEP_1)
	v_dual_add_f32 v5, -2.0, v5 :: v_dual_add_nc_u32 v16, 1, v14
	v_dual_add_nc_u32 v15, -1, v14 :: v_dual_fma_f32 v19, -v16, v14, v13
	s_delay_alu instid0(VALU_DEP_2) | instskip(NEXT) | instid1(VALU_DEP_2)
	v_fmaak_f32 v9, s1, v5, 0xa397f665
	v_fma_f32 v17, -v15, v14, v13
	s_delay_alu instid0(VALU_DEP_2) | instskip(NEXT) | instid1(VALU_DEP_2)
	v_fmaak_f32 v11, v5, v9, 0xa2c38d2e
	v_cmp_ge_f32_e64 s1, 0, v17
	s_delay_alu instid0(VALU_DEP_2) | instskip(NEXT) | instid1(VALU_DEP_2)
	v_add_f32_e32 v11, 0x24704972, v11
	v_cndmask_b32_e64 v14, v14, v15, s1
	v_cmp_lt_f32_e64 s1, 0, v19
	s_delay_alu instid0(VALU_DEP_1) | instskip(NEXT) | instid1(VALU_DEP_1)
	v_dual_fma_f32 v9, v5, v11, -v9 :: v_dual_cndmask_b32 v14, v14, v16, s1
	v_add_f32_e32 v9, 0xa5417ca4, v9
	s_delay_alu instid0(VALU_DEP_1) | instskip(NEXT) | instid1(VALU_DEP_1)
	v_fma_f32 v11, v5, v9, -v11
	v_add_f32_e32 v11, 0x261edfcb, v11
	s_delay_alu instid0(VALU_DEP_1) | instskip(NEXT) | instid1(VALU_DEP_1)
	v_fma_f32 v9, v5, v11, -v9
	;; [unrolled: 3-line block ×20, first 2 shown]
	v_add_f32_e32 v9, 0xbd00cfb9, v9
	s_delay_alu instid0(VALU_DEP_1) | instskip(SKIP_1) | instid1(VALU_DEP_2)
	v_fma_f32 v5, v5, v9, -v11
	v_mul_f32_e32 v9, 0x37800000, v14
	v_add_f32_e32 v5, 0x401c2ded, v5
	s_delay_alu instid0(VALU_DEP_2) | instskip(SKIP_1) | instid1(VALU_DEP_3)
	v_cndmask_b32_e32 v9, v14, v9, vcc_lo
	v_cmp_class_f32_e64 vcc_lo, v13, 0x260
	v_sub_f32_e32 v5, v5, v11
	s_delay_alu instid0(VALU_DEP_3) | instskip(NEXT) | instid1(VALU_DEP_2)
	v_cndmask_b32_e32 v9, v9, v13, vcc_lo
	v_mul_f32_e32 v5, 0.5, v5
	s_delay_alu instid0(VALU_DEP_1) | instskip(NEXT) | instid1(VALU_DEP_1)
	v_div_scale_f32 v11, null, v9, v9, v5
	v_rcp_f32_e32 v13, v11
	v_nop
	s_delay_alu instid0(TRANS32_DEP_1) | instskip(NEXT) | instid1(VALU_DEP_1)
	v_fma_f32 v14, -v11, v13, 1.0
	v_fmac_f32_e32 v13, v14, v13
	v_div_scale_f32 v14, vcc_lo, v5, v9, v5
	s_delay_alu instid0(VALU_DEP_1) | instskip(NEXT) | instid1(VALU_DEP_1)
	v_mul_f32_e32 v15, v14, v13
	v_fma_f32 v16, -v11, v15, v14
	s_delay_alu instid0(VALU_DEP_1) | instskip(NEXT) | instid1(VALU_DEP_1)
	v_fmac_f32_e32 v15, v16, v13
	v_fma_f32 v11, -v11, v15, v14
	s_delay_alu instid0(VALU_DEP_1) | instskip(NEXT) | instid1(VALU_DEP_1)
	v_div_fmas_f32 v11, v11, v13, v15
	v_div_fixup_f32 v5, v11, v9, v5
.LBB10_25:
	s_or_b32 exec_lo, exec_lo, s6
.LBB10_26:
	s_delay_alu instid0(SALU_CYCLE_1)
	s_or_b32 exec_lo, exec_lo, s5
.LBB10_27:
	s_delay_alu instid0(SALU_CYCLE_1)
	s_or_b32 exec_lo, exec_lo, s4
.LBB10_28:
	s_delay_alu instid0(SALU_CYCLE_1) | instskip(SKIP_2) | instid1(VALU_DEP_1)
	s_or_b32 exec_lo, exec_lo, s3
	v_add_nc_u32_e32 v9, 0x200, v7
	s_mov_b32 s3, exec_lo
	v_cmpx_lt_i32_e64 v9, v4
	s_cbranch_execz .LBB10_38
; %bb.29:
	v_mov_b32_e32 v6, 0x7f800000
	s_mov_b32 s4, exec_lo
	s_wait_loadcnt_dscnt 0x0
	v_cmpx_neq_f32_e32 0, v12
	s_cbranch_execz .LBB10_37
; %bb.30:
	v_mov_b32_e32 v6, 0x7fc00000
	s_mov_b32 s5, exec_lo
	v_cmpx_ngt_f32_e32 0, v12
	s_cbranch_execz .LBB10_36
; %bb.31:
	s_mov_b32 s1, exec_lo
	v_cmpx_ge_f32_e32 2.0, v12
	s_xor_b32 s6, exec_lo, s1
                                        ; implicit-def: $vgpr6
	s_cbranch_execz .LBB10_33
; %bb.32:
	s_mov_b32 s1, 0xa2a2e5b9
	v_mov_b32_e32 v13, 0.5
	v_mov_b64_e32 v[20:21], 0x3ad6e3ac293fd856
	v_mov_b32_e32 v16, 0xa51e770f
	s_mov_b32 s8, 0xa51e770f
	v_mov_b64_e32 v[24:25], 0xbb8db2f12d3612e2
	v_pk_fma_f32 v[14:15], v[12:13], v[12:13], -2.0 op_sel_hi:[0,1,0]
	v_mov_b64_e32 v[28:29], 0xbdc25b823aa5c174
	s_delay_alu instid0(VALU_DEP_2) | instskip(SKIP_1) | instid1(VALU_DEP_4)
	v_fmaak_f32 v6, s1, v15, 0x24199b15
	v_cmp_ngt_f32_e64 s1, 0xc2ce8ed0, v12
	v_mul_f32_e32 v22, 0x251e770f, v14
	v_pk_mul_f32 v[26:27], v[12:13], v[12:13] op_sel_hi:[0,1]
	s_delay_alu instid0(VALU_DEP_4) | instskip(NEXT) | instid1(VALU_DEP_2)
	v_fmaak_f32 v9, v15, v6, 0x22a2e5b9
	v_cmp_gt_f32_e32 vcc_lo, 0x800000, v27
	s_delay_alu instid0(VALU_DEP_2) | instskip(SKIP_1) | instid1(VALU_DEP_2)
	v_add_f32_e32 v9, 0xa58c275c, v9
	v_cndmask_b32_e64 v19, 0, 32, vcc_lo
	v_fma_f32 v6, v15, v9, -v6
	s_delay_alu instid0(VALU_DEP_2) | instskip(NEXT) | instid1(VALU_DEP_2)
	v_ldexp_f32 v19, v27, v19
	v_add_f32_e32 v6, 0x26f736c5, v6
	s_delay_alu instid0(VALU_DEP_1) | instskip(NEXT) | instid1(VALU_DEP_1)
	v_fma_f32 v9, v15, v6, -v9
	v_add_f32_e32 v9, 0xa8528116, v9
	s_delay_alu instid0(VALU_DEP_1) | instskip(NEXT) | instid1(VALU_DEP_1)
	v_fma_f32 v6, v15, v9, -v6
	;; [unrolled: 3-line block ×17, first 2 shown]
	v_add_f32_e32 v17, 0xba1717e9, v9
	s_delay_alu instid0(VALU_DEP_1) | instskip(SKIP_1) | instid1(VALU_DEP_2)
	v_fma_f32 v23, v15, v17, -v6
	v_mul_f32_e32 v6, 0x3fb8aa3b, v12
	v_pk_add_f32 v[20:21], v[22:23], v[20:21]
	s_delay_alu instid0(VALU_DEP_2) | instskip(SKIP_2) | instid1(VALU_DEP_3)
	v_rndne_f32_e32 v9, v6
	v_mov_b64_e32 v[22:23], s[8:9]
	v_fma_f32 v11, 0x3fb8aa3b, v12, -v6
	v_sub_f32_e32 v6, v6, v9
	v_pk_fma_f32 v[16:17], v[14:15], v[20:21], v[16:17] neg_lo:[0,0,1] neg_hi:[0,0,1]
	s_delay_alu instid0(VALU_DEP_3) | instskip(SKIP_2) | instid1(VALU_DEP_3)
	v_fmamk_f32 v11, v12, 0x32a5705f, v11
	v_pk_fma_f32 v[22:23], v[14:15], v[20:21], v[22:23]
	v_cvt_i32_f32_e32 v9, v9
	v_dual_mov_b32 v23, v17 :: v_dual_add_f32 v6, v6, v11
	v_log_f32_e32 v11, v19
	s_delay_alu instid0(VALU_DEP_1) | instskip(SKIP_3) | instid1(TRANS32_DEP_2)
	v_pk_add_f32 v[16:17], v[22:23], v[24:25]
	v_mov_b64_e32 v[22:23], 0x3c2ccb103102e09b
	v_mov_b64_e32 v[24:25], 0xc000000037bfc808
	v_exp_f32_e32 v6, v6
	v_mul_f32_e32 v19, 0x3f317217, v11
	v_pk_fma_f32 v[20:21], v[14:15], v[16:17], v[20:21] neg_lo:[0,0,1] neg_hi:[0,0,1]
	s_delay_alu instid0(TRANS32_DEP_1) | instskip(NEXT) | instid1(VALU_DEP_2)
	v_ldexp_f32 v6, v6, v9
	v_pk_add_f32 v[20:21], v[20:21], v[22:23]
	v_mov_b64_e32 v[22:23], 0xbcc274f8348815e7
	v_fma_f32 v9, 0x3f317217, v11, -v19
	s_delay_alu instid0(VALU_DEP_3) | instskip(NEXT) | instid1(VALU_DEP_2)
	v_pk_fma_f32 v[16:17], v[14:15], v[20:21], v[16:17] neg_lo:[0,0,1] neg_hi:[0,0,1]
	v_fmamk_f32 v9, v11, 0x3377d1cf, v9
	s_delay_alu instid0(VALU_DEP_2) | instskip(SKIP_1) | instid1(VALU_DEP_3)
	v_pk_add_f32 v[16:17], v[16:17], v[22:23]
	v_mov_b64_e32 v[22:23], 0x3d49f45637bfc808
	v_fmac_f32_e32 v9, 0x3f317217, v11
	s_delay_alu instid0(VALU_DEP_3) | instskip(NEXT) | instid1(VALU_DEP_1)
	v_pk_fma_f32 v[20:21], v[14:15], v[16:17], v[20:21] neg_lo:[0,0,1] neg_hi:[0,0,1]
	v_mov_b32_e32 v26, v20
	s_delay_alu instid0(VALU_DEP_2) | instskip(SKIP_1) | instid1(VALU_DEP_3)
	v_pk_add_f32 v[20:21], v[20:21], v[22:23]
	v_mov_b32_e32 v22, v14
	v_pk_add_f32 v[24:25], v[26:27], v[24:25]
	s_delay_alu instid0(VALU_DEP_3) | instskip(NEXT) | instid1(VALU_DEP_1)
	v_mov_b32_e32 v23, v21
	v_pk_fma_f32 v[16:17], v[24:25], v[22:23], v[16:17] neg_lo:[0,0,1] neg_hi:[0,0,1]
	v_mov_b64_e32 v[22:23], 0x3e2fbd643d135fb3
	v_mov_b32_e32 v24, v13
	s_delay_alu instid0(VALU_DEP_3) | instskip(NEXT) | instid1(VALU_DEP_1)
	v_pk_add_f32 v[16:17], v[16:17], v[28:29]
	v_pk_fma_f32 v[20:21], v[14:15], v[16:17], v[20:21] neg_lo:[0,0,1] neg_hi:[0,0,1]
	s_delay_alu instid0(VALU_DEP_1) | instskip(NEXT) | instid1(VALU_DEP_1)
	v_pk_add_f32 v[20:21], v[20:21], v[22:23]
	v_pk_fma_f32 v[16:17], v[14:15], v[20:21], v[16:17] neg_lo:[0,0,1] neg_hi:[0,0,1]
	s_delay_alu instid0(VALU_DEP_1) | instskip(NEXT) | instid1(VALU_DEP_2)
	v_add_f32_e32 v17, 0xbe9bff5e, v17
	v_add_f32_e32 v16, 0x3eb046c4, v16
	s_delay_alu instid0(VALU_DEP_1) | instskip(SKIP_3) | instid1(VALU_DEP_4)
	v_dual_fma_f32 v15, v15, v17, -v21 :: v_dual_mul_f32 v14, v14, v16
	v_cndmask_b32_e64 v16, 0, v6, s1
	v_cmp_nlt_f32_e64 s1, 0x42b17218, v12
	v_mov_b32_e32 v6, 0xbf090b37
	v_add_f32_e32 v15, 0x3f2d4275, v15
	s_delay_alu instid0(VALU_DEP_3) | instskip(SKIP_1) | instid1(VALU_DEP_3)
	v_cndmask_b32_e64 v17, 0x7f800000, v16, s1
	v_mov_b32_e32 v16, v20
	v_pk_add_f32 v[14:15], v[14:15], v[20:21] neg_lo:[0,1] neg_hi:[0,1]
	s_delay_alu instid0(VALU_DEP_1) | instskip(SKIP_3) | instid1(VALU_DEP_4)
	v_pk_mul_f32 v[22:23], v[14:15], v[12:13]
	v_cndmask_b32_e64 v12, 0, 0x41b17218, vcc_lo
	v_cmp_gt_f32_e64 vcc_lo, 0x7f800000, |v11|
	v_pk_add_f32 v[14:15], v[14:15], v[6:7]
	v_pk_mul_f32 v[22:23], v[22:23], v[16:17]
	v_cndmask_b32_e32 v9, v11, v9, vcc_lo
	s_delay_alu instid0(VALU_DEP_3) | instskip(NEXT) | instid1(VALU_DEP_2)
	v_pk_add_f32 v[14:15], v[14:15], v[20:21] neg_lo:[0,1] neg_hi:[0,1]
	v_dual_mov_b32 v15, v23 :: v_dual_sub_f32 v25, v9, v12
	s_delay_alu instid0(VALU_DEP_1) | instskip(NEXT) | instid1(VALU_DEP_1)
	v_pk_mul_f32 v[12:13], v[24:25], v[14:15]
	v_sub_f32_e32 v6, v12, v13
                                        ; implicit-def: $vgpr12
	s_delay_alu instid0(VALU_DEP_1)
	v_mul_f32_e32 v6, v17, v6
.LBB10_33:
	s_and_not1_saveexec_b32 s6, s6
	s_cbranch_execz .LBB10_35
; %bb.34:
	v_div_scale_f32 v6, null, v12, v12, 0x41000000
	v_div_scale_f32 v13, vcc_lo, 0x41000000, v12, 0x41000000
	s_mov_b32 s1, 0x22c38d2e
	v_rcp_f32_e32 v9, v6
	v_nop
	s_delay_alu instid0(TRANS32_DEP_1) | instskip(NEXT) | instid1(VALU_DEP_1)
	v_fma_f32 v11, -v6, v9, 1.0
	v_fmac_f32_e32 v9, v11, v9
	s_delay_alu instid0(VALU_DEP_1) | instskip(NEXT) | instid1(VALU_DEP_1)
	v_mul_f32_e32 v11, v13, v9
	v_fma_f32 v14, -v6, v11, v13
	s_delay_alu instid0(VALU_DEP_1) | instskip(NEXT) | instid1(VALU_DEP_1)
	v_fmac_f32_e32 v11, v14, v9
	v_fma_f32 v6, -v6, v11, v13
	v_mul_f32_e32 v13, 0x4f800000, v12
	s_delay_alu instid0(VALU_DEP_2) | instskip(SKIP_1) | instid1(VALU_DEP_2)
	v_div_fmas_f32 v6, v6, v9, v11
	v_cmp_gt_f32_e32 vcc_lo, 0xf800000, v12
	v_div_fixup_f32 v6, v6, v12, 0x41000000
	s_delay_alu instid0(VALU_DEP_1) | instskip(NEXT) | instid1(VALU_DEP_1)
	v_dual_cndmask_b32 v12, v12, v13, vcc_lo :: v_dual_add_f32 v6, -2.0, v6
	v_sqrt_f32_e32 v13, v12
	v_nop
	s_delay_alu instid0(TRANS32_DEP_1) | instskip(SKIP_1) | instid1(VALU_DEP_2)
	v_dual_fmaak_f32 v9, s1, v6, 0xa397f665 :: v_dual_add_nc_u32 v14, -1, v13
	v_add_nc_u32_e32 v15, 1, v13
	v_fmaak_f32 v11, v6, v9, 0xa2c38d2e
	s_delay_alu instid0(VALU_DEP_2) | instskip(NEXT) | instid1(VALU_DEP_2)
	v_dual_fma_f32 v16, -v14, v13, v12 :: v_dual_fma_f32 v17, -v15, v13, v12
	v_add_f32_e32 v11, 0x24704972, v11
	s_delay_alu instid0(VALU_DEP_2) | instskip(NEXT) | instid1(VALU_DEP_1)
	v_cmp_ge_f32_e64 s1, 0, v16
	v_dual_fma_f32 v9, v6, v11, -v9 :: v_dual_cndmask_b32 v13, v13, v14, s1
	s_delay_alu instid0(VALU_DEP_4) | instskip(NEXT) | instid1(VALU_DEP_2)
	v_cmp_lt_f32_e64 s1, 0, v17
	v_add_f32_e32 v9, 0xa5417ca4, v9
	s_delay_alu instid0(VALU_DEP_1) | instskip(NEXT) | instid1(VALU_DEP_1)
	v_dual_cndmask_b32 v13, v13, v15, s1 :: v_dual_fma_f32 v11, v6, v9, -v11
	v_add_f32_e32 v11, 0x261edfcb, v11
	s_delay_alu instid0(VALU_DEP_1) | instskip(NEXT) | instid1(VALU_DEP_1)
	v_fma_f32 v9, v6, v11, -v9
	v_add_f32_e32 v9, 0xa7053487, v9
	s_delay_alu instid0(VALU_DEP_1) | instskip(NEXT) | instid1(VALU_DEP_1)
	v_fma_f32 v11, v6, v9, -v11
	;; [unrolled: 3-line block ×19, first 2 shown]
	v_add_f32_e32 v9, 0xbd00cfb9, v9
	s_delay_alu instid0(VALU_DEP_1) | instskip(SKIP_1) | instid1(VALU_DEP_1)
	v_fma_f32 v6, v6, v9, -v11
	v_mul_f32_e32 v9, 0x37800000, v13
	v_dual_add_f32 v6, 0x401c2ded, v6 :: v_dual_cndmask_b32 v9, v13, v9
	v_cmp_class_f32_e64 vcc_lo, v12, 0x260
	s_delay_alu instid0(VALU_DEP_2) | instskip(NEXT) | instid1(VALU_DEP_1)
	v_dual_sub_f32 v6, v6, v11 :: v_dual_cndmask_b32 v9, v9, v12
	v_mul_f32_e32 v6, 0.5, v6
	s_delay_alu instid0(VALU_DEP_1) | instskip(NEXT) | instid1(VALU_DEP_1)
	v_div_scale_f32 v11, null, v9, v9, v6
	v_rcp_f32_e32 v12, v11
	v_nop
	s_delay_alu instid0(TRANS32_DEP_1) | instskip(NEXT) | instid1(VALU_DEP_1)
	v_fma_f32 v13, -v11, v12, 1.0
	v_fmac_f32_e32 v12, v13, v12
	v_div_scale_f32 v13, vcc_lo, v6, v9, v6
	s_delay_alu instid0(VALU_DEP_1) | instskip(NEXT) | instid1(VALU_DEP_1)
	v_mul_f32_e32 v14, v13, v12
	v_fma_f32 v15, -v11, v14, v13
	s_delay_alu instid0(VALU_DEP_1) | instskip(NEXT) | instid1(VALU_DEP_1)
	v_fmac_f32_e32 v14, v15, v12
	v_fma_f32 v11, -v11, v14, v13
	s_delay_alu instid0(VALU_DEP_1) | instskip(NEXT) | instid1(VALU_DEP_1)
	v_div_fmas_f32 v11, v11, v12, v14
	v_div_fixup_f32 v6, v11, v9, v6
.LBB10_35:
	s_or_b32 exec_lo, exec_lo, s6
.LBB10_36:
	s_delay_alu instid0(SALU_CYCLE_1)
	s_or_b32 exec_lo, exec_lo, s5
.LBB10_37:
	s_delay_alu instid0(SALU_CYCLE_1)
	s_or_b32 exec_lo, exec_lo, s4
.LBB10_38:
	s_delay_alu instid0(SALU_CYCLE_1) | instskip(SKIP_2) | instid1(VALU_DEP_1)
	s_or_b32 exec_lo, exec_lo, s3
	v_add_nc_u32_e32 v9, 0x300, v7
	s_mov_b32 s3, exec_lo
	v_cmpx_lt_i32_e64 v9, v4
	s_cbranch_execnz .LBB10_44
; %bb.39:
	s_or_b32 exec_lo, exec_lo, s3
	s_and_saveexec_b32 s1, s0
	s_delay_alu instid0(SALU_CYCLE_1)
	s_xor_b32 s0, exec_lo, s1
	s_cbranch_execnz .LBB10_53
.LBB10_40:
	s_or_b32 exec_lo, exec_lo, s0
	s_delay_alu instid0(SALU_CYCLE_1)
	s_mov_b32 s0, exec_lo
	v_cmpx_lt_i32_e64 v7, v4
	s_cbranch_execnz .LBB10_54
.LBB10_41:
	s_or_b32 exec_lo, exec_lo, s0
	s_delay_alu instid0(SALU_CYCLE_1)
	s_mov_b32 s0, exec_lo
	v_cmpx_lt_i32_e64 v7, v4
	s_cbranch_execnz .LBB10_55
.LBB10_42:
	s_or_b32 exec_lo, exec_lo, s0
	s_delay_alu instid0(SALU_CYCLE_1)
	s_mov_b32 s0, exec_lo
	v_cmpx_lt_i32_e64 v7, v4
	s_cbranch_execnz .LBB10_56
.LBB10_43:
	s_or_b32 exec_lo, exec_lo, s0
	s_wait_loadcnt_dscnt 0x0
	s_set_pc_i64 s[30:31]
.LBB10_44:
	v_mov_b32_e32 v3, 0x7f800000
	s_mov_b32 s4, exec_lo
	s_wait_loadcnt_dscnt 0x0
	v_cmpx_neq_f32_e32 0, v10
	s_cbranch_execz .LBB10_52
; %bb.45:
	v_mov_b32_e32 v3, 0x7fc00000
	s_mov_b32 s5, exec_lo
	v_cmpx_ngt_f32_e32 0, v10
	s_cbranch_execz .LBB10_51
; %bb.46:
	s_mov_b32 s1, exec_lo
	v_cmpx_ge_f32_e32 2.0, v10
	s_xor_b32 s6, exec_lo, s1
                                        ; implicit-def: $vgpr3
	s_cbranch_execz .LBB10_48
; %bb.47:
	v_mov_b32_e32 v11, 0.5
	s_mov_b32 s1, 0xa2a2e5b9
	v_mov_b64_e32 v[16:17], 0x3ad6e3ac293fd856
	s_mov_b32 s8, 0xa51e770f
	v_mov_b64_e32 v[22:23], 0xbb8db2f12d3612e2
	v_pk_fma_f32 v[12:13], v[10:11], v[10:11], -2.0 op_sel_hi:[0,1,0]
	v_mov_b64_e32 v[26:27], 0xbdc25b823aa5c174
	s_delay_alu instid0(VALU_DEP_2) | instskip(SKIP_1) | instid1(VALU_DEP_4)
	v_fmaak_f32 v3, s1, v13, 0x24199b15
	v_cmp_ngt_f32_e64 s1, 0xc2ce8ed0, v10
	v_mul_f32_e32 v20, 0x251e770f, v12
	s_delay_alu instid0(VALU_DEP_3) | instskip(NEXT) | instid1(VALU_DEP_1)
	v_fmaak_f32 v9, v13, v3, 0x22a2e5b9
	v_add_f32_e32 v9, 0xa58c275c, v9
	s_delay_alu instid0(VALU_DEP_1) | instskip(SKIP_1) | instid1(VALU_DEP_2)
	v_fma_f32 v3, v13, v9, -v3
	v_pk_mul_f32 v[24:25], v[10:11], v[10:11] op_sel_hi:[0,1]
	v_add_f32_e32 v3, 0x26f736c5, v3
	s_delay_alu instid0(VALU_DEP_2) | instskip(NEXT) | instid1(VALU_DEP_2)
	v_cmp_gt_f32_e32 vcc_lo, 0x800000, v25
	v_fma_f32 v9, v13, v3, -v9
	s_delay_alu instid0(VALU_DEP_1) | instskip(NEXT) | instid1(VALU_DEP_1)
	v_add_f32_e32 v9, 0xa8528116, v9
	v_fma_f32 v3, v13, v9, -v3
	s_delay_alu instid0(VALU_DEP_1) | instskip(NEXT) | instid1(VALU_DEP_1)
	v_add_f32_e32 v3, 0x29acda32, v3
	;; [unrolled: 3-line block ×17, first 2 shown]
	v_fma_f32 v21, v13, v15, -v3
	v_mul_f32_e32 v3, 0x3fb8aa3b, v10
	s_delay_alu instid0(VALU_DEP_1) | instskip(SKIP_1) | instid1(VALU_DEP_2)
	v_rndne_f32_e32 v9, v3
	v_fma_f32 v19, 0x3fb8aa3b, v10, -v3
	v_sub_f32_e32 v3, v3, v9
	v_pk_add_f32 v[16:17], v[20:21], v[16:17]
	s_delay_alu instid0(VALU_DEP_3) | instskip(SKIP_3) | instid1(VALU_DEP_4)
	v_fmamk_f32 v19, v10, 0x32a5705f, v19
	v_mov_b32_e32 v14, 0xa51e770f
	v_mov_b64_e32 v[20:21], s[8:9]
	v_cvt_i32_f32_e32 v9, v9
	v_add_f32_e32 v3, v3, v19
	s_delay_alu instid0(VALU_DEP_4) | instskip(NEXT) | instid1(VALU_DEP_4)
	v_pk_fma_f32 v[14:15], v[12:13], v[16:17], v[14:15] neg_lo:[0,0,1] neg_hi:[0,0,1]
	v_pk_fma_f32 v[20:21], v[12:13], v[16:17], v[20:21]
	s_delay_alu instid0(VALU_DEP_3) | instskip(NEXT) | instid1(VALU_DEP_2)
	v_exp_f32_e32 v3, v3
	v_mov_b32_e32 v21, v15
	s_delay_alu instid0(VALU_DEP_1) | instskip(SKIP_2) | instid1(TRANS32_DEP_1)
	v_pk_add_f32 v[14:15], v[20:21], v[22:23]
	v_mov_b64_e32 v[20:21], 0x3c2ccb103102e09b
	v_mov_b64_e32 v[22:23], 0xc000000037bfc808
	v_ldexp_f32 v3, v3, v9
	s_delay_alu instid0(VALU_DEP_4) | instskip(NEXT) | instid1(VALU_DEP_2)
	v_pk_fma_f32 v[16:17], v[12:13], v[14:15], v[16:17] neg_lo:[0,0,1] neg_hi:[0,0,1]
	v_cndmask_b32_e64 v3, 0, v3, s1
	v_cmp_nlt_f32_e64 s1, 0x42b17218, v10
	s_delay_alu instid0(VALU_DEP_3) | instskip(SKIP_1) | instid1(VALU_DEP_2)
	v_pk_add_f32 v[16:17], v[16:17], v[20:21]
	v_mov_b64_e32 v[20:21], 0xbcc274f8348815e7
	v_pk_fma_f32 v[14:15], v[12:13], v[16:17], v[14:15] neg_lo:[0,0,1] neg_hi:[0,0,1]
	s_delay_alu instid0(VALU_DEP_1) | instskip(SKIP_1) | instid1(VALU_DEP_2)
	v_pk_add_f32 v[14:15], v[14:15], v[20:21]
	v_mov_b64_e32 v[20:21], 0x3d49f45637bfc808
	v_pk_fma_f32 v[16:17], v[12:13], v[14:15], v[16:17] neg_lo:[0,0,1] neg_hi:[0,0,1]
	s_delay_alu instid0(VALU_DEP_1) | instskip(NEXT) | instid1(VALU_DEP_2)
	v_mov_b32_e32 v24, v16
	v_pk_add_f32 v[16:17], v[16:17], v[20:21]
	v_mov_b32_e32 v20, v12
	s_delay_alu instid0(VALU_DEP_3) | instskip(NEXT) | instid1(VALU_DEP_3)
	v_pk_add_f32 v[22:23], v[24:25], v[22:23]
	v_mov_b32_e32 v21, v17
	s_delay_alu instid0(VALU_DEP_1) | instskip(SKIP_2) | instid1(VALU_DEP_3)
	v_pk_fma_f32 v[14:15], v[22:23], v[20:21], v[14:15] neg_lo:[0,0,1] neg_hi:[0,0,1]
	v_mov_b64_e32 v[20:21], 0x3e2fbd643d135fb3
	v_cndmask_b32_e64 v22, 0, 32, vcc_lo
	v_pk_add_f32 v[14:15], v[14:15], v[26:27]
	s_delay_alu instid0(VALU_DEP_1) | instskip(NEXT) | instid1(VALU_DEP_1)
	v_pk_fma_f32 v[16:17], v[12:13], v[14:15], v[16:17] neg_lo:[0,0,1] neg_hi:[0,0,1]
	v_pk_add_f32 v[16:17], v[16:17], v[20:21]
	s_delay_alu instid0(VALU_DEP_4) | instskip(SKIP_2) | instid1(VALU_DEP_4)
	v_ldexp_f32 v20, v25, v22
	v_cndmask_b32_e64 v21, 0x7f800000, v3, s1
	v_cndmask_b32_e64 v3, 0, 0x41b17218, vcc_lo
	v_pk_fma_f32 v[14:15], v[12:13], v[16:17], v[14:15] neg_lo:[0,0,1] neg_hi:[0,0,1]
	s_delay_alu instid0(VALU_DEP_4) | instskip(NEXT) | instid1(VALU_DEP_1)
	v_log_f32_e32 v19, v20
	v_add_f32_e32 v15, 0xbe9bff5e, v15
	s_delay_alu instid0(TRANS32_DEP_1) | instskip(SKIP_1) | instid1(VALU_DEP_3)
	v_mul_f32_e32 v20, 0x3f317217, v19
	v_cmp_gt_f32_e64 vcc_lo, 0x7f800000, |v19|
	v_fma_f32 v13, v13, v15, -v17
	s_delay_alu instid0(VALU_DEP_3) | instskip(NEXT) | instid1(VALU_DEP_2)
	v_fma_f32 v9, 0x3f317217, v19, -v20
	v_dual_mov_b32 v20, v16 :: v_dual_add_f32 v13, 0x3f2d4275, v13
	s_delay_alu instid0(VALU_DEP_2) | instskip(NEXT) | instid1(VALU_DEP_1)
	v_fmamk_f32 v9, v19, 0x3377d1cf, v9
	v_fmac_f32_e32 v9, 0x3f317217, v19
	s_delay_alu instid0(VALU_DEP_1) | instskip(NEXT) | instid1(VALU_DEP_1)
	v_dual_cndmask_b32 v9, v19, v9 :: v_dual_add_f32 v14, 0x3eb046c4, v14
	v_mul_f32_e32 v12, v12, v14
	v_mov_b32_e32 v14, 0xbf090b37
	s_delay_alu instid0(VALU_DEP_2) | instskip(NEXT) | instid1(VALU_DEP_1)
	v_pk_add_f32 v[12:13], v[12:13], v[16:17] neg_lo:[0,1] neg_hi:[0,1]
	v_pk_mul_f32 v[22:23], v[12:13], v[10:11]
	s_delay_alu instid0(VALU_DEP_3) | instskip(NEXT) | instid1(VALU_DEP_2)
	v_pk_add_f32 v[12:13], v[12:13], v[14:15]
	v_pk_mul_f32 v[14:15], v[22:23], v[20:21]
	s_delay_alu instid0(VALU_DEP_2) | instskip(SKIP_1) | instid1(VALU_DEP_3)
	v_pk_add_f32 v[12:13], v[12:13], v[16:17] neg_lo:[0,1] neg_hi:[0,1]
	v_dual_sub_f32 v23, v9, v3 :: v_dual_mov_b32 v22, v11
	v_mov_b32_e32 v13, v15
	s_delay_alu instid0(VALU_DEP_1) | instskip(NEXT) | instid1(VALU_DEP_1)
	v_pk_mul_f32 v[10:11], v[22:23], v[12:13]
	v_sub_f32_e32 v3, v10, v11
                                        ; implicit-def: $vgpr10
	s_delay_alu instid0(VALU_DEP_1)
	v_mul_f32_e32 v3, v21, v3
.LBB10_48:
	s_and_not1_saveexec_b32 s6, s6
	s_cbranch_execz .LBB10_50
; %bb.49:
	v_div_scale_f32 v3, null, v10, v10, 0x41000000
	v_div_scale_f32 v12, vcc_lo, 0x41000000, v10, 0x41000000
	s_mov_b32 s1, 0x22c38d2e
	v_rcp_f32_e32 v9, v3
	v_nop
	s_delay_alu instid0(TRANS32_DEP_1) | instskip(NEXT) | instid1(VALU_DEP_1)
	v_fma_f32 v11, -v3, v9, 1.0
	v_fmac_f32_e32 v9, v11, v9
	s_delay_alu instid0(VALU_DEP_1) | instskip(NEXT) | instid1(VALU_DEP_1)
	v_mul_f32_e32 v11, v12, v9
	v_fma_f32 v13, -v3, v11, v12
	s_delay_alu instid0(VALU_DEP_1) | instskip(NEXT) | instid1(VALU_DEP_1)
	v_fmac_f32_e32 v11, v13, v9
	v_fma_f32 v3, -v3, v11, v12
	v_mul_f32_e32 v12, 0x4f800000, v10
	s_delay_alu instid0(VALU_DEP_2) | instskip(SKIP_1) | instid1(VALU_DEP_2)
	v_div_fmas_f32 v3, v3, v9, v11
	v_cmp_gt_f32_e32 vcc_lo, 0xf800000, v10
	v_div_fixup_f32 v3, v3, v10, 0x41000000
	s_delay_alu instid0(VALU_DEP_1) | instskip(NEXT) | instid1(VALU_DEP_1)
	v_dual_cndmask_b32 v10, v10, v12 :: v_dual_add_f32 v3, -2.0, v3
	v_sqrt_f32_e32 v12, v10
	v_nop
	s_delay_alu instid0(TRANS32_DEP_1) | instskip(SKIP_1) | instid1(VALU_DEP_2)
	v_dual_fmaak_f32 v9, s1, v3, 0xa397f665 :: v_dual_add_nc_u32 v14, 1, v12
	v_add_nc_u32_e32 v13, -1, v12
	v_fmaak_f32 v11, v3, v9, 0xa2c38d2e
	s_delay_alu instid0(VALU_DEP_2) | instskip(NEXT) | instid1(VALU_DEP_2)
	v_dual_fma_f32 v16, -v14, v12, v10 :: v_dual_fma_f32 v15, -v13, v12, v10
	v_add_f32_e32 v11, 0x24704972, v11
	s_delay_alu instid0(VALU_DEP_2) | instskip(NEXT) | instid1(VALU_DEP_1)
	v_cmp_ge_f32_e64 s1, 0, v15
	v_dual_fma_f32 v9, v3, v11, -v9 :: v_dual_cndmask_b32 v12, v12, v13, s1
	s_delay_alu instid0(VALU_DEP_1) | instskip(SKIP_1) | instid1(VALU_DEP_1)
	v_add_f32_e32 v9, 0xa5417ca4, v9
	v_cmp_lt_f32_e64 s1, 0, v16
	v_dual_fma_f32 v11, v3, v9, -v11 :: v_dual_cndmask_b32 v12, v12, v14, s1
	s_delay_alu instid0(VALU_DEP_1) | instskip(NEXT) | instid1(VALU_DEP_1)
	v_add_f32_e32 v11, 0x261edfcb, v11
	v_fma_f32 v9, v3, v11, -v9
	s_delay_alu instid0(VALU_DEP_1) | instskip(NEXT) | instid1(VALU_DEP_1)
	v_add_f32_e32 v9, 0xa7053487, v9
	v_fma_f32 v11, v3, v9, -v11
	;; [unrolled: 3-line block ×20, first 2 shown]
	v_mul_f32_e32 v9, 0x37800000, v12
	s_delay_alu instid0(VALU_DEP_2) | instskip(NEXT) | instid1(VALU_DEP_2)
	v_add_f32_e32 v3, 0x401c2ded, v3
	v_cndmask_b32_e32 v9, v12, v9, vcc_lo
	v_cmp_class_f32_e64 vcc_lo, v10, 0x260
	s_delay_alu instid0(VALU_DEP_1) | instskip(NEXT) | instid1(VALU_DEP_1)
	v_dual_sub_f32 v3, v3, v11 :: v_dual_cndmask_b32 v9, v9, v10, vcc_lo
	v_mul_f32_e32 v3, 0.5, v3
	s_delay_alu instid0(VALU_DEP_1) | instskip(NEXT) | instid1(VALU_DEP_1)
	v_div_scale_f32 v10, null, v9, v9, v3
	v_rcp_f32_e32 v11, v10
	v_nop
	s_delay_alu instid0(TRANS32_DEP_1) | instskip(NEXT) | instid1(VALU_DEP_1)
	v_fma_f32 v12, -v10, v11, 1.0
	v_fmac_f32_e32 v11, v12, v11
	v_div_scale_f32 v12, vcc_lo, v3, v9, v3
	s_delay_alu instid0(VALU_DEP_1) | instskip(NEXT) | instid1(VALU_DEP_1)
	v_mul_f32_e32 v13, v12, v11
	v_fma_f32 v14, -v10, v13, v12
	s_delay_alu instid0(VALU_DEP_1) | instskip(NEXT) | instid1(VALU_DEP_1)
	v_fmac_f32_e32 v13, v14, v11
	v_fma_f32 v10, -v10, v13, v12
	s_delay_alu instid0(VALU_DEP_1) | instskip(NEXT) | instid1(VALU_DEP_1)
	v_div_fmas_f32 v10, v10, v11, v13
	v_div_fixup_f32 v3, v10, v9, v3
.LBB10_50:
	s_or_b32 exec_lo, exec_lo, s6
.LBB10_51:
	s_delay_alu instid0(SALU_CYCLE_1)
	s_or_b32 exec_lo, exec_lo, s5
.LBB10_52:
	s_delay_alu instid0(SALU_CYCLE_1) | instskip(NEXT) | instid1(SALU_CYCLE_1)
	s_or_b32 exec_lo, exec_lo, s4
	s_or_b32 exec_lo, exec_lo, s3
	s_and_saveexec_b32 s1, s0
	s_delay_alu instid0(SALU_CYCLE_1)
	s_xor_b32 s0, exec_lo, s1
	s_cbranch_execz .LBB10_40
.LBB10_53:
	v_dual_mov_b32 v9, 0 :: v_dual_mov_b32 v7, v18
	s_delay_alu instid0(VALU_DEP_1) | instskip(SKIP_3) | instid1(SALU_CYCLE_1)
	v_lshl_add_u64 v[8:9], v[8:9], 2, v[0:1]
	flat_store_b32 v[8:9], v2
	s_wait_xcnt 0x0
	s_or_b32 exec_lo, exec_lo, s0
	s_mov_b32 s0, exec_lo
	v_cmpx_lt_i32_e64 v7, v4
	s_cbranch_execz .LBB10_41
.LBB10_54:
	v_dual_mov_b32 v9, 0 :: v_dual_add_nc_u32 v8, s2, v7
	v_add_nc_u32_e32 v7, 0x100, v7
	s_delay_alu instid0(VALU_DEP_2) | instskip(SKIP_3) | instid1(SALU_CYCLE_1)
	v_lshl_add_u64 v[8:9], v[8:9], 2, v[0:1]
	flat_store_b32 v[8:9], v5
	s_wait_xcnt 0x0
	s_or_b32 exec_lo, exec_lo, s0
	s_mov_b32 s0, exec_lo
	v_cmpx_lt_i32_e64 v7, v4
	s_cbranch_execz .LBB10_42
.LBB10_55:
	v_dual_mov_b32 v9, 0 :: v_dual_add_nc_u32 v8, s2, v7
	v_add_nc_u32_e32 v7, 0x100, v7
	s_delay_alu instid0(VALU_DEP_2) | instskip(SKIP_3) | instid1(SALU_CYCLE_1)
	v_lshl_add_u64 v[8:9], v[8:9], 2, v[0:1]
	flat_store_b32 v[8:9], v6
	s_wait_xcnt 0x0
	s_or_b32 exec_lo, exec_lo, s0
	s_mov_b32 s0, exec_lo
	v_cmpx_lt_i32_e64 v7, v4
	s_cbranch_execz .LBB10_43
.LBB10_56:
	v_dual_mov_b32 v5, 0 :: v_dual_add_nc_u32 v4, s2, v7
	s_delay_alu instid0(VALU_DEP_1)
	v_lshl_add_u64 v[0:1], v[4:5], 2, v[0:1]
	flat_store_b32 v[0:1], v3
	s_wait_xcnt 0x0
	s_or_b32 exec_lo, exec_lo, s0
	s_wait_loadcnt_dscnt 0x0
	s_set_pc_i64 s[30:31]
.Lfunc_end10:
	.size	_ZN2at6native25elementwise_kernel_helperILb0EZZZNS0_12_GLOBAL__N_137scaled_modified_bessel_k0_kernel_cudaERNS_18TensorIteratorBaseEENKUlvE_clEvENKUlvE0_clEvEUlfE_NS0_6memory8policies11unroll_baseILi256ESt5arrayIPcLm2EE23TrivialOffsetCalculatorILi1EjESF_NS8_15LoadWithoutCastENS8_16StoreWithoutCastELi4ELi1EEEEEvT0_T1_, .Lfunc_end10-_ZN2at6native25elementwise_kernel_helperILb0EZZZNS0_12_GLOBAL__N_137scaled_modified_bessel_k0_kernel_cudaERNS_18TensorIteratorBaseEENKUlvE_clEvENKUlvE0_clEvEUlfE_NS0_6memory8policies11unroll_baseILi256ESt5arrayIPcLm2EE23TrivialOffsetCalculatorILi1EjESF_NS8_15LoadWithoutCastENS8_16StoreWithoutCastELi4ELi1EEEEEvT0_T1_
                                        ; -- End function
	.set .L_ZN2at6native25elementwise_kernel_helperILb0EZZZNS0_12_GLOBAL__N_137scaled_modified_bessel_k0_kernel_cudaERNS_18TensorIteratorBaseEENKUlvE_clEvENKUlvE0_clEvEUlfE_NS0_6memory8policies11unroll_baseILi256ESt5arrayIPcLm2EE23TrivialOffsetCalculatorILi1EjESF_NS8_15LoadWithoutCastENS8_16StoreWithoutCastELi4ELi1EEEEEvT0_T1_.num_vgpr, 32
	.set .L_ZN2at6native25elementwise_kernel_helperILb0EZZZNS0_12_GLOBAL__N_137scaled_modified_bessel_k0_kernel_cudaERNS_18TensorIteratorBaseEENKUlvE_clEvENKUlvE0_clEvEUlfE_NS0_6memory8policies11unroll_baseILi256ESt5arrayIPcLm2EE23TrivialOffsetCalculatorILi1EjESF_NS8_15LoadWithoutCastENS8_16StoreWithoutCastELi4ELi1EEEEEvT0_T1_.num_agpr, 0
	.set .L_ZN2at6native25elementwise_kernel_helperILb0EZZZNS0_12_GLOBAL__N_137scaled_modified_bessel_k0_kernel_cudaERNS_18TensorIteratorBaseEENKUlvE_clEvENKUlvE0_clEvEUlfE_NS0_6memory8policies11unroll_baseILi256ESt5arrayIPcLm2EE23TrivialOffsetCalculatorILi1EjESF_NS8_15LoadWithoutCastENS8_16StoreWithoutCastELi4ELi1EEEEEvT0_T1_.numbered_sgpr, 32
	.set .L_ZN2at6native25elementwise_kernel_helperILb0EZZZNS0_12_GLOBAL__N_137scaled_modified_bessel_k0_kernel_cudaERNS_18TensorIteratorBaseEENKUlvE_clEvENKUlvE0_clEvEUlfE_NS0_6memory8policies11unroll_baseILi256ESt5arrayIPcLm2EE23TrivialOffsetCalculatorILi1EjESF_NS8_15LoadWithoutCastENS8_16StoreWithoutCastELi4ELi1EEEEEvT0_T1_.num_named_barrier, 0
	.set .L_ZN2at6native25elementwise_kernel_helperILb0EZZZNS0_12_GLOBAL__N_137scaled_modified_bessel_k0_kernel_cudaERNS_18TensorIteratorBaseEENKUlvE_clEvENKUlvE0_clEvEUlfE_NS0_6memory8policies11unroll_baseILi256ESt5arrayIPcLm2EE23TrivialOffsetCalculatorILi1EjESF_NS8_15LoadWithoutCastENS8_16StoreWithoutCastELi4ELi1EEEEEvT0_T1_.private_seg_size, 0
	.set .L_ZN2at6native25elementwise_kernel_helperILb0EZZZNS0_12_GLOBAL__N_137scaled_modified_bessel_k0_kernel_cudaERNS_18TensorIteratorBaseEENKUlvE_clEvENKUlvE0_clEvEUlfE_NS0_6memory8policies11unroll_baseILi256ESt5arrayIPcLm2EE23TrivialOffsetCalculatorILi1EjESF_NS8_15LoadWithoutCastENS8_16StoreWithoutCastELi4ELi1EEEEEvT0_T1_.uses_vcc, 1
	.set .L_ZN2at6native25elementwise_kernel_helperILb0EZZZNS0_12_GLOBAL__N_137scaled_modified_bessel_k0_kernel_cudaERNS_18TensorIteratorBaseEENKUlvE_clEvENKUlvE0_clEvEUlfE_NS0_6memory8policies11unroll_baseILi256ESt5arrayIPcLm2EE23TrivialOffsetCalculatorILi1EjESF_NS8_15LoadWithoutCastENS8_16StoreWithoutCastELi4ELi1EEEEEvT0_T1_.uses_flat_scratch, 0
	.set .L_ZN2at6native25elementwise_kernel_helperILb0EZZZNS0_12_GLOBAL__N_137scaled_modified_bessel_k0_kernel_cudaERNS_18TensorIteratorBaseEENKUlvE_clEvENKUlvE0_clEvEUlfE_NS0_6memory8policies11unroll_baseILi256ESt5arrayIPcLm2EE23TrivialOffsetCalculatorILi1EjESF_NS8_15LoadWithoutCastENS8_16StoreWithoutCastELi4ELi1EEEEEvT0_T1_.has_dyn_sized_stack, 0
	.set .L_ZN2at6native25elementwise_kernel_helperILb0EZZZNS0_12_GLOBAL__N_137scaled_modified_bessel_k0_kernel_cudaERNS_18TensorIteratorBaseEENKUlvE_clEvENKUlvE0_clEvEUlfE_NS0_6memory8policies11unroll_baseILi256ESt5arrayIPcLm2EE23TrivialOffsetCalculatorILi1EjESF_NS8_15LoadWithoutCastENS8_16StoreWithoutCastELi4ELi1EEEEEvT0_T1_.has_recursion, 0
	.set .L_ZN2at6native25elementwise_kernel_helperILb0EZZZNS0_12_GLOBAL__N_137scaled_modified_bessel_k0_kernel_cudaERNS_18TensorIteratorBaseEENKUlvE_clEvENKUlvE0_clEvEUlfE_NS0_6memory8policies11unroll_baseILi256ESt5arrayIPcLm2EE23TrivialOffsetCalculatorILi1EjESF_NS8_15LoadWithoutCastENS8_16StoreWithoutCastELi4ELi1EEEEEvT0_T1_.has_indirect_call, 0
	.section	.AMDGPU.csdata,"",@progbits
; Function info:
; codeLenInByte = 8804
; TotalNumSgprs: 34
; NumVgprs: 32
; ScratchSize: 0
; MemoryBound: 0
	.text
	.p2align	2                               ; -- Begin function _ZN2at6native25elementwise_kernel_helperILb0EZZZNS0_12_GLOBAL__N_137scaled_modified_bessel_k0_kernel_cudaERNS_18TensorIteratorBaseEENKUlvE_clEvENKUlvE0_clEvEUlfE_NS0_6memory8policies10vectorizedILi4ESt5arrayIPcLm2EELi4EEEEEvT0_T1_
	.type	_ZN2at6native25elementwise_kernel_helperILb0EZZZNS0_12_GLOBAL__N_137scaled_modified_bessel_k0_kernel_cudaERNS_18TensorIteratorBaseEENKUlvE_clEvENKUlvE0_clEvEUlfE_NS0_6memory8policies10vectorizedILi4ESt5arrayIPcLm2EELi4EEEEEvT0_T1_,@function
_ZN2at6native25elementwise_kernel_helperILb0EZZZNS0_12_GLOBAL__N_137scaled_modified_bessel_k0_kernel_cudaERNS_18TensorIteratorBaseEENKUlvE_clEvENKUlvE0_clEvEUlfE_NS0_6memory8policies10vectorizedILi4ESt5arrayIPcLm2EELi4EEEEEvT0_T1_: ; @_ZN2at6native25elementwise_kernel_helperILb0EZZZNS0_12_GLOBAL__N_137scaled_modified_bessel_k0_kernel_cudaERNS_18TensorIteratorBaseEENKUlvE_clEvENKUlvE0_clEvEUlfE_NS0_6memory8policies10vectorizedILi4ESt5arrayIPcLm2EELi4EEEEEvT0_T1_
; %bb.0:
	s_wait_loadcnt_dscnt 0x0
	s_wait_kmcnt 0x0
	s_bfe_u32 s0, ttmp6, 0x4000c
	s_and_b32 s1, ttmp6, 15
	s_add_co_i32 s0, s0, 1
	s_getreg_b32 s2, hwreg(HW_REG_IB_STS2, 6, 4)
	s_mul_i32 s0, ttmp9, s0
	v_and_b32_e32 v4, 0x3ff, v31
	s_add_co_i32 s1, s1, s0
	s_cmp_eq_u32 s2, 0
	v_mov_b32_e32 v11, 0
	s_cselect_b32 s0, ttmp9, s1
	v_lshlrev_b32_e32 v10, 4, v4
	s_lshl_b32 s2, s0, 10
	s_mov_b32 s1, exec_lo
	s_ashr_i32 s3, s2, 31
	s_delay_alu instid0(SALU_CYCLE_1) | instskip(NEXT) | instid1(VALU_DEP_1)
	v_lshl_add_u64 v[2:3], s[2:3], 2, v[2:3]
	v_add_nc_u64_e32 v[2:3], v[2:3], v[10:11]
	flat_load_b128 v[6:9], v[2:3]
	s_wait_xcnt 0x0
	v_dual_mov_b32 v3, 0x7f800000 :: v_dual_mov_b32 v2, 0x7f800000
	s_wait_loadcnt_dscnt 0x0
	v_cmpx_neq_f32_e32 0, v6
	s_cbranch_execz .LBB11_8
; %bb.1:
	v_mov_b32_e32 v2, 0x7fc00000
	s_mov_b32 s4, exec_lo
	v_cmpx_ngt_f32_e32 0, v6
	s_cbranch_execz .LBB11_7
; %bb.2:
	s_mov_b32 s0, exec_lo
	v_cmpx_ge_f32_e32 2.0, v6
	s_xor_b32 s5, exec_lo, s0
	s_cbranch_execz .LBB11_4
; %bb.3:
	v_dual_mov_b32 v5, 0.5 :: v_dual_mov_b32 v4, v6
	s_mov_b32 s0, 0xa2a2e5b9
	v_mov_b64_e32 v[16:17], 0x3ad6e3ac293fd856
	v_mov_b32_e32 v14, 0xa51e770f
	v_mov_b64_e32 v[20:21], 0xbb8db2f12d3612e2
	v_pk_fma_f32 v[12:13], v[6:7], v[4:5], -2.0 op_sel_hi:[0,1,0]
	v_pk_mul_f32 v[22:23], v[6:7], v[4:5] op_sel_hi:[0,1]
	v_mov_b64_e32 v[24:25], 0xbdc25b823aa5c174
	s_delay_alu instid0(VALU_DEP_3) | instskip(NEXT) | instid1(VALU_DEP_4)
	v_fmaak_f32 v2, s0, v13, 0x24199b15
	v_mul_f32_e32 v18, 0x251e770f, v12
	s_mov_b32 s0, 0xa51e770f
	v_cmp_gt_f32_e32 vcc_lo, 0x800000, v23
	s_delay_alu instid0(VALU_DEP_3) | instskip(NEXT) | instid1(VALU_DEP_1)
	v_fmaak_f32 v11, v13, v2, 0x22a2e5b9
	v_add_f32_e32 v11, 0xa58c275c, v11
	s_delay_alu instid0(VALU_DEP_1) | instskip(NEXT) | instid1(VALU_DEP_1)
	v_fma_f32 v2, v13, v11, -v2
	v_add_f32_e32 v2, 0x26f736c5, v2
	s_delay_alu instid0(VALU_DEP_1) | instskip(NEXT) | instid1(VALU_DEP_1)
	v_fma_f32 v11, v13, v2, -v11
	;; [unrolled: 3-line block ×18, first 2 shown]
	v_add_f32_e32 v15, 0xba1717e9, v11
	s_delay_alu instid0(VALU_DEP_1) | instskip(SKIP_1) | instid1(VALU_DEP_2)
	v_fma_f32 v19, v13, v15, -v2
	v_mul_f32_e32 v2, 0x3fb8aa3b, v6
	v_pk_add_f32 v[16:17], v[18:19], v[16:17]
	s_delay_alu instid0(VALU_DEP_2) | instskip(SKIP_3) | instid1(VALU_DEP_4)
	v_rndne_f32_e32 v4, v2
	v_fma_f32 v11, 0x3fb8aa3b, v6, -v2
	v_mov_b64_e32 v[18:19], s[0:1]
	v_cmp_ngt_f32_e64 s0, 0xc2ce8ed0, v6
	v_sub_f32_e32 v2, v2, v4
	s_delay_alu instid0(VALU_DEP_4) | instskip(SKIP_2) | instid1(VALU_DEP_3)
	v_fmamk_f32 v11, v6, 0x32a5705f, v11
	v_cvt_i32_f32_e32 v4, v4
	v_pk_fma_f32 v[18:19], v[12:13], v[16:17], v[18:19]
	v_add_f32_e32 v2, v2, v11
	v_pk_fma_f32 v[14:15], v[12:13], v[16:17], v[14:15] neg_lo:[0,0,1] neg_hi:[0,0,1]
	s_delay_alu instid0(VALU_DEP_2) | instskip(NEXT) | instid1(VALU_DEP_1)
	v_exp_f32_e32 v2, v2
	v_mov_b32_e32 v19, v15
	s_delay_alu instid0(VALU_DEP_1) | instskip(SKIP_2) | instid1(TRANS32_DEP_1)
	v_pk_add_f32 v[14:15], v[18:19], v[20:21]
	v_mov_b64_e32 v[18:19], 0x3c2ccb103102e09b
	v_mov_b64_e32 v[20:21], 0xc000000037bfc808
	v_ldexp_f32 v2, v2, v4
	s_delay_alu instid0(VALU_DEP_4) | instskip(NEXT) | instid1(VALU_DEP_1)
	v_pk_fma_f32 v[16:17], v[12:13], v[14:15], v[16:17] neg_lo:[0,0,1] neg_hi:[0,0,1]
	v_pk_add_f32 v[16:17], v[16:17], v[18:19]
	v_mov_b64_e32 v[18:19], 0xbcc274f8348815e7
	s_delay_alu instid0(VALU_DEP_2) | instskip(NEXT) | instid1(VALU_DEP_1)
	v_pk_fma_f32 v[14:15], v[12:13], v[16:17], v[14:15] neg_lo:[0,0,1] neg_hi:[0,0,1]
	v_pk_add_f32 v[14:15], v[14:15], v[18:19]
	v_mov_b64_e32 v[18:19], 0x3d49f45637bfc808
	s_delay_alu instid0(VALU_DEP_2) | instskip(NEXT) | instid1(VALU_DEP_1)
	v_pk_fma_f32 v[16:17], v[12:13], v[14:15], v[16:17] neg_lo:[0,0,1] neg_hi:[0,0,1]
	v_mov_b32_e32 v22, v16
	s_delay_alu instid0(VALU_DEP_2) | instskip(SKIP_1) | instid1(VALU_DEP_3)
	v_pk_add_f32 v[16:17], v[16:17], v[18:19]
	v_mov_b32_e32 v18, v12
	v_pk_add_f32 v[20:21], v[22:23], v[20:21]
	s_delay_alu instid0(VALU_DEP_3) | instskip(NEXT) | instid1(VALU_DEP_1)
	v_mov_b32_e32 v19, v17
	v_pk_fma_f32 v[14:15], v[20:21], v[18:19], v[14:15] neg_lo:[0,0,1] neg_hi:[0,0,1]
	v_mov_b64_e32 v[18:19], 0x3e2fbd643d135fb3
	v_cndmask_b32_e64 v20, 0, 32, vcc_lo
	s_delay_alu instid0(VALU_DEP_3) | instskip(NEXT) | instid1(VALU_DEP_1)
	v_pk_add_f32 v[14:15], v[14:15], v[24:25]
	v_pk_fma_f32 v[16:17], v[12:13], v[14:15], v[16:17] neg_lo:[0,0,1] neg_hi:[0,0,1]
	s_delay_alu instid0(VALU_DEP_1) | instskip(NEXT) | instid1(VALU_DEP_4)
	v_pk_add_f32 v[16:17], v[16:17], v[18:19]
	v_ldexp_f32 v18, v23, v20
	v_cndmask_b32_e64 v20, 0, 0x41b17218, vcc_lo
	s_delay_alu instid0(VALU_DEP_3) | instskip(NEXT) | instid1(VALU_DEP_3)
	v_pk_fma_f32 v[14:15], v[12:13], v[16:17], v[14:15] neg_lo:[0,0,1] neg_hi:[0,0,1]
	v_log_f32_e32 v11, v18
	s_delay_alu instid0(VALU_DEP_1) | instskip(NEXT) | instid1(VALU_DEP_2)
	v_add_f32_e32 v15, 0xbe9bff5e, v15
	v_add_f32_e32 v14, 0x3eb046c4, v14
	s_delay_alu instid0(TRANS32_DEP_1) | instskip(SKIP_1) | instid1(VALU_DEP_3)
	v_mul_f32_e32 v18, 0x3f317217, v11
	v_cmp_gt_f32_e64 vcc_lo, 0x7f800000, |v11|
	v_dual_fma_f32 v13, v13, v15, -v17 :: v_dual_mul_f32 v12, v12, v14
	v_cndmask_b32_e64 v14, 0, v2, s0
	s_delay_alu instid0(VALU_DEP_4) | instskip(SKIP_1) | instid1(VALU_DEP_4)
	v_fma_f32 v4, 0x3f317217, v11, -v18
	v_cmp_nlt_f32_e64 s0, 0x42b17218, v6
	v_add_f32_e32 v13, 0x3f2d4275, v13
	v_mov_b32_e32 v2, 0xbf090b37
	s_delay_alu instid0(VALU_DEP_4) | instskip(NEXT) | instid1(VALU_DEP_4)
	v_fmamk_f32 v4, v11, 0x3377d1cf, v4
	v_cndmask_b32_e64 v15, 0x7f800000, v14, s0
	s_delay_alu instid0(VALU_DEP_4) | instskip(SKIP_1) | instid1(VALU_DEP_4)
	v_pk_add_f32 v[12:13], v[12:13], v[16:17] neg_lo:[0,1] neg_hi:[0,1]
	v_mov_b32_e32 v14, v16
	v_fmac_f32_e32 v4, 0x3f317217, v11
	s_delay_alu instid0(VALU_DEP_1) | instskip(SKIP_2) | instid1(VALU_DEP_3)
	v_pk_mul_f32 v[18:19], v[12:13], v[4:5]
	v_pk_add_f32 v[12:13], v[12:13], v[2:3]
	v_cndmask_b32_e32 v4, v11, v4, vcc_lo
	v_pk_mul_f32 v[18:19], v[18:19], v[14:15]
	s_delay_alu instid0(VALU_DEP_3) | instskip(NEXT) | instid1(VALU_DEP_3)
	v_pk_add_f32 v[12:13], v[12:13], v[16:17] neg_lo:[0,1] neg_hi:[0,1]
	v_dual_sub_f32 v21, v4, v20 :: v_dual_mov_b32 v20, v5
	s_delay_alu instid0(VALU_DEP_3) | instskip(NEXT) | instid1(VALU_DEP_1)
	v_mov_b32_e32 v13, v19
	v_pk_mul_f32 v[4:5], v[20:21], v[12:13]
	s_delay_alu instid0(VALU_DEP_1) | instskip(NEXT) | instid1(VALU_DEP_1)
	v_sub_f32_e32 v2, v4, v5
	v_mul_f32_e32 v2, v15, v2
.LBB11_4:
	s_and_not1_saveexec_b32 s5, s5
	s_cbranch_execz .LBB11_6
; %bb.5:
	v_div_scale_f32 v2, null, v6, v6, 0x41000000
	v_div_scale_f32 v11, vcc_lo, 0x41000000, v6, 0x41000000
	s_mov_b32 s0, 0x22c38d2e
	v_rcp_f32_e32 v4, v2
	v_nop
	s_delay_alu instid0(TRANS32_DEP_1) | instskip(NEXT) | instid1(VALU_DEP_1)
	v_fma_f32 v5, -v2, v4, 1.0
	v_fmac_f32_e32 v4, v5, v4
	s_delay_alu instid0(VALU_DEP_1) | instskip(NEXT) | instid1(VALU_DEP_1)
	v_mul_f32_e32 v5, v11, v4
	v_fma_f32 v12, -v2, v5, v11
	s_delay_alu instid0(VALU_DEP_1) | instskip(NEXT) | instid1(VALU_DEP_1)
	v_fmac_f32_e32 v5, v12, v4
	v_fma_f32 v2, -v2, v5, v11
	v_mul_f32_e32 v11, 0x4f800000, v6
	s_delay_alu instid0(VALU_DEP_2) | instskip(SKIP_1) | instid1(VALU_DEP_2)
	v_div_fmas_f32 v2, v2, v4, v5
	v_cmp_gt_f32_e32 vcc_lo, 0xf800000, v6
	v_div_fixup_f32 v2, v2, v6, 0x41000000
	s_delay_alu instid0(VALU_DEP_1) | instskip(NEXT) | instid1(VALU_DEP_1)
	v_dual_cndmask_b32 v6, v6, v11, vcc_lo :: v_dual_add_f32 v2, -2.0, v2
	v_sqrt_f32_e32 v11, v6
	s_delay_alu instid0(VALU_DEP_1) | instskip(NEXT) | instid1(TRANS32_DEP_1)
	v_fmaak_f32 v4, s0, v2, 0xa397f665
	v_dual_add_nc_u32 v12, -1, v11 :: v_dual_add_nc_u32 v13, 1, v11
	s_delay_alu instid0(VALU_DEP_1) | instskip(NEXT) | instid1(VALU_DEP_1)
	v_fma_f32 v14, -v12, v11, v6
	v_cmp_ge_f32_e64 s0, 0, v14
	s_delay_alu instid0(VALU_DEP_1) | instskip(NEXT) | instid1(VALU_DEP_1)
	v_dual_fma_f32 v15, -v13, v11, v6 :: v_dual_cndmask_b32 v11, v11, v12, s0
	v_cmp_lt_f32_e64 s0, 0, v15
	s_delay_alu instid0(VALU_DEP_1) | instskip(SKIP_1) | instid1(VALU_DEP_1)
	v_cndmask_b32_e64 v11, v11, v13, s0
	v_fmaak_f32 v5, v2, v4, 0xa2c38d2e
	v_add_f32_e32 v5, 0x24704972, v5
	s_delay_alu instid0(VALU_DEP_1) | instskip(NEXT) | instid1(VALU_DEP_1)
	v_fma_f32 v4, v2, v5, -v4
	v_add_f32_e32 v4, 0xa5417ca4, v4
	s_delay_alu instid0(VALU_DEP_1) | instskip(NEXT) | instid1(VALU_DEP_1)
	v_fma_f32 v5, v2, v4, -v5
	;; [unrolled: 3-line block ×21, first 2 shown]
	v_add_f32_e32 v4, 0xbd00cfb9, v4
	s_delay_alu instid0(VALU_DEP_1) | instskip(SKIP_1) | instid1(VALU_DEP_2)
	v_fma_f32 v2, v2, v4, -v5
	v_mul_f32_e32 v4, 0x37800000, v11
	v_add_f32_e32 v2, 0x401c2ded, v2
	s_delay_alu instid0(VALU_DEP_2) | instskip(SKIP_1) | instid1(VALU_DEP_1)
	v_cndmask_b32_e32 v4, v11, v4, vcc_lo
	v_cmp_class_f32_e64 vcc_lo, v6, 0x260
	v_dual_sub_f32 v2, v2, v5 :: v_dual_cndmask_b32 v4, v4, v6, vcc_lo
	s_delay_alu instid0(VALU_DEP_1) | instskip(NEXT) | instid1(VALU_DEP_1)
	v_mul_f32_e32 v2, 0.5, v2
	v_div_scale_f32 v5, null, v4, v4, v2
	s_delay_alu instid0(VALU_DEP_1) | instskip(SKIP_1) | instid1(TRANS32_DEP_1)
	v_rcp_f32_e32 v6, v5
	v_nop
	v_fma_f32 v11, -v5, v6, 1.0
	s_delay_alu instid0(VALU_DEP_1) | instskip(SKIP_1) | instid1(VALU_DEP_1)
	v_fmac_f32_e32 v6, v11, v6
	v_div_scale_f32 v11, vcc_lo, v2, v4, v2
	v_mul_f32_e32 v12, v11, v6
	s_delay_alu instid0(VALU_DEP_1) | instskip(NEXT) | instid1(VALU_DEP_1)
	v_fma_f32 v13, -v5, v12, v11
	v_fmac_f32_e32 v12, v13, v6
	s_delay_alu instid0(VALU_DEP_1) | instskip(NEXT) | instid1(VALU_DEP_1)
	v_fma_f32 v5, -v5, v12, v11
	v_div_fmas_f32 v5, v5, v6, v12
	s_delay_alu instid0(VALU_DEP_1)
	v_div_fixup_f32 v2, v5, v4, v2
.LBB11_6:
	s_or_b32 exec_lo, exec_lo, s5
.LBB11_7:
	s_delay_alu instid0(SALU_CYCLE_1)
	s_or_b32 exec_lo, exec_lo, s4
.LBB11_8:
	s_delay_alu instid0(SALU_CYCLE_1) | instskip(NEXT) | instid1(SALU_CYCLE_1)
	s_or_b32 exec_lo, exec_lo, s1
	s_mov_b32 s1, exec_lo
	v_cmpx_neq_f32_e32 0, v7
	s_cbranch_execz .LBB11_16
; %bb.9:
	v_mov_b32_e32 v3, 0x7fc00000
	s_mov_b32 s4, exec_lo
	v_cmpx_ngt_f32_e32 0, v7
	s_cbranch_execz .LBB11_15
; %bb.10:
	s_mov_b32 s0, exec_lo
	v_cmpx_ge_f32_e32 2.0, v7
	s_xor_b32 s5, exec_lo, s0
	s_cbranch_execz .LBB11_12
; %bb.11:
	v_dual_mov_b32 v4, v7 :: v_dual_mov_b32 v13, 0.5
	s_mov_b32 s0, 0xa2a2e5b9
	v_mov_b32_e32 v12, v7
	v_mov_b64_e32 v[18:19], 0x3ad6e3ac293fd856
	v_mov_b64_e32 v[22:23], 0xbb8db2f12d3612e2
	;; [unrolled: 1-line block ×3, first 2 shown]
	s_delay_alu instid0(VALU_DEP_4) | instskip(NEXT) | instid1(VALU_DEP_1)
	v_pk_fma_f32 v[14:15], v[4:5], v[12:13], -2.0 op_sel_hi:[0,1,0]
	v_fmaak_f32 v3, s0, v15, 0x24199b15
	s_delay_alu instid0(VALU_DEP_2) | instskip(SKIP_1) | instid1(VALU_DEP_2)
	v_mul_f32_e32 v20, 0x251e770f, v14
	s_mov_b32 s0, 0xa51e770f
	v_fmaak_f32 v5, v15, v3, 0x22a2e5b9
	s_delay_alu instid0(VALU_DEP_1) | instskip(NEXT) | instid1(VALU_DEP_1)
	v_add_f32_e32 v5, 0xa58c275c, v5
	v_fma_f32 v3, v15, v5, -v3
	s_delay_alu instid0(VALU_DEP_1) | instskip(NEXT) | instid1(VALU_DEP_1)
	v_add_f32_e32 v3, 0x26f736c5, v3
	v_fma_f32 v5, v15, v3, -v5
	;; [unrolled: 3-line block ×18, first 2 shown]
	s_delay_alu instid0(VALU_DEP_1) | instskip(SKIP_1) | instid1(VALU_DEP_2)
	v_add_f32_e32 v17, 0xba1717e9, v5
	v_pk_mul_f32 v[4:5], v[4:5], v[12:13] op_sel_hi:[0,1]
	v_fma_f32 v21, v15, v17, -v3
	v_mul_f32_e32 v3, 0x3fb8aa3b, v7
	s_delay_alu instid0(VALU_DEP_3) | instskip(NEXT) | instid1(VALU_DEP_3)
	v_cmp_gt_f32_e32 vcc_lo, 0x800000, v5
	v_pk_add_f32 v[18:19], v[20:21], v[18:19]
	s_delay_alu instid0(VALU_DEP_3) | instskip(SKIP_4) | instid1(VALU_DEP_4)
	v_rndne_f32_e32 v6, v3
	v_mov_b32_e32 v16, 0xa51e770f
	v_mov_b64_e32 v[20:21], s[0:1]
	v_cndmask_b32_e64 v11, 0, 32, vcc_lo
	v_cmp_ngt_f32_e64 s0, 0xc2ce8ed0, v7
	v_pk_fma_f32 v[16:17], v[14:15], v[18:19], v[16:17] neg_lo:[0,0,1] neg_hi:[0,0,1]
	s_delay_alu instid0(VALU_DEP_3) | instskip(SKIP_1) | instid1(VALU_DEP_3)
	v_ldexp_f32 v11, v5, v11
	v_pk_fma_f32 v[20:21], v[14:15], v[18:19], v[20:21]
	v_mov_b32_e32 v21, v17
	s_delay_alu instid0(VALU_DEP_3) | instskip(NEXT) | instid1(VALU_DEP_1)
	v_log_f32_e32 v11, v11
	v_pk_add_f32 v[16:17], v[20:21], v[22:23]
	v_mov_b64_e32 v[20:21], 0x3c2ccb103102e09b
	v_mov_b64_e32 v[22:23], 0xc000000037bfc808
	s_delay_alu instid0(TRANS32_DEP_1) | instskip(NEXT) | instid1(VALU_DEP_4)
	v_mul_f32_e32 v12, 0x3f317217, v11
	v_pk_fma_f32 v[18:19], v[14:15], v[16:17], v[18:19] neg_lo:[0,0,1] neg_hi:[0,0,1]
	s_delay_alu instid0(VALU_DEP_1) | instskip(SKIP_1) | instid1(VALU_DEP_2)
	v_pk_add_f32 v[18:19], v[18:19], v[20:21]
	v_mov_b64_e32 v[20:21], 0xbcc274f8348815e7
	v_pk_fma_f32 v[16:17], v[14:15], v[18:19], v[16:17] neg_lo:[0,0,1] neg_hi:[0,0,1]
	s_delay_alu instid0(VALU_DEP_1) | instskip(SKIP_1) | instid1(VALU_DEP_2)
	v_pk_add_f32 v[16:17], v[16:17], v[20:21]
	v_mov_b64_e32 v[20:21], 0x3d49f45637bfc808
	v_pk_fma_f32 v[18:19], v[14:15], v[16:17], v[18:19] neg_lo:[0,0,1] neg_hi:[0,0,1]
	s_delay_alu instid0(VALU_DEP_1) | instskip(NEXT) | instid1(VALU_DEP_2)
	v_mov_b32_e32 v4, v18
	v_pk_add_f32 v[18:19], v[18:19], v[20:21]
	v_mov_b32_e32 v20, v14
	s_delay_alu instid0(VALU_DEP_3) | instskip(NEXT) | instid1(VALU_DEP_3)
	v_pk_add_f32 v[22:23], v[4:5], v[22:23]
	v_mov_b32_e32 v21, v19
	v_fma_f32 v4, 0x3fb8aa3b, v7, -v3
	v_sub_f32_e32 v3, v3, v6
	v_cvt_i32_f32_e32 v6, v6
	s_delay_alu instid0(VALU_DEP_4) | instskip(NEXT) | instid1(VALU_DEP_4)
	v_pk_fma_f32 v[16:17], v[22:23], v[20:21], v[16:17] neg_lo:[0,0,1] neg_hi:[0,0,1]
	v_fmamk_f32 v4, v7, 0x32a5705f, v4
	v_mov_b64_e32 v[20:21], 0x3e2fbd643d135fb3
	s_delay_alu instid0(VALU_DEP_3) | instskip(NEXT) | instid1(VALU_DEP_3)
	v_pk_add_f32 v[16:17], v[16:17], v[24:25]
	v_add_f32_e32 v3, v3, v4
	s_delay_alu instid0(VALU_DEP_2) | instskip(NEXT) | instid1(VALU_DEP_2)
	v_pk_fma_f32 v[18:19], v[14:15], v[16:17], v[18:19] neg_lo:[0,0,1] neg_hi:[0,0,1]
	v_exp_f32_e32 v3, v3
	s_delay_alu instid0(VALU_DEP_1) | instskip(SKIP_1) | instid1(TRANS32_DEP_1)
	v_pk_add_f32 v[18:19], v[18:19], v[20:21]
	v_mov_b32_e32 v20, v13
	v_ldexp_f32 v3, v3, v6
	v_fma_f32 v6, 0x3f317217, v11, -v12
	s_delay_alu instid0(VALU_DEP_4) | instskip(NEXT) | instid1(VALU_DEP_3)
	v_pk_fma_f32 v[4:5], v[14:15], v[18:19], v[16:17] neg_lo:[0,0,1] neg_hi:[0,0,1]
	v_cndmask_b32_e64 v3, 0, v3, s0
	s_delay_alu instid0(VALU_DEP_3) | instskip(NEXT) | instid1(VALU_DEP_3)
	v_fmamk_f32 v12, v11, 0x3377d1cf, v6
	v_add_f32_e32 v5, 0xbe9bff5e, v5
	v_cmp_nlt_f32_e64 s0, 0x42b17218, v7
	s_delay_alu instid0(VALU_DEP_3) | instskip(NEXT) | instid1(VALU_DEP_3)
	v_fmac_f32_e32 v12, 0x3f317217, v11
	v_fma_f32 v5, v15, v5, -v19
	s_delay_alu instid0(VALU_DEP_3)
	v_cndmask_b32_e64 v15, 0x7f800000, v3, s0
	v_cndmask_b32_e64 v3, 0, 0x41b17218, vcc_lo
	v_cmp_gt_f32_e64 vcc_lo, 0x7f800000, |v11|
	v_mov_b32_e32 v6, 0xbf090b37
	v_add_f32_e32 v5, 0x3f2d4275, v5
	v_cndmask_b32_e32 v11, v11, v12, vcc_lo
	s_delay_alu instid0(VALU_DEP_1) | instskip(NEXT) | instid1(VALU_DEP_1)
	v_dual_add_f32 v4, 0x3eb046c4, v4 :: v_dual_sub_f32 v21, v11, v3
	v_mul_f32_e32 v4, v14, v4
	v_mov_b32_e32 v14, v18
	s_delay_alu instid0(VALU_DEP_2) | instskip(NEXT) | instid1(VALU_DEP_1)
	v_pk_add_f32 v[4:5], v[4:5], v[18:19] neg_lo:[0,1] neg_hi:[0,1]
	v_pk_mul_f32 v[16:17], v[4:5], v[12:13]
	v_pk_add_f32 v[4:5], v[4:5], v[6:7]
	s_delay_alu instid0(VALU_DEP_2) | instskip(NEXT) | instid1(VALU_DEP_2)
	v_pk_mul_f32 v[16:17], v[16:17], v[14:15]
	v_pk_add_f32 v[4:5], v[4:5], v[18:19] neg_lo:[0,1] neg_hi:[0,1]
	s_delay_alu instid0(VALU_DEP_2) | instskip(NEXT) | instid1(VALU_DEP_1)
	v_mov_b32_e32 v5, v17
	v_pk_mul_f32 v[4:5], v[20:21], v[4:5]
	s_delay_alu instid0(VALU_DEP_1) | instskip(NEXT) | instid1(VALU_DEP_1)
	v_sub_f32_e32 v3, v4, v5
	v_mul_f32_e32 v3, v15, v3
.LBB11_12:
	s_and_not1_saveexec_b32 s5, s5
	s_cbranch_execz .LBB11_14
; %bb.13:
	v_div_scale_f32 v3, null, v7, v7, 0x41000000
	v_div_scale_f32 v6, vcc_lo, 0x41000000, v7, 0x41000000
	s_mov_b32 s0, 0x22c38d2e
	v_rcp_f32_e32 v4, v3
	v_nop
	s_delay_alu instid0(TRANS32_DEP_1) | instskip(NEXT) | instid1(VALU_DEP_1)
	v_fma_f32 v5, -v3, v4, 1.0
	v_fmac_f32_e32 v4, v5, v4
	s_delay_alu instid0(VALU_DEP_1) | instskip(NEXT) | instid1(VALU_DEP_1)
	v_mul_f32_e32 v5, v6, v4
	v_fma_f32 v11, -v3, v5, v6
	s_delay_alu instid0(VALU_DEP_1) | instskip(NEXT) | instid1(VALU_DEP_1)
	v_fmac_f32_e32 v5, v11, v4
	v_fma_f32 v3, -v3, v5, v6
	v_mul_f32_e32 v6, 0x4f800000, v7
	s_delay_alu instid0(VALU_DEP_2) | instskip(SKIP_1) | instid1(VALU_DEP_2)
	v_div_fmas_f32 v3, v3, v4, v5
	v_cmp_gt_f32_e32 vcc_lo, 0xf800000, v7
	v_div_fixup_f32 v3, v3, v7, 0x41000000
	s_delay_alu instid0(VALU_DEP_1) | instskip(NEXT) | instid1(VALU_DEP_1)
	v_dual_cndmask_b32 v6, v7, v6 :: v_dual_add_f32 v3, -2.0, v3
	v_sqrt_f32_e32 v7, v6
	s_delay_alu instid0(VALU_DEP_1) | instskip(NEXT) | instid1(TRANS32_DEP_1)
	v_fmaak_f32 v4, s0, v3, 0xa397f665
	v_dual_add_nc_u32 v11, -1, v7 :: v_dual_add_nc_u32 v12, 1, v7
	s_delay_alu instid0(VALU_DEP_2) | instskip(NEXT) | instid1(VALU_DEP_2)
	v_fmaak_f32 v5, v3, v4, 0xa2c38d2e
	v_dual_fma_f32 v13, -v11, v7, v6 :: v_dual_fma_f32 v14, -v12, v7, v6
	s_delay_alu instid0(VALU_DEP_1) | instskip(NEXT) | instid1(VALU_DEP_1)
	v_cmp_ge_f32_e64 s0, 0, v13
	v_cndmask_b32_e64 v7, v7, v11, s0
	s_delay_alu instid0(VALU_DEP_3) | instskip(NEXT) | instid1(VALU_DEP_1)
	v_cmp_lt_f32_e64 s0, 0, v14
	v_cndmask_b32_e64 v7, v7, v12, s0
	v_add_f32_e32 v5, 0x24704972, v5
	s_delay_alu instid0(VALU_DEP_1) | instskip(NEXT) | instid1(VALU_DEP_1)
	v_fma_f32 v4, v3, v5, -v4
	v_add_f32_e32 v4, 0xa5417ca4, v4
	s_delay_alu instid0(VALU_DEP_1) | instskip(NEXT) | instid1(VALU_DEP_1)
	v_fma_f32 v5, v3, v4, -v5
	;; [unrolled: 3-line block ×21, first 2 shown]
	v_add_f32_e32 v4, 0xbd00cfb9, v4
	s_delay_alu instid0(VALU_DEP_1) | instskip(SKIP_1) | instid1(VALU_DEP_1)
	v_fma_f32 v3, v3, v4, -v5
	v_mul_f32_e32 v4, 0x37800000, v7
	v_dual_add_f32 v3, 0x401c2ded, v3 :: v_dual_cndmask_b32 v4, v7, v4
	v_cmp_class_f32_e64 vcc_lo, v6, 0x260
	s_delay_alu instid0(VALU_DEP_2) | instskip(NEXT) | instid1(VALU_DEP_1)
	v_dual_sub_f32 v3, v3, v5 :: v_dual_cndmask_b32 v4, v4, v6
	v_mul_f32_e32 v3, 0.5, v3
	s_delay_alu instid0(VALU_DEP_1) | instskip(NEXT) | instid1(VALU_DEP_1)
	v_div_scale_f32 v5, null, v4, v4, v3
	v_rcp_f32_e32 v6, v5
	v_nop
	s_delay_alu instid0(TRANS32_DEP_1) | instskip(NEXT) | instid1(VALU_DEP_1)
	v_fma_f32 v7, -v5, v6, 1.0
	v_fmac_f32_e32 v6, v7, v6
	v_div_scale_f32 v7, vcc_lo, v3, v4, v3
	s_delay_alu instid0(VALU_DEP_1) | instskip(NEXT) | instid1(VALU_DEP_1)
	v_mul_f32_e32 v11, v7, v6
	v_fma_f32 v12, -v5, v11, v7
	s_delay_alu instid0(VALU_DEP_1) | instskip(NEXT) | instid1(VALU_DEP_1)
	v_fmac_f32_e32 v11, v12, v6
	v_fma_f32 v5, -v5, v11, v7
	s_delay_alu instid0(VALU_DEP_1) | instskip(NEXT) | instid1(VALU_DEP_1)
	v_div_fmas_f32 v5, v5, v6, v11
	v_div_fixup_f32 v3, v5, v4, v3
.LBB11_14:
	s_or_b32 exec_lo, exec_lo, s5
.LBB11_15:
	s_delay_alu instid0(SALU_CYCLE_1)
	s_or_b32 exec_lo, exec_lo, s4
.LBB11_16:
	s_delay_alu instid0(SALU_CYCLE_1)
	s_or_b32 exec_lo, exec_lo, s1
	v_dual_mov_b32 v5, 0x7f800000 :: v_dual_mov_b32 v4, 0x7f800000
	s_mov_b32 s1, exec_lo
	v_cmpx_neq_f32_e32 0, v8
	s_cbranch_execz .LBB11_24
; %bb.17:
	v_mov_b32_e32 v4, 0x7fc00000
	s_mov_b32 s4, exec_lo
	v_cmpx_ngt_f32_e32 0, v8
	s_cbranch_execz .LBB11_23
; %bb.18:
	s_mov_b32 s0, exec_lo
	v_cmpx_ge_f32_e32 2.0, v8
	s_xor_b32 s5, exec_lo, s0
	s_cbranch_execz .LBB11_20
; %bb.19:
	v_dual_mov_b32 v7, 0.5 :: v_dual_mov_b32 v6, v8
	s_mov_b32 s0, 0xa2a2e5b9
	v_mov_b64_e32 v[16:17], 0x3ad6e3ac293fd856
	v_mov_b32_e32 v14, 0xa51e770f
	v_mov_b64_e32 v[20:21], 0xbb8db2f12d3612e2
	v_pk_fma_f32 v[12:13], v[8:9], v[6:7], -2.0 op_sel_hi:[0,1,0]
	v_pk_mul_f32 v[22:23], v[8:9], v[6:7] op_sel_hi:[0,1]
	v_mov_b64_e32 v[24:25], 0xbdc25b823aa5c174
	s_delay_alu instid0(VALU_DEP_3) | instskip(NEXT) | instid1(VALU_DEP_4)
	v_fmaak_f32 v4, s0, v13, 0x24199b15
	v_mul_f32_e32 v18, 0x251e770f, v12
	s_mov_b32 s0, 0xa51e770f
	v_cmp_gt_f32_e32 vcc_lo, 0x800000, v23
	s_delay_alu instid0(VALU_DEP_3) | instskip(NEXT) | instid1(VALU_DEP_1)
	v_fmaak_f32 v11, v13, v4, 0x22a2e5b9
	v_add_f32_e32 v11, 0xa58c275c, v11
	s_delay_alu instid0(VALU_DEP_1) | instskip(NEXT) | instid1(VALU_DEP_1)
	v_fma_f32 v4, v13, v11, -v4
	v_add_f32_e32 v4, 0x26f736c5, v4
	s_delay_alu instid0(VALU_DEP_1) | instskip(NEXT) | instid1(VALU_DEP_1)
	v_fma_f32 v11, v13, v4, -v11
	;; [unrolled: 3-line block ×18, first 2 shown]
	v_add_f32_e32 v15, 0xba1717e9, v11
	s_delay_alu instid0(VALU_DEP_1) | instskip(SKIP_1) | instid1(VALU_DEP_2)
	v_fma_f32 v19, v13, v15, -v4
	v_mul_f32_e32 v4, 0x3fb8aa3b, v8
	v_pk_add_f32 v[16:17], v[18:19], v[16:17]
	s_delay_alu instid0(VALU_DEP_2) | instskip(SKIP_3) | instid1(VALU_DEP_4)
	v_rndne_f32_e32 v6, v4
	v_fma_f32 v11, 0x3fb8aa3b, v8, -v4
	v_mov_b64_e32 v[18:19], s[0:1]
	v_cmp_ngt_f32_e64 s0, 0xc2ce8ed0, v8
	v_sub_f32_e32 v4, v4, v6
	s_delay_alu instid0(VALU_DEP_4) | instskip(SKIP_2) | instid1(VALU_DEP_3)
	v_fmamk_f32 v11, v8, 0x32a5705f, v11
	v_cvt_i32_f32_e32 v6, v6
	v_pk_fma_f32 v[18:19], v[12:13], v[16:17], v[18:19]
	v_add_f32_e32 v4, v4, v11
	v_pk_fma_f32 v[14:15], v[12:13], v[16:17], v[14:15] neg_lo:[0,0,1] neg_hi:[0,0,1]
	s_delay_alu instid0(VALU_DEP_2) | instskip(NEXT) | instid1(VALU_DEP_1)
	v_exp_f32_e32 v4, v4
	v_mov_b32_e32 v19, v15
	s_delay_alu instid0(VALU_DEP_1) | instskip(SKIP_2) | instid1(TRANS32_DEP_1)
	v_pk_add_f32 v[14:15], v[18:19], v[20:21]
	v_mov_b64_e32 v[18:19], 0x3c2ccb103102e09b
	v_mov_b64_e32 v[20:21], 0xc000000037bfc808
	v_ldexp_f32 v4, v4, v6
	s_delay_alu instid0(VALU_DEP_4) | instskip(NEXT) | instid1(VALU_DEP_1)
	v_pk_fma_f32 v[16:17], v[12:13], v[14:15], v[16:17] neg_lo:[0,0,1] neg_hi:[0,0,1]
	v_pk_add_f32 v[16:17], v[16:17], v[18:19]
	v_mov_b64_e32 v[18:19], 0xbcc274f8348815e7
	s_delay_alu instid0(VALU_DEP_2) | instskip(NEXT) | instid1(VALU_DEP_1)
	v_pk_fma_f32 v[14:15], v[12:13], v[16:17], v[14:15] neg_lo:[0,0,1] neg_hi:[0,0,1]
	v_pk_add_f32 v[14:15], v[14:15], v[18:19]
	v_mov_b64_e32 v[18:19], 0x3d49f45637bfc808
	s_delay_alu instid0(VALU_DEP_2) | instskip(NEXT) | instid1(VALU_DEP_1)
	v_pk_fma_f32 v[16:17], v[12:13], v[14:15], v[16:17] neg_lo:[0,0,1] neg_hi:[0,0,1]
	v_mov_b32_e32 v22, v16
	s_delay_alu instid0(VALU_DEP_2) | instskip(SKIP_1) | instid1(VALU_DEP_3)
	v_pk_add_f32 v[16:17], v[16:17], v[18:19]
	v_mov_b32_e32 v18, v12
	v_pk_add_f32 v[20:21], v[22:23], v[20:21]
	s_delay_alu instid0(VALU_DEP_3) | instskip(NEXT) | instid1(VALU_DEP_1)
	v_mov_b32_e32 v19, v17
	v_pk_fma_f32 v[14:15], v[20:21], v[18:19], v[14:15] neg_lo:[0,0,1] neg_hi:[0,0,1]
	v_mov_b64_e32 v[18:19], 0x3e2fbd643d135fb3
	v_cndmask_b32_e64 v20, 0, 32, vcc_lo
	s_delay_alu instid0(VALU_DEP_3) | instskip(NEXT) | instid1(VALU_DEP_1)
	v_pk_add_f32 v[14:15], v[14:15], v[24:25]
	v_pk_fma_f32 v[16:17], v[12:13], v[14:15], v[16:17] neg_lo:[0,0,1] neg_hi:[0,0,1]
	s_delay_alu instid0(VALU_DEP_1) | instskip(NEXT) | instid1(VALU_DEP_4)
	v_pk_add_f32 v[16:17], v[16:17], v[18:19]
	v_ldexp_f32 v18, v23, v20
	v_cndmask_b32_e64 v20, 0, 0x41b17218, vcc_lo
	s_delay_alu instid0(VALU_DEP_3) | instskip(NEXT) | instid1(VALU_DEP_3)
	v_pk_fma_f32 v[14:15], v[12:13], v[16:17], v[14:15] neg_lo:[0,0,1] neg_hi:[0,0,1]
	v_log_f32_e32 v11, v18
	s_delay_alu instid0(VALU_DEP_1) | instskip(NEXT) | instid1(VALU_DEP_2)
	v_add_f32_e32 v15, 0xbe9bff5e, v15
	v_add_f32_e32 v14, 0x3eb046c4, v14
	s_delay_alu instid0(TRANS32_DEP_1) | instskip(SKIP_1) | instid1(VALU_DEP_3)
	v_mul_f32_e32 v18, 0x3f317217, v11
	v_cmp_gt_f32_e64 vcc_lo, 0x7f800000, |v11|
	v_dual_fma_f32 v13, v13, v15, -v17 :: v_dual_mul_f32 v12, v12, v14
	v_cndmask_b32_e64 v14, 0, v4, s0
	s_delay_alu instid0(VALU_DEP_4) | instskip(SKIP_1) | instid1(VALU_DEP_4)
	v_fma_f32 v6, 0x3f317217, v11, -v18
	v_cmp_nlt_f32_e64 s0, 0x42b17218, v8
	v_add_f32_e32 v13, 0x3f2d4275, v13
	v_mov_b32_e32 v4, 0xbf090b37
	s_delay_alu instid0(VALU_DEP_4) | instskip(NEXT) | instid1(VALU_DEP_4)
	v_fmamk_f32 v6, v11, 0x3377d1cf, v6
	v_cndmask_b32_e64 v15, 0x7f800000, v14, s0
	s_delay_alu instid0(VALU_DEP_4) | instskip(SKIP_1) | instid1(VALU_DEP_4)
	v_pk_add_f32 v[12:13], v[12:13], v[16:17] neg_lo:[0,1] neg_hi:[0,1]
	v_mov_b32_e32 v14, v16
	v_fmac_f32_e32 v6, 0x3f317217, v11
	s_delay_alu instid0(VALU_DEP_1) | instskip(SKIP_2) | instid1(VALU_DEP_3)
	v_pk_mul_f32 v[18:19], v[12:13], v[6:7]
	v_pk_add_f32 v[12:13], v[12:13], v[4:5]
	v_cndmask_b32_e32 v6, v11, v6, vcc_lo
	v_pk_mul_f32 v[18:19], v[18:19], v[14:15]
	s_delay_alu instid0(VALU_DEP_3) | instskip(NEXT) | instid1(VALU_DEP_3)
	v_pk_add_f32 v[12:13], v[12:13], v[16:17] neg_lo:[0,1] neg_hi:[0,1]
	v_dual_sub_f32 v21, v6, v20 :: v_dual_mov_b32 v20, v7
	s_delay_alu instid0(VALU_DEP_3) | instskip(NEXT) | instid1(VALU_DEP_1)
	v_mov_b32_e32 v13, v19
	v_pk_mul_f32 v[6:7], v[20:21], v[12:13]
	s_delay_alu instid0(VALU_DEP_1) | instskip(NEXT) | instid1(VALU_DEP_1)
	v_sub_f32_e32 v4, v6, v7
	v_mul_f32_e32 v4, v15, v4
.LBB11_20:
	s_and_not1_saveexec_b32 s5, s5
	s_cbranch_execz .LBB11_22
; %bb.21:
	v_div_scale_f32 v4, null, v8, v8, 0x41000000
	v_div_scale_f32 v11, vcc_lo, 0x41000000, v8, 0x41000000
	s_mov_b32 s0, 0x22c38d2e
	v_rcp_f32_e32 v6, v4
	v_nop
	s_delay_alu instid0(TRANS32_DEP_1) | instskip(NEXT) | instid1(VALU_DEP_1)
	v_fma_f32 v7, -v4, v6, 1.0
	v_fmac_f32_e32 v6, v7, v6
	s_delay_alu instid0(VALU_DEP_1) | instskip(NEXT) | instid1(VALU_DEP_1)
	v_mul_f32_e32 v7, v11, v6
	v_fma_f32 v12, -v4, v7, v11
	s_delay_alu instid0(VALU_DEP_1) | instskip(NEXT) | instid1(VALU_DEP_1)
	v_fmac_f32_e32 v7, v12, v6
	v_fma_f32 v4, -v4, v7, v11
	v_mul_f32_e32 v11, 0x4f800000, v8
	s_delay_alu instid0(VALU_DEP_2) | instskip(SKIP_1) | instid1(VALU_DEP_2)
	v_div_fmas_f32 v4, v4, v6, v7
	v_cmp_gt_f32_e32 vcc_lo, 0xf800000, v8
	v_div_fixup_f32 v4, v4, v8, 0x41000000
	s_delay_alu instid0(VALU_DEP_1) | instskip(NEXT) | instid1(VALU_DEP_1)
	v_dual_cndmask_b32 v8, v8, v11, vcc_lo :: v_dual_add_f32 v4, -2.0, v4
	v_sqrt_f32_e32 v11, v8
	v_nop
	s_delay_alu instid0(TRANS32_DEP_1) | instskip(NEXT) | instid1(VALU_DEP_1)
	v_dual_fmaak_f32 v6, s0, v4, 0xa397f665 :: v_dual_add_nc_u32 v13, 1, v11
	v_dual_fmaak_f32 v7, v4, v6, 0xa2c38d2e :: v_dual_add_nc_u32 v12, -1, v11
	s_delay_alu instid0(VALU_DEP_1) | instskip(NEXT) | instid1(VALU_DEP_1)
	v_dual_fma_f32 v15, -v13, v11, v8 :: v_dual_fma_f32 v14, -v12, v11, v8
	v_cmp_ge_f32_e64 s0, 0, v14
	s_delay_alu instid0(VALU_DEP_1) | instskip(NEXT) | instid1(VALU_DEP_3)
	v_cndmask_b32_e64 v11, v11, v12, s0
	v_cmp_lt_f32_e64 s0, 0, v15
	s_delay_alu instid0(VALU_DEP_1) | instskip(SKIP_1) | instid1(VALU_DEP_1)
	v_cndmask_b32_e64 v11, v11, v13, s0
	v_add_f32_e32 v7, 0x24704972, v7
	v_fma_f32 v6, v4, v7, -v6
	s_delay_alu instid0(VALU_DEP_1) | instskip(NEXT) | instid1(VALU_DEP_1)
	v_add_f32_e32 v6, 0xa5417ca4, v6
	v_fma_f32 v7, v4, v6, -v7
	s_delay_alu instid0(VALU_DEP_1) | instskip(NEXT) | instid1(VALU_DEP_1)
	;; [unrolled: 3-line block ×21, first 2 shown]
	v_add_f32_e32 v6, 0xbd00cfb9, v6
	v_fma_f32 v4, v4, v6, -v7
	v_mul_f32_e32 v6, 0x37800000, v11
	s_delay_alu instid0(VALU_DEP_2) | instskip(NEXT) | instid1(VALU_DEP_2)
	v_add_f32_e32 v4, 0x401c2ded, v4
	v_cndmask_b32_e32 v6, v11, v6, vcc_lo
	v_cmp_class_f32_e64 vcc_lo, v8, 0x260
	s_delay_alu instid0(VALU_DEP_1) | instskip(NEXT) | instid1(VALU_DEP_1)
	v_dual_sub_f32 v4, v4, v7 :: v_dual_cndmask_b32 v6, v6, v8, vcc_lo
	v_mul_f32_e32 v4, 0.5, v4
	s_delay_alu instid0(VALU_DEP_1) | instskip(NEXT) | instid1(VALU_DEP_1)
	v_div_scale_f32 v7, null, v6, v6, v4
	v_rcp_f32_e32 v8, v7
	v_nop
	s_delay_alu instid0(TRANS32_DEP_1) | instskip(NEXT) | instid1(VALU_DEP_1)
	v_fma_f32 v11, -v7, v8, 1.0
	v_fmac_f32_e32 v8, v11, v8
	v_div_scale_f32 v11, vcc_lo, v4, v6, v4
	s_delay_alu instid0(VALU_DEP_1) | instskip(NEXT) | instid1(VALU_DEP_1)
	v_mul_f32_e32 v12, v11, v8
	v_fma_f32 v13, -v7, v12, v11
	s_delay_alu instid0(VALU_DEP_1) | instskip(NEXT) | instid1(VALU_DEP_1)
	v_fmac_f32_e32 v12, v13, v8
	v_fma_f32 v7, -v7, v12, v11
	s_delay_alu instid0(VALU_DEP_1) | instskip(NEXT) | instid1(VALU_DEP_1)
	v_div_fmas_f32 v7, v7, v8, v12
	v_div_fixup_f32 v4, v7, v6, v4
.LBB11_22:
	s_or_b32 exec_lo, exec_lo, s5
.LBB11_23:
	s_delay_alu instid0(SALU_CYCLE_1)
	s_or_b32 exec_lo, exec_lo, s4
.LBB11_24:
	s_delay_alu instid0(SALU_CYCLE_1) | instskip(NEXT) | instid1(SALU_CYCLE_1)
	s_or_b32 exec_lo, exec_lo, s1
	s_mov_b32 s1, exec_lo
	v_cmpx_neq_f32_e32 0, v9
	s_cbranch_execz .LBB11_32
; %bb.25:
	v_mov_b32_e32 v5, 0x7fc00000
	s_mov_b32 s4, exec_lo
	v_cmpx_ngt_f32_e32 0, v9
	s_cbranch_execz .LBB11_31
; %bb.26:
	s_mov_b32 s0, exec_lo
	v_cmpx_ge_f32_e32 2.0, v9
	s_xor_b32 s5, exec_lo, s0
	s_cbranch_execz .LBB11_28
; %bb.27:
	v_dual_mov_b32 v6, v9 :: v_dual_mov_b32 v13, 0.5
	s_mov_b32 s0, 0xa2a2e5b9
	v_mov_b32_e32 v12, v9
	v_mov_b64_e32 v[18:19], 0x3ad6e3ac293fd856
	v_mov_b64_e32 v[22:23], 0xbb8db2f12d3612e2
	;; [unrolled: 1-line block ×3, first 2 shown]
	s_delay_alu instid0(VALU_DEP_4) | instskip(NEXT) | instid1(VALU_DEP_1)
	v_pk_fma_f32 v[14:15], v[6:7], v[12:13], -2.0 op_sel_hi:[0,1,0]
	v_fmaak_f32 v5, s0, v15, 0x24199b15
	s_delay_alu instid0(VALU_DEP_2) | instskip(SKIP_1) | instid1(VALU_DEP_2)
	v_mul_f32_e32 v20, 0x251e770f, v14
	s_mov_b32 s0, 0xa51e770f
	v_fmaak_f32 v7, v15, v5, 0x22a2e5b9
	s_delay_alu instid0(VALU_DEP_1) | instskip(NEXT) | instid1(VALU_DEP_1)
	v_add_f32_e32 v7, 0xa58c275c, v7
	v_fma_f32 v5, v15, v7, -v5
	s_delay_alu instid0(VALU_DEP_1) | instskip(NEXT) | instid1(VALU_DEP_1)
	v_add_f32_e32 v5, 0x26f736c5, v5
	v_fma_f32 v7, v15, v5, -v7
	;; [unrolled: 3-line block ×18, first 2 shown]
	s_delay_alu instid0(VALU_DEP_1) | instskip(SKIP_1) | instid1(VALU_DEP_2)
	v_add_f32_e32 v17, 0xba1717e9, v7
	v_pk_mul_f32 v[6:7], v[6:7], v[12:13] op_sel_hi:[0,1]
	v_fma_f32 v21, v15, v17, -v5
	s_delay_alu instid0(VALU_DEP_2) | instskip(SKIP_1) | instid1(VALU_DEP_3)
	v_cmp_gt_f32_e32 vcc_lo, 0x800000, v7
	v_mul_f32_e32 v5, 0x3fb8aa3b, v9
	v_pk_add_f32 v[18:19], v[20:21], v[18:19]
	v_cndmask_b32_e64 v11, 0, 32, vcc_lo
	v_mov_b64_e32 v[20:21], s[0:1]
	s_delay_alu instid0(VALU_DEP_4) | instskip(SKIP_1) | instid1(VALU_DEP_4)
	v_rndne_f32_e32 v8, v5
	v_cmp_ngt_f32_e64 s0, 0xc2ce8ed0, v9
	v_ldexp_f32 v11, v7, v11
	s_delay_alu instid0(VALU_DEP_4) | instskip(NEXT) | instid1(VALU_DEP_2)
	v_pk_fma_f32 v[20:21], v[14:15], v[18:19], v[20:21]
	v_log_f32_e32 v11, v11
	v_mov_b32_e32 v16, 0xa51e770f
	s_delay_alu instid0(VALU_DEP_1)
	v_pk_fma_f32 v[16:17], v[14:15], v[18:19], v[16:17] neg_lo:[0,0,1] neg_hi:[0,0,1]
	s_delay_alu instid0(TRANS32_DEP_1) | instid1(VALU_DEP_1)
	v_dual_mul_f32 v12, 0x3f317217, v11 :: v_dual_mov_b32 v21, v17
	s_delay_alu instid0(VALU_DEP_1) | instskip(SKIP_2) | instid1(VALU_DEP_3)
	v_pk_add_f32 v[16:17], v[20:21], v[22:23]
	v_mov_b64_e32 v[20:21], 0x3c2ccb103102e09b
	v_mov_b64_e32 v[22:23], 0xc000000037bfc808
	v_pk_fma_f32 v[18:19], v[14:15], v[16:17], v[18:19] neg_lo:[0,0,1] neg_hi:[0,0,1]
	s_delay_alu instid0(VALU_DEP_1) | instskip(SKIP_1) | instid1(VALU_DEP_2)
	v_pk_add_f32 v[18:19], v[18:19], v[20:21]
	v_mov_b64_e32 v[20:21], 0xbcc274f8348815e7
	v_pk_fma_f32 v[16:17], v[14:15], v[18:19], v[16:17] neg_lo:[0,0,1] neg_hi:[0,0,1]
	s_delay_alu instid0(VALU_DEP_1) | instskip(SKIP_1) | instid1(VALU_DEP_2)
	v_pk_add_f32 v[16:17], v[16:17], v[20:21]
	v_mov_b64_e32 v[20:21], 0x3d49f45637bfc808
	v_pk_fma_f32 v[18:19], v[14:15], v[16:17], v[18:19] neg_lo:[0,0,1] neg_hi:[0,0,1]
	s_delay_alu instid0(VALU_DEP_1) | instskip(NEXT) | instid1(VALU_DEP_2)
	v_mov_b32_e32 v6, v18
	v_pk_add_f32 v[18:19], v[18:19], v[20:21]
	v_mov_b32_e32 v20, v14
	s_delay_alu instid0(VALU_DEP_3) | instskip(NEXT) | instid1(VALU_DEP_3)
	v_pk_add_f32 v[22:23], v[6:7], v[22:23]
	v_mov_b32_e32 v21, v19
	v_fma_f32 v6, 0x3fb8aa3b, v9, -v5
	v_sub_f32_e32 v5, v5, v8
	v_cvt_i32_f32_e32 v8, v8
	s_delay_alu instid0(VALU_DEP_4) | instskip(SKIP_2) | instid1(VALU_DEP_3)
	v_pk_fma_f32 v[16:17], v[22:23], v[20:21], v[16:17] neg_lo:[0,0,1] neg_hi:[0,0,1]
	v_mov_b64_e32 v[20:21], 0x3e2fbd643d135fb3
	v_fmamk_f32 v6, v9, 0x32a5705f, v6
	v_pk_add_f32 v[16:17], v[16:17], v[24:25]
	s_delay_alu instid0(VALU_DEP_2) | instskip(NEXT) | instid1(VALU_DEP_2)
	v_add_f32_e32 v5, v5, v6
	v_pk_fma_f32 v[18:19], v[14:15], v[16:17], v[18:19] neg_lo:[0,0,1] neg_hi:[0,0,1]
	s_delay_alu instid0(VALU_DEP_2) | instskip(NEXT) | instid1(VALU_DEP_1)
	v_exp_f32_e32 v5, v5
	v_pk_add_f32 v[18:19], v[18:19], v[20:21]
	s_delay_alu instid0(TRANS32_DEP_1) | instskip(NEXT) | instid1(VALU_DEP_2)
	v_ldexp_f32 v5, v5, v8
	v_pk_fma_f32 v[6:7], v[14:15], v[18:19], v[16:17] neg_lo:[0,0,1] neg_hi:[0,0,1]
	v_fma_f32 v8, 0x3f317217, v11, -v12
	s_delay_alu instid0(VALU_DEP_3) | instskip(NEXT) | instid1(VALU_DEP_3)
	v_cndmask_b32_e64 v5, 0, v5, s0
	v_add_f32_e32 v7, 0xbe9bff5e, v7
	s_delay_alu instid0(VALU_DEP_4) | instskip(NEXT) | instid1(VALU_DEP_4)
	v_add_f32_e32 v6, 0x3eb046c4, v6
	v_fmamk_f32 v12, v11, 0x3377d1cf, v8
	v_cmp_nlt_f32_e64 s0, 0x42b17218, v9
	v_mov_b32_e32 v8, 0xbf090b37
	s_delay_alu instid0(VALU_DEP_4) | instskip(NEXT) | instid1(VALU_DEP_4)
	v_dual_fma_f32 v7, v15, v7, -v19 :: v_dual_mul_f32 v6, v14, v6
	v_fmac_f32_e32 v12, 0x3f317217, v11
	s_delay_alu instid0(VALU_DEP_4) | instskip(NEXT) | instid1(VALU_DEP_3)
	v_cndmask_b32_e64 v15, 0x7f800000, v5, s0
	v_dual_mov_b32 v14, v18 :: v_dual_add_f32 v7, 0x3f2d4275, v7
	v_cndmask_b32_e64 v5, 0, 0x41b17218, vcc_lo
	v_cmp_gt_f32_e64 vcc_lo, 0x7f800000, |v11|
	s_delay_alu instid0(VALU_DEP_3) | instskip(SKIP_1) | instid1(VALU_DEP_2)
	v_pk_add_f32 v[6:7], v[6:7], v[18:19] neg_lo:[0,1] neg_hi:[0,1]
	v_cndmask_b32_e32 v11, v11, v12, vcc_lo
	v_pk_mul_f32 v[16:17], v[6:7], v[12:13]
	v_pk_add_f32 v[6:7], v[6:7], v[8:9]
	s_delay_alu instid0(VALU_DEP_2) | instskip(NEXT) | instid1(VALU_DEP_2)
	v_pk_mul_f32 v[8:9], v[16:17], v[14:15]
	v_pk_add_f32 v[6:7], v[6:7], v[18:19] neg_lo:[0,1] neg_hi:[0,1]
	v_dual_sub_f32 v17, v11, v5 :: v_dual_mov_b32 v16, v13
	s_delay_alu instid0(VALU_DEP_3) | instskip(NEXT) | instid1(VALU_DEP_1)
	v_mov_b32_e32 v7, v9
	v_pk_mul_f32 v[6:7], v[16:17], v[6:7]
	s_delay_alu instid0(VALU_DEP_1) | instskip(NEXT) | instid1(VALU_DEP_1)
	v_sub_f32_e32 v5, v6, v7
                                        ; implicit-def: $vgpr6_vgpr7_vgpr8_vgpr9
	v_mul_f32_e32 v5, v15, v5
.LBB11_28:
	s_and_not1_saveexec_b32 s5, s5
	s_cbranch_execz .LBB11_30
; %bb.29:
	v_div_scale_f32 v5, null, v9, v9, 0x41000000
	v_div_scale_f32 v8, vcc_lo, 0x41000000, v9, 0x41000000
	s_mov_b32 s0, 0x22c38d2e
	v_rcp_f32_e32 v6, v5
	v_nop
	s_delay_alu instid0(TRANS32_DEP_1) | instskip(NEXT) | instid1(VALU_DEP_1)
	v_fma_f32 v7, -v5, v6, 1.0
	v_fmac_f32_e32 v6, v7, v6
	s_delay_alu instid0(VALU_DEP_1) | instskip(NEXT) | instid1(VALU_DEP_1)
	v_mul_f32_e32 v7, v8, v6
	v_fma_f32 v11, -v5, v7, v8
	s_delay_alu instid0(VALU_DEP_1) | instskip(NEXT) | instid1(VALU_DEP_1)
	v_fmac_f32_e32 v7, v11, v6
	v_fma_f32 v5, -v5, v7, v8
	v_mul_f32_e32 v8, 0x4f800000, v9
	s_delay_alu instid0(VALU_DEP_2) | instskip(SKIP_1) | instid1(VALU_DEP_2)
	v_div_fmas_f32 v5, v5, v6, v7
	v_cmp_gt_f32_e32 vcc_lo, 0xf800000, v9
	v_div_fixup_f32 v5, v5, v9, 0x41000000
	s_delay_alu instid0(VALU_DEP_1) | instskip(NEXT) | instid1(VALU_DEP_1)
	v_dual_cndmask_b32 v8, v9, v8 :: v_dual_add_f32 v5, -2.0, v5
	v_sqrt_f32_e32 v9, v8
	s_delay_alu instid0(VALU_DEP_1) | instskip(NEXT) | instid1(TRANS32_DEP_1)
	v_fmaak_f32 v6, s0, v5, 0xa397f665
	v_dual_add_nc_u32 v11, -1, v9 :: v_dual_add_nc_u32 v12, 1, v9
	s_delay_alu instid0(VALU_DEP_2) | instskip(NEXT) | instid1(VALU_DEP_2)
	v_fmaak_f32 v7, v5, v6, 0xa2c38d2e
	v_fma_f32 v13, -v11, v9, v8
	s_delay_alu instid0(VALU_DEP_1) | instskip(NEXT) | instid1(VALU_DEP_1)
	v_cmp_ge_f32_e64 s0, 0, v13
	v_dual_fma_f32 v14, -v12, v9, v8 :: v_dual_cndmask_b32 v9, v9, v11, s0
	s_delay_alu instid0(VALU_DEP_1) | instskip(NEXT) | instid1(VALU_DEP_1)
	v_cmp_lt_f32_e64 s0, 0, v14
	v_cndmask_b32_e64 v9, v9, v12, s0
	v_add_f32_e32 v7, 0x24704972, v7
	s_delay_alu instid0(VALU_DEP_1) | instskip(NEXT) | instid1(VALU_DEP_1)
	v_fma_f32 v6, v5, v7, -v6
	v_add_f32_e32 v6, 0xa5417ca4, v6
	s_delay_alu instid0(VALU_DEP_1) | instskip(NEXT) | instid1(VALU_DEP_1)
	v_fma_f32 v7, v5, v6, -v7
	;; [unrolled: 3-line block ×21, first 2 shown]
	v_add_f32_e32 v6, 0xbd00cfb9, v6
	s_delay_alu instid0(VALU_DEP_1) | instskip(SKIP_1) | instid1(VALU_DEP_1)
	v_fma_f32 v5, v5, v6, -v7
	v_mul_f32_e32 v6, 0x37800000, v9
	v_dual_add_f32 v5, 0x401c2ded, v5 :: v_dual_cndmask_b32 v6, v9, v6
	v_cmp_class_f32_e64 vcc_lo, v8, 0x260
	s_delay_alu instid0(VALU_DEP_2) | instskip(NEXT) | instid1(VALU_DEP_1)
	v_dual_sub_f32 v5, v5, v7 :: v_dual_cndmask_b32 v6, v6, v8
	v_mul_f32_e32 v5, 0.5, v5
	s_delay_alu instid0(VALU_DEP_1) | instskip(NEXT) | instid1(VALU_DEP_1)
	v_div_scale_f32 v7, null, v6, v6, v5
	v_rcp_f32_e32 v8, v7
	v_nop
	s_delay_alu instid0(TRANS32_DEP_1) | instskip(NEXT) | instid1(VALU_DEP_1)
	v_fma_f32 v9, -v7, v8, 1.0
	v_fmac_f32_e32 v8, v9, v8
	v_div_scale_f32 v9, vcc_lo, v5, v6, v5
	s_delay_alu instid0(VALU_DEP_1) | instskip(NEXT) | instid1(VALU_DEP_1)
	v_mul_f32_e32 v11, v9, v8
	v_fma_f32 v12, -v7, v11, v9
	s_delay_alu instid0(VALU_DEP_1) | instskip(NEXT) | instid1(VALU_DEP_1)
	v_fmac_f32_e32 v11, v12, v8
	v_fma_f32 v7, -v7, v11, v9
	s_delay_alu instid0(VALU_DEP_1) | instskip(NEXT) | instid1(VALU_DEP_1)
	v_div_fmas_f32 v7, v7, v8, v11
	v_div_fixup_f32 v5, v7, v6, v5
.LBB11_30:
	s_or_b32 exec_lo, exec_lo, s5
.LBB11_31:
	s_delay_alu instid0(SALU_CYCLE_1)
	s_or_b32 exec_lo, exec_lo, s4
.LBB11_32:
	s_delay_alu instid0(SALU_CYCLE_1) | instskip(SKIP_2) | instid1(VALU_DEP_1)
	s_or_b32 exec_lo, exec_lo, s1
	v_lshl_add_u64 v[0:1], s[2:3], 2, v[0:1]
	v_mov_b32_e32 v11, 0
	v_add_nc_u64_e32 v[0:1], v[0:1], v[10:11]
	flat_store_b128 v[0:1], v[2:5]
	s_wait_dscnt 0x0
	s_set_pc_i64 s[30:31]
.Lfunc_end11:
	.size	_ZN2at6native25elementwise_kernel_helperILb0EZZZNS0_12_GLOBAL__N_137scaled_modified_bessel_k0_kernel_cudaERNS_18TensorIteratorBaseEENKUlvE_clEvENKUlvE0_clEvEUlfE_NS0_6memory8policies10vectorizedILi4ESt5arrayIPcLm2EELi4EEEEEvT0_T1_, .Lfunc_end11-_ZN2at6native25elementwise_kernel_helperILb0EZZZNS0_12_GLOBAL__N_137scaled_modified_bessel_k0_kernel_cudaERNS_18TensorIteratorBaseEENKUlvE_clEvENKUlvE0_clEvEUlfE_NS0_6memory8policies10vectorizedILi4ESt5arrayIPcLm2EELi4EEEEEvT0_T1_
                                        ; -- End function
	.set .L_ZN2at6native25elementwise_kernel_helperILb0EZZZNS0_12_GLOBAL__N_137scaled_modified_bessel_k0_kernel_cudaERNS_18TensorIteratorBaseEENKUlvE_clEvENKUlvE0_clEvEUlfE_NS0_6memory8policies10vectorizedILi4ESt5arrayIPcLm2EELi4EEEEEvT0_T1_.num_vgpr, 32
	.set .L_ZN2at6native25elementwise_kernel_helperILb0EZZZNS0_12_GLOBAL__N_137scaled_modified_bessel_k0_kernel_cudaERNS_18TensorIteratorBaseEENKUlvE_clEvENKUlvE0_clEvEUlfE_NS0_6memory8policies10vectorizedILi4ESt5arrayIPcLm2EELi4EEEEEvT0_T1_.num_agpr, 0
	.set .L_ZN2at6native25elementwise_kernel_helperILb0EZZZNS0_12_GLOBAL__N_137scaled_modified_bessel_k0_kernel_cudaERNS_18TensorIteratorBaseEENKUlvE_clEvENKUlvE0_clEvEUlfE_NS0_6memory8policies10vectorizedILi4ESt5arrayIPcLm2EELi4EEEEEvT0_T1_.numbered_sgpr, 32
	.set .L_ZN2at6native25elementwise_kernel_helperILb0EZZZNS0_12_GLOBAL__N_137scaled_modified_bessel_k0_kernel_cudaERNS_18TensorIteratorBaseEENKUlvE_clEvENKUlvE0_clEvEUlfE_NS0_6memory8policies10vectorizedILi4ESt5arrayIPcLm2EELi4EEEEEvT0_T1_.num_named_barrier, 0
	.set .L_ZN2at6native25elementwise_kernel_helperILb0EZZZNS0_12_GLOBAL__N_137scaled_modified_bessel_k0_kernel_cudaERNS_18TensorIteratorBaseEENKUlvE_clEvENKUlvE0_clEvEUlfE_NS0_6memory8policies10vectorizedILi4ESt5arrayIPcLm2EELi4EEEEEvT0_T1_.private_seg_size, 0
	.set .L_ZN2at6native25elementwise_kernel_helperILb0EZZZNS0_12_GLOBAL__N_137scaled_modified_bessel_k0_kernel_cudaERNS_18TensorIteratorBaseEENKUlvE_clEvENKUlvE0_clEvEUlfE_NS0_6memory8policies10vectorizedILi4ESt5arrayIPcLm2EELi4EEEEEvT0_T1_.uses_vcc, 1
	.set .L_ZN2at6native25elementwise_kernel_helperILb0EZZZNS0_12_GLOBAL__N_137scaled_modified_bessel_k0_kernel_cudaERNS_18TensorIteratorBaseEENKUlvE_clEvENKUlvE0_clEvEUlfE_NS0_6memory8policies10vectorizedILi4ESt5arrayIPcLm2EELi4EEEEEvT0_T1_.uses_flat_scratch, 0
	.set .L_ZN2at6native25elementwise_kernel_helperILb0EZZZNS0_12_GLOBAL__N_137scaled_modified_bessel_k0_kernel_cudaERNS_18TensorIteratorBaseEENKUlvE_clEvENKUlvE0_clEvEUlfE_NS0_6memory8policies10vectorizedILi4ESt5arrayIPcLm2EELi4EEEEEvT0_T1_.has_dyn_sized_stack, 0
	.set .L_ZN2at6native25elementwise_kernel_helperILb0EZZZNS0_12_GLOBAL__N_137scaled_modified_bessel_k0_kernel_cudaERNS_18TensorIteratorBaseEENKUlvE_clEvENKUlvE0_clEvEUlfE_NS0_6memory8policies10vectorizedILi4ESt5arrayIPcLm2EELi4EEEEEvT0_T1_.has_recursion, 0
	.set .L_ZN2at6native25elementwise_kernel_helperILb0EZZZNS0_12_GLOBAL__N_137scaled_modified_bessel_k0_kernel_cudaERNS_18TensorIteratorBaseEENKUlvE_clEvENKUlvE0_clEvEUlfE_NS0_6memory8policies10vectorizedILi4ESt5arrayIPcLm2EELi4EEEEEvT0_T1_.has_indirect_call, 0
	.section	.AMDGPU.csdata,"",@progbits
; Function info:
; codeLenInByte = 8152
; TotalNumSgprs: 34
; NumVgprs: 32
; ScratchSize: 0
; MemoryBound: 0
	.section	.text._ZN2at6native29vectorized_elementwise_kernelILi16EZZZNS0_12_GLOBAL__N_137scaled_modified_bessel_k0_kernel_cudaERNS_18TensorIteratorBaseEENKUlvE_clEvENKUlvE0_clEvEUlfE_St5arrayIPcLm2EEEEviT0_T1_,"axG",@progbits,_ZN2at6native29vectorized_elementwise_kernelILi16EZZZNS0_12_GLOBAL__N_137scaled_modified_bessel_k0_kernel_cudaERNS_18TensorIteratorBaseEENKUlvE_clEvENKUlvE0_clEvEUlfE_St5arrayIPcLm2EEEEviT0_T1_,comdat
	.globl	_ZN2at6native29vectorized_elementwise_kernelILi16EZZZNS0_12_GLOBAL__N_137scaled_modified_bessel_k0_kernel_cudaERNS_18TensorIteratorBaseEENKUlvE_clEvENKUlvE0_clEvEUlfE_St5arrayIPcLm2EEEEviT0_T1_ ; -- Begin function _ZN2at6native29vectorized_elementwise_kernelILi16EZZZNS0_12_GLOBAL__N_137scaled_modified_bessel_k0_kernel_cudaERNS_18TensorIteratorBaseEENKUlvE_clEvENKUlvE0_clEvEUlfE_St5arrayIPcLm2EEEEviT0_T1_
	.p2align	8
	.type	_ZN2at6native29vectorized_elementwise_kernelILi16EZZZNS0_12_GLOBAL__N_137scaled_modified_bessel_k0_kernel_cudaERNS_18TensorIteratorBaseEENKUlvE_clEvENKUlvE0_clEvEUlfE_St5arrayIPcLm2EEEEviT0_T1_,@function
_ZN2at6native29vectorized_elementwise_kernelILi16EZZZNS0_12_GLOBAL__N_137scaled_modified_bessel_k0_kernel_cudaERNS_18TensorIteratorBaseEENKUlvE_clEvENKUlvE0_clEvEUlfE_St5arrayIPcLm2EEEEviT0_T1_: ; @_ZN2at6native29vectorized_elementwise_kernelILi16EZZZNS0_12_GLOBAL__N_137scaled_modified_bessel_k0_kernel_cudaERNS_18TensorIteratorBaseEENKUlvE_clEvENKUlvE0_clEvEUlfE_St5arrayIPcLm2EEEEviT0_T1_
; %bb.0:
	s_clause 0x1
	s_load_b32 s2, s[0:1], 0x0
	s_load_b128 s[8:11], s[0:1], 0x8
	s_wait_xcnt 0x0
	s_bfe_u32 s0, ttmp6, 0x4000c
	s_and_b32 s1, ttmp6, 15
	s_add_co_i32 s0, s0, 1
	s_getreg_b32 s3, hwreg(HW_REG_IB_STS2, 6, 4)
	s_mul_i32 s0, ttmp9, s0
	v_mov_b32_e32 v31, v0
	s_add_co_i32 s1, s1, s0
	s_cmp_eq_u32 s3, 0
	s_mov_b32 s32, 0
	s_cselect_b32 s0, ttmp9, s1
	s_delay_alu instid0(SALU_CYCLE_1)
	s_lshl_b32 s0, s0, 10
	s_wait_kmcnt 0x0
	s_sub_co_i32 s6, s2, s0
	s_mov_b32 s0, -1
	s_cmp_gt_i32 s6, 0x3ff
	s_cbranch_scc1 .LBB12_3
; %bb.1:
	s_and_not1_b32 vcc_lo, exec_lo, s0
	s_cbranch_vccz .LBB12_4
.LBB12_2:
	s_endpgm
.LBB12_3:
	v_dual_mov_b32 v0, s8 :: v_dual_mov_b32 v1, s9
	v_dual_mov_b32 v2, s10 :: v_dual_mov_b32 v3, s11
	s_get_pc_i64 s[0:1]
	s_add_nc_u64 s[0:1], s[0:1], _ZN2at6native25elementwise_kernel_helperILb0EZZZNS0_12_GLOBAL__N_137scaled_modified_bessel_k0_kernel_cudaERNS_18TensorIteratorBaseEENKUlvE_clEvENKUlvE0_clEvEUlfE_NS0_6memory8policies10vectorizedILi4ESt5arrayIPcLm2EELi4EEEEEvT0_T1_@rel64+4
	s_delay_alu instid0(SALU_CYCLE_1)
	s_swap_pc_i64 s[30:31], s[0:1]
	s_cbranch_execnz .LBB12_2
.LBB12_4:
	v_dual_mov_b32 v0, s8 :: v_dual_mov_b32 v1, s9
	v_dual_mov_b32 v2, s10 :: v_dual_mov_b32 v3, s11
	v_mov_b32_e32 v4, s6
	s_get_pc_i64 s[0:1]
	s_add_nc_u64 s[0:1], s[0:1], _ZN2at6native25elementwise_kernel_helperILb0EZZZNS0_12_GLOBAL__N_137scaled_modified_bessel_k0_kernel_cudaERNS_18TensorIteratorBaseEENKUlvE_clEvENKUlvE0_clEvEUlfE_NS0_6memory8policies11unroll_baseILi256ESt5arrayIPcLm2EE23TrivialOffsetCalculatorILi1EjESF_NS8_15LoadWithoutCastENS8_16StoreWithoutCastELi4ELi1EEEEEvT0_T1_@rel64+4
	s_delay_alu instid0(SALU_CYCLE_1)
	s_swap_pc_i64 s[30:31], s[0:1]
	s_endpgm
	.section	.rodata,"a",@progbits
	.p2align	6, 0x0
	.amdhsa_kernel _ZN2at6native29vectorized_elementwise_kernelILi16EZZZNS0_12_GLOBAL__N_137scaled_modified_bessel_k0_kernel_cudaERNS_18TensorIteratorBaseEENKUlvE_clEvENKUlvE0_clEvEUlfE_St5arrayIPcLm2EEEEviT0_T1_
		.amdhsa_group_segment_fixed_size 0
		.amdhsa_private_segment_fixed_size 0
		.amdhsa_kernarg_size 24
		.amdhsa_user_sgpr_count 2
		.amdhsa_user_sgpr_dispatch_ptr 0
		.amdhsa_user_sgpr_queue_ptr 0
		.amdhsa_user_sgpr_kernarg_segment_ptr 1
		.amdhsa_user_sgpr_dispatch_id 0
		.amdhsa_user_sgpr_kernarg_preload_length 0
		.amdhsa_user_sgpr_kernarg_preload_offset 0
		.amdhsa_user_sgpr_private_segment_size 0
		.amdhsa_wavefront_size32 1
		.amdhsa_uses_dynamic_stack 0
		.amdhsa_enable_private_segment 0
		.amdhsa_system_sgpr_workgroup_id_x 1
		.amdhsa_system_sgpr_workgroup_id_y 0
		.amdhsa_system_sgpr_workgroup_id_z 0
		.amdhsa_system_sgpr_workgroup_info 0
		.amdhsa_system_vgpr_workitem_id 0
		.amdhsa_next_free_vgpr 32
		.amdhsa_next_free_sgpr 33
		.amdhsa_named_barrier_count 0
		.amdhsa_reserve_vcc 1
		.amdhsa_float_round_mode_32 0
		.amdhsa_float_round_mode_16_64 0
		.amdhsa_float_denorm_mode_32 3
		.amdhsa_float_denorm_mode_16_64 3
		.amdhsa_fp16_overflow 0
		.amdhsa_memory_ordered 1
		.amdhsa_forward_progress 1
		.amdhsa_inst_pref_size 2
		.amdhsa_round_robin_scheduling 0
		.amdhsa_exception_fp_ieee_invalid_op 0
		.amdhsa_exception_fp_denorm_src 0
		.amdhsa_exception_fp_ieee_div_zero 0
		.amdhsa_exception_fp_ieee_overflow 0
		.amdhsa_exception_fp_ieee_underflow 0
		.amdhsa_exception_fp_ieee_inexact 0
		.amdhsa_exception_int_div_zero 0
	.end_amdhsa_kernel
	.section	.text._ZN2at6native29vectorized_elementwise_kernelILi16EZZZNS0_12_GLOBAL__N_137scaled_modified_bessel_k0_kernel_cudaERNS_18TensorIteratorBaseEENKUlvE_clEvENKUlvE0_clEvEUlfE_St5arrayIPcLm2EEEEviT0_T1_,"axG",@progbits,_ZN2at6native29vectorized_elementwise_kernelILi16EZZZNS0_12_GLOBAL__N_137scaled_modified_bessel_k0_kernel_cudaERNS_18TensorIteratorBaseEENKUlvE_clEvENKUlvE0_clEvEUlfE_St5arrayIPcLm2EEEEviT0_T1_,comdat
.Lfunc_end12:
	.size	_ZN2at6native29vectorized_elementwise_kernelILi16EZZZNS0_12_GLOBAL__N_137scaled_modified_bessel_k0_kernel_cudaERNS_18TensorIteratorBaseEENKUlvE_clEvENKUlvE0_clEvEUlfE_St5arrayIPcLm2EEEEviT0_T1_, .Lfunc_end12-_ZN2at6native29vectorized_elementwise_kernelILi16EZZZNS0_12_GLOBAL__N_137scaled_modified_bessel_k0_kernel_cudaERNS_18TensorIteratorBaseEENKUlvE_clEvENKUlvE0_clEvEUlfE_St5arrayIPcLm2EEEEviT0_T1_
                                        ; -- End function
	.set _ZN2at6native29vectorized_elementwise_kernelILi16EZZZNS0_12_GLOBAL__N_137scaled_modified_bessel_k0_kernel_cudaERNS_18TensorIteratorBaseEENKUlvE_clEvENKUlvE0_clEvEUlfE_St5arrayIPcLm2EEEEviT0_T1_.num_vgpr, max(32, .L_ZN2at6native25elementwise_kernel_helperILb0EZZZNS0_12_GLOBAL__N_137scaled_modified_bessel_k0_kernel_cudaERNS_18TensorIteratorBaseEENKUlvE_clEvENKUlvE0_clEvEUlfE_NS0_6memory8policies10vectorizedILi4ESt5arrayIPcLm2EELi4EEEEEvT0_T1_.num_vgpr, .L_ZN2at6native25elementwise_kernel_helperILb0EZZZNS0_12_GLOBAL__N_137scaled_modified_bessel_k0_kernel_cudaERNS_18TensorIteratorBaseEENKUlvE_clEvENKUlvE0_clEvEUlfE_NS0_6memory8policies11unroll_baseILi256ESt5arrayIPcLm2EE23TrivialOffsetCalculatorILi1EjESF_NS8_15LoadWithoutCastENS8_16StoreWithoutCastELi4ELi1EEEEEvT0_T1_.num_vgpr)
	.set _ZN2at6native29vectorized_elementwise_kernelILi16EZZZNS0_12_GLOBAL__N_137scaled_modified_bessel_k0_kernel_cudaERNS_18TensorIteratorBaseEENKUlvE_clEvENKUlvE0_clEvEUlfE_St5arrayIPcLm2EEEEviT0_T1_.num_agpr, max(0, .L_ZN2at6native25elementwise_kernel_helperILb0EZZZNS0_12_GLOBAL__N_137scaled_modified_bessel_k0_kernel_cudaERNS_18TensorIteratorBaseEENKUlvE_clEvENKUlvE0_clEvEUlfE_NS0_6memory8policies10vectorizedILi4ESt5arrayIPcLm2EELi4EEEEEvT0_T1_.num_agpr, .L_ZN2at6native25elementwise_kernel_helperILb0EZZZNS0_12_GLOBAL__N_137scaled_modified_bessel_k0_kernel_cudaERNS_18TensorIteratorBaseEENKUlvE_clEvENKUlvE0_clEvEUlfE_NS0_6memory8policies11unroll_baseILi256ESt5arrayIPcLm2EE23TrivialOffsetCalculatorILi1EjESF_NS8_15LoadWithoutCastENS8_16StoreWithoutCastELi4ELi1EEEEEvT0_T1_.num_agpr)
	.set _ZN2at6native29vectorized_elementwise_kernelILi16EZZZNS0_12_GLOBAL__N_137scaled_modified_bessel_k0_kernel_cudaERNS_18TensorIteratorBaseEENKUlvE_clEvENKUlvE0_clEvEUlfE_St5arrayIPcLm2EEEEviT0_T1_.numbered_sgpr, max(33, .L_ZN2at6native25elementwise_kernel_helperILb0EZZZNS0_12_GLOBAL__N_137scaled_modified_bessel_k0_kernel_cudaERNS_18TensorIteratorBaseEENKUlvE_clEvENKUlvE0_clEvEUlfE_NS0_6memory8policies10vectorizedILi4ESt5arrayIPcLm2EELi4EEEEEvT0_T1_.numbered_sgpr, .L_ZN2at6native25elementwise_kernel_helperILb0EZZZNS0_12_GLOBAL__N_137scaled_modified_bessel_k0_kernel_cudaERNS_18TensorIteratorBaseEENKUlvE_clEvENKUlvE0_clEvEUlfE_NS0_6memory8policies11unroll_baseILi256ESt5arrayIPcLm2EE23TrivialOffsetCalculatorILi1EjESF_NS8_15LoadWithoutCastENS8_16StoreWithoutCastELi4ELi1EEEEEvT0_T1_.numbered_sgpr)
	.set _ZN2at6native29vectorized_elementwise_kernelILi16EZZZNS0_12_GLOBAL__N_137scaled_modified_bessel_k0_kernel_cudaERNS_18TensorIteratorBaseEENKUlvE_clEvENKUlvE0_clEvEUlfE_St5arrayIPcLm2EEEEviT0_T1_.num_named_barrier, max(0, .L_ZN2at6native25elementwise_kernel_helperILb0EZZZNS0_12_GLOBAL__N_137scaled_modified_bessel_k0_kernel_cudaERNS_18TensorIteratorBaseEENKUlvE_clEvENKUlvE0_clEvEUlfE_NS0_6memory8policies10vectorizedILi4ESt5arrayIPcLm2EELi4EEEEEvT0_T1_.num_named_barrier, .L_ZN2at6native25elementwise_kernel_helperILb0EZZZNS0_12_GLOBAL__N_137scaled_modified_bessel_k0_kernel_cudaERNS_18TensorIteratorBaseEENKUlvE_clEvENKUlvE0_clEvEUlfE_NS0_6memory8policies11unroll_baseILi256ESt5arrayIPcLm2EE23TrivialOffsetCalculatorILi1EjESF_NS8_15LoadWithoutCastENS8_16StoreWithoutCastELi4ELi1EEEEEvT0_T1_.num_named_barrier)
	.set _ZN2at6native29vectorized_elementwise_kernelILi16EZZZNS0_12_GLOBAL__N_137scaled_modified_bessel_k0_kernel_cudaERNS_18TensorIteratorBaseEENKUlvE_clEvENKUlvE0_clEvEUlfE_St5arrayIPcLm2EEEEviT0_T1_.private_seg_size, 0+max(.L_ZN2at6native25elementwise_kernel_helperILb0EZZZNS0_12_GLOBAL__N_137scaled_modified_bessel_k0_kernel_cudaERNS_18TensorIteratorBaseEENKUlvE_clEvENKUlvE0_clEvEUlfE_NS0_6memory8policies10vectorizedILi4ESt5arrayIPcLm2EELi4EEEEEvT0_T1_.private_seg_size, .L_ZN2at6native25elementwise_kernel_helperILb0EZZZNS0_12_GLOBAL__N_137scaled_modified_bessel_k0_kernel_cudaERNS_18TensorIteratorBaseEENKUlvE_clEvENKUlvE0_clEvEUlfE_NS0_6memory8policies11unroll_baseILi256ESt5arrayIPcLm2EE23TrivialOffsetCalculatorILi1EjESF_NS8_15LoadWithoutCastENS8_16StoreWithoutCastELi4ELi1EEEEEvT0_T1_.private_seg_size)
	.set _ZN2at6native29vectorized_elementwise_kernelILi16EZZZNS0_12_GLOBAL__N_137scaled_modified_bessel_k0_kernel_cudaERNS_18TensorIteratorBaseEENKUlvE_clEvENKUlvE0_clEvEUlfE_St5arrayIPcLm2EEEEviT0_T1_.uses_vcc, or(1, .L_ZN2at6native25elementwise_kernel_helperILb0EZZZNS0_12_GLOBAL__N_137scaled_modified_bessel_k0_kernel_cudaERNS_18TensorIteratorBaseEENKUlvE_clEvENKUlvE0_clEvEUlfE_NS0_6memory8policies10vectorizedILi4ESt5arrayIPcLm2EELi4EEEEEvT0_T1_.uses_vcc, .L_ZN2at6native25elementwise_kernel_helperILb0EZZZNS0_12_GLOBAL__N_137scaled_modified_bessel_k0_kernel_cudaERNS_18TensorIteratorBaseEENKUlvE_clEvENKUlvE0_clEvEUlfE_NS0_6memory8policies11unroll_baseILi256ESt5arrayIPcLm2EE23TrivialOffsetCalculatorILi1EjESF_NS8_15LoadWithoutCastENS8_16StoreWithoutCastELi4ELi1EEEEEvT0_T1_.uses_vcc)
	.set _ZN2at6native29vectorized_elementwise_kernelILi16EZZZNS0_12_GLOBAL__N_137scaled_modified_bessel_k0_kernel_cudaERNS_18TensorIteratorBaseEENKUlvE_clEvENKUlvE0_clEvEUlfE_St5arrayIPcLm2EEEEviT0_T1_.uses_flat_scratch, or(0, .L_ZN2at6native25elementwise_kernel_helperILb0EZZZNS0_12_GLOBAL__N_137scaled_modified_bessel_k0_kernel_cudaERNS_18TensorIteratorBaseEENKUlvE_clEvENKUlvE0_clEvEUlfE_NS0_6memory8policies10vectorizedILi4ESt5arrayIPcLm2EELi4EEEEEvT0_T1_.uses_flat_scratch, .L_ZN2at6native25elementwise_kernel_helperILb0EZZZNS0_12_GLOBAL__N_137scaled_modified_bessel_k0_kernel_cudaERNS_18TensorIteratorBaseEENKUlvE_clEvENKUlvE0_clEvEUlfE_NS0_6memory8policies11unroll_baseILi256ESt5arrayIPcLm2EE23TrivialOffsetCalculatorILi1EjESF_NS8_15LoadWithoutCastENS8_16StoreWithoutCastELi4ELi1EEEEEvT0_T1_.uses_flat_scratch)
	.set _ZN2at6native29vectorized_elementwise_kernelILi16EZZZNS0_12_GLOBAL__N_137scaled_modified_bessel_k0_kernel_cudaERNS_18TensorIteratorBaseEENKUlvE_clEvENKUlvE0_clEvEUlfE_St5arrayIPcLm2EEEEviT0_T1_.has_dyn_sized_stack, or(0, .L_ZN2at6native25elementwise_kernel_helperILb0EZZZNS0_12_GLOBAL__N_137scaled_modified_bessel_k0_kernel_cudaERNS_18TensorIteratorBaseEENKUlvE_clEvENKUlvE0_clEvEUlfE_NS0_6memory8policies10vectorizedILi4ESt5arrayIPcLm2EELi4EEEEEvT0_T1_.has_dyn_sized_stack, .L_ZN2at6native25elementwise_kernel_helperILb0EZZZNS0_12_GLOBAL__N_137scaled_modified_bessel_k0_kernel_cudaERNS_18TensorIteratorBaseEENKUlvE_clEvENKUlvE0_clEvEUlfE_NS0_6memory8policies11unroll_baseILi256ESt5arrayIPcLm2EE23TrivialOffsetCalculatorILi1EjESF_NS8_15LoadWithoutCastENS8_16StoreWithoutCastELi4ELi1EEEEEvT0_T1_.has_dyn_sized_stack)
	.set _ZN2at6native29vectorized_elementwise_kernelILi16EZZZNS0_12_GLOBAL__N_137scaled_modified_bessel_k0_kernel_cudaERNS_18TensorIteratorBaseEENKUlvE_clEvENKUlvE0_clEvEUlfE_St5arrayIPcLm2EEEEviT0_T1_.has_recursion, or(0, .L_ZN2at6native25elementwise_kernel_helperILb0EZZZNS0_12_GLOBAL__N_137scaled_modified_bessel_k0_kernel_cudaERNS_18TensorIteratorBaseEENKUlvE_clEvENKUlvE0_clEvEUlfE_NS0_6memory8policies10vectorizedILi4ESt5arrayIPcLm2EELi4EEEEEvT0_T1_.has_recursion, .L_ZN2at6native25elementwise_kernel_helperILb0EZZZNS0_12_GLOBAL__N_137scaled_modified_bessel_k0_kernel_cudaERNS_18TensorIteratorBaseEENKUlvE_clEvENKUlvE0_clEvEUlfE_NS0_6memory8policies11unroll_baseILi256ESt5arrayIPcLm2EE23TrivialOffsetCalculatorILi1EjESF_NS8_15LoadWithoutCastENS8_16StoreWithoutCastELi4ELi1EEEEEvT0_T1_.has_recursion)
	.set _ZN2at6native29vectorized_elementwise_kernelILi16EZZZNS0_12_GLOBAL__N_137scaled_modified_bessel_k0_kernel_cudaERNS_18TensorIteratorBaseEENKUlvE_clEvENKUlvE0_clEvEUlfE_St5arrayIPcLm2EEEEviT0_T1_.has_indirect_call, or(0, .L_ZN2at6native25elementwise_kernel_helperILb0EZZZNS0_12_GLOBAL__N_137scaled_modified_bessel_k0_kernel_cudaERNS_18TensorIteratorBaseEENKUlvE_clEvENKUlvE0_clEvEUlfE_NS0_6memory8policies10vectorizedILi4ESt5arrayIPcLm2EELi4EEEEEvT0_T1_.has_indirect_call, .L_ZN2at6native25elementwise_kernel_helperILb0EZZZNS0_12_GLOBAL__N_137scaled_modified_bessel_k0_kernel_cudaERNS_18TensorIteratorBaseEENKUlvE_clEvENKUlvE0_clEvEUlfE_NS0_6memory8policies11unroll_baseILi256ESt5arrayIPcLm2EE23TrivialOffsetCalculatorILi1EjESF_NS8_15LoadWithoutCastENS8_16StoreWithoutCastELi4ELi1EEEEEvT0_T1_.has_indirect_call)
	.section	.AMDGPU.csdata,"",@progbits
; Kernel info:
; codeLenInByte = 204
; TotalNumSgprs: 35
; NumVgprs: 32
; ScratchSize: 0
; MemoryBound: 0
; FloatMode: 240
; IeeeMode: 1
; LDSByteSize: 0 bytes/workgroup (compile time only)
; SGPRBlocks: 0
; VGPRBlocks: 1
; NumSGPRsForWavesPerEU: 35
; NumVGPRsForWavesPerEU: 32
; NamedBarCnt: 0
; Occupancy: 16
; WaveLimiterHint : 0
; COMPUTE_PGM_RSRC2:SCRATCH_EN: 0
; COMPUTE_PGM_RSRC2:USER_SGPR: 2
; COMPUTE_PGM_RSRC2:TRAP_HANDLER: 0
; COMPUTE_PGM_RSRC2:TGID_X_EN: 1
; COMPUTE_PGM_RSRC2:TGID_Y_EN: 0
; COMPUTE_PGM_RSRC2:TGID_Z_EN: 0
; COMPUTE_PGM_RSRC2:TIDIG_COMP_CNT: 0
	.section	.text._ZN2at6native29vectorized_elementwise_kernelILi8EZZZNS0_12_GLOBAL__N_137scaled_modified_bessel_k0_kernel_cudaERNS_18TensorIteratorBaseEENKUlvE_clEvENKUlvE0_clEvEUlfE_St5arrayIPcLm2EEEEviT0_T1_,"axG",@progbits,_ZN2at6native29vectorized_elementwise_kernelILi8EZZZNS0_12_GLOBAL__N_137scaled_modified_bessel_k0_kernel_cudaERNS_18TensorIteratorBaseEENKUlvE_clEvENKUlvE0_clEvEUlfE_St5arrayIPcLm2EEEEviT0_T1_,comdat
	.globl	_ZN2at6native29vectorized_elementwise_kernelILi8EZZZNS0_12_GLOBAL__N_137scaled_modified_bessel_k0_kernel_cudaERNS_18TensorIteratorBaseEENKUlvE_clEvENKUlvE0_clEvEUlfE_St5arrayIPcLm2EEEEviT0_T1_ ; -- Begin function _ZN2at6native29vectorized_elementwise_kernelILi8EZZZNS0_12_GLOBAL__N_137scaled_modified_bessel_k0_kernel_cudaERNS_18TensorIteratorBaseEENKUlvE_clEvENKUlvE0_clEvEUlfE_St5arrayIPcLm2EEEEviT0_T1_
	.p2align	8
	.type	_ZN2at6native29vectorized_elementwise_kernelILi8EZZZNS0_12_GLOBAL__N_137scaled_modified_bessel_k0_kernel_cudaERNS_18TensorIteratorBaseEENKUlvE_clEvENKUlvE0_clEvEUlfE_St5arrayIPcLm2EEEEviT0_T1_,@function
_ZN2at6native29vectorized_elementwise_kernelILi8EZZZNS0_12_GLOBAL__N_137scaled_modified_bessel_k0_kernel_cudaERNS_18TensorIteratorBaseEENKUlvE_clEvENKUlvE0_clEvEUlfE_St5arrayIPcLm2EEEEviT0_T1_: ; @_ZN2at6native29vectorized_elementwise_kernelILi8EZZZNS0_12_GLOBAL__N_137scaled_modified_bessel_k0_kernel_cudaERNS_18TensorIteratorBaseEENKUlvE_clEvENKUlvE0_clEvEUlfE_St5arrayIPcLm2EEEEviT0_T1_
; %bb.0:
	s_clause 0x1
	s_load_b32 s2, s[0:1], 0x0
	s_load_b128 s[8:11], s[0:1], 0x8
	s_wait_xcnt 0x0
	s_bfe_u32 s0, ttmp6, 0x4000c
	s_and_b32 s1, ttmp6, 15
	s_add_co_i32 s0, s0, 1
	s_getreg_b32 s3, hwreg(HW_REG_IB_STS2, 6, 4)
	s_mul_i32 s0, ttmp9, s0
	v_mov_b32_e32 v31, v0
	s_add_co_i32 s1, s1, s0
	s_cmp_eq_u32 s3, 0
	s_mov_b32 s32, 0
	s_cselect_b32 s0, ttmp9, s1
	s_delay_alu instid0(SALU_CYCLE_1)
	s_lshl_b32 s0, s0, 10
	s_wait_kmcnt 0x0
	s_sub_co_i32 s6, s2, s0
	s_mov_b32 s0, -1
	s_cmp_gt_i32 s6, 0x3ff
	s_cbranch_scc1 .LBB13_3
; %bb.1:
	s_and_not1_b32 vcc_lo, exec_lo, s0
	s_cbranch_vccz .LBB13_4
.LBB13_2:
	s_endpgm
.LBB13_3:
	v_dual_mov_b32 v0, s8 :: v_dual_mov_b32 v1, s9
	v_dual_mov_b32 v2, s10 :: v_dual_mov_b32 v3, s11
	s_get_pc_i64 s[0:1]
	s_add_nc_u64 s[0:1], s[0:1], _ZN2at6native25elementwise_kernel_helperILb0EZZZNS0_12_GLOBAL__N_137scaled_modified_bessel_k0_kernel_cudaERNS_18TensorIteratorBaseEENKUlvE_clEvENKUlvE0_clEvEUlfE_NS0_6memory8policies10vectorizedILi4ESt5arrayIPcLm2EELi4EEEEEvT0_T1_@rel64+4
	s_delay_alu instid0(SALU_CYCLE_1)
	s_swap_pc_i64 s[30:31], s[0:1]
	s_cbranch_execnz .LBB13_2
.LBB13_4:
	v_dual_mov_b32 v0, s8 :: v_dual_mov_b32 v1, s9
	v_dual_mov_b32 v2, s10 :: v_dual_mov_b32 v3, s11
	v_mov_b32_e32 v4, s6
	s_get_pc_i64 s[0:1]
	s_add_nc_u64 s[0:1], s[0:1], _ZN2at6native25elementwise_kernel_helperILb0EZZZNS0_12_GLOBAL__N_137scaled_modified_bessel_k0_kernel_cudaERNS_18TensorIteratorBaseEENKUlvE_clEvENKUlvE0_clEvEUlfE_NS0_6memory8policies11unroll_baseILi256ESt5arrayIPcLm2EE23TrivialOffsetCalculatorILi1EjESF_NS8_15LoadWithoutCastENS8_16StoreWithoutCastELi4ELi1EEEEEvT0_T1_@rel64+4
	s_delay_alu instid0(SALU_CYCLE_1)
	s_swap_pc_i64 s[30:31], s[0:1]
	s_endpgm
	.section	.rodata,"a",@progbits
	.p2align	6, 0x0
	.amdhsa_kernel _ZN2at6native29vectorized_elementwise_kernelILi8EZZZNS0_12_GLOBAL__N_137scaled_modified_bessel_k0_kernel_cudaERNS_18TensorIteratorBaseEENKUlvE_clEvENKUlvE0_clEvEUlfE_St5arrayIPcLm2EEEEviT0_T1_
		.amdhsa_group_segment_fixed_size 0
		.amdhsa_private_segment_fixed_size 0
		.amdhsa_kernarg_size 24
		.amdhsa_user_sgpr_count 2
		.amdhsa_user_sgpr_dispatch_ptr 0
		.amdhsa_user_sgpr_queue_ptr 0
		.amdhsa_user_sgpr_kernarg_segment_ptr 1
		.amdhsa_user_sgpr_dispatch_id 0
		.amdhsa_user_sgpr_kernarg_preload_length 0
		.amdhsa_user_sgpr_kernarg_preload_offset 0
		.amdhsa_user_sgpr_private_segment_size 0
		.amdhsa_wavefront_size32 1
		.amdhsa_uses_dynamic_stack 0
		.amdhsa_enable_private_segment 0
		.amdhsa_system_sgpr_workgroup_id_x 1
		.amdhsa_system_sgpr_workgroup_id_y 0
		.amdhsa_system_sgpr_workgroup_id_z 0
		.amdhsa_system_sgpr_workgroup_info 0
		.amdhsa_system_vgpr_workitem_id 0
		.amdhsa_next_free_vgpr 32
		.amdhsa_next_free_sgpr 33
		.amdhsa_named_barrier_count 0
		.amdhsa_reserve_vcc 1
		.amdhsa_float_round_mode_32 0
		.amdhsa_float_round_mode_16_64 0
		.amdhsa_float_denorm_mode_32 3
		.amdhsa_float_denorm_mode_16_64 3
		.amdhsa_fp16_overflow 0
		.amdhsa_memory_ordered 1
		.amdhsa_forward_progress 1
		.amdhsa_inst_pref_size 2
		.amdhsa_round_robin_scheduling 0
		.amdhsa_exception_fp_ieee_invalid_op 0
		.amdhsa_exception_fp_denorm_src 0
		.amdhsa_exception_fp_ieee_div_zero 0
		.amdhsa_exception_fp_ieee_overflow 0
		.amdhsa_exception_fp_ieee_underflow 0
		.amdhsa_exception_fp_ieee_inexact 0
		.amdhsa_exception_int_div_zero 0
	.end_amdhsa_kernel
	.section	.text._ZN2at6native29vectorized_elementwise_kernelILi8EZZZNS0_12_GLOBAL__N_137scaled_modified_bessel_k0_kernel_cudaERNS_18TensorIteratorBaseEENKUlvE_clEvENKUlvE0_clEvEUlfE_St5arrayIPcLm2EEEEviT0_T1_,"axG",@progbits,_ZN2at6native29vectorized_elementwise_kernelILi8EZZZNS0_12_GLOBAL__N_137scaled_modified_bessel_k0_kernel_cudaERNS_18TensorIteratorBaseEENKUlvE_clEvENKUlvE0_clEvEUlfE_St5arrayIPcLm2EEEEviT0_T1_,comdat
.Lfunc_end13:
	.size	_ZN2at6native29vectorized_elementwise_kernelILi8EZZZNS0_12_GLOBAL__N_137scaled_modified_bessel_k0_kernel_cudaERNS_18TensorIteratorBaseEENKUlvE_clEvENKUlvE0_clEvEUlfE_St5arrayIPcLm2EEEEviT0_T1_, .Lfunc_end13-_ZN2at6native29vectorized_elementwise_kernelILi8EZZZNS0_12_GLOBAL__N_137scaled_modified_bessel_k0_kernel_cudaERNS_18TensorIteratorBaseEENKUlvE_clEvENKUlvE0_clEvEUlfE_St5arrayIPcLm2EEEEviT0_T1_
                                        ; -- End function
	.set _ZN2at6native29vectorized_elementwise_kernelILi8EZZZNS0_12_GLOBAL__N_137scaled_modified_bessel_k0_kernel_cudaERNS_18TensorIteratorBaseEENKUlvE_clEvENKUlvE0_clEvEUlfE_St5arrayIPcLm2EEEEviT0_T1_.num_vgpr, max(32, .L_ZN2at6native25elementwise_kernel_helperILb0EZZZNS0_12_GLOBAL__N_137scaled_modified_bessel_k0_kernel_cudaERNS_18TensorIteratorBaseEENKUlvE_clEvENKUlvE0_clEvEUlfE_NS0_6memory8policies10vectorizedILi4ESt5arrayIPcLm2EELi4EEEEEvT0_T1_.num_vgpr, .L_ZN2at6native25elementwise_kernel_helperILb0EZZZNS0_12_GLOBAL__N_137scaled_modified_bessel_k0_kernel_cudaERNS_18TensorIteratorBaseEENKUlvE_clEvENKUlvE0_clEvEUlfE_NS0_6memory8policies11unroll_baseILi256ESt5arrayIPcLm2EE23TrivialOffsetCalculatorILi1EjESF_NS8_15LoadWithoutCastENS8_16StoreWithoutCastELi4ELi1EEEEEvT0_T1_.num_vgpr)
	.set _ZN2at6native29vectorized_elementwise_kernelILi8EZZZNS0_12_GLOBAL__N_137scaled_modified_bessel_k0_kernel_cudaERNS_18TensorIteratorBaseEENKUlvE_clEvENKUlvE0_clEvEUlfE_St5arrayIPcLm2EEEEviT0_T1_.num_agpr, max(0, .L_ZN2at6native25elementwise_kernel_helperILb0EZZZNS0_12_GLOBAL__N_137scaled_modified_bessel_k0_kernel_cudaERNS_18TensorIteratorBaseEENKUlvE_clEvENKUlvE0_clEvEUlfE_NS0_6memory8policies10vectorizedILi4ESt5arrayIPcLm2EELi4EEEEEvT0_T1_.num_agpr, .L_ZN2at6native25elementwise_kernel_helperILb0EZZZNS0_12_GLOBAL__N_137scaled_modified_bessel_k0_kernel_cudaERNS_18TensorIteratorBaseEENKUlvE_clEvENKUlvE0_clEvEUlfE_NS0_6memory8policies11unroll_baseILi256ESt5arrayIPcLm2EE23TrivialOffsetCalculatorILi1EjESF_NS8_15LoadWithoutCastENS8_16StoreWithoutCastELi4ELi1EEEEEvT0_T1_.num_agpr)
	.set _ZN2at6native29vectorized_elementwise_kernelILi8EZZZNS0_12_GLOBAL__N_137scaled_modified_bessel_k0_kernel_cudaERNS_18TensorIteratorBaseEENKUlvE_clEvENKUlvE0_clEvEUlfE_St5arrayIPcLm2EEEEviT0_T1_.numbered_sgpr, max(33, .L_ZN2at6native25elementwise_kernel_helperILb0EZZZNS0_12_GLOBAL__N_137scaled_modified_bessel_k0_kernel_cudaERNS_18TensorIteratorBaseEENKUlvE_clEvENKUlvE0_clEvEUlfE_NS0_6memory8policies10vectorizedILi4ESt5arrayIPcLm2EELi4EEEEEvT0_T1_.numbered_sgpr, .L_ZN2at6native25elementwise_kernel_helperILb0EZZZNS0_12_GLOBAL__N_137scaled_modified_bessel_k0_kernel_cudaERNS_18TensorIteratorBaseEENKUlvE_clEvENKUlvE0_clEvEUlfE_NS0_6memory8policies11unroll_baseILi256ESt5arrayIPcLm2EE23TrivialOffsetCalculatorILi1EjESF_NS8_15LoadWithoutCastENS8_16StoreWithoutCastELi4ELi1EEEEEvT0_T1_.numbered_sgpr)
	.set _ZN2at6native29vectorized_elementwise_kernelILi8EZZZNS0_12_GLOBAL__N_137scaled_modified_bessel_k0_kernel_cudaERNS_18TensorIteratorBaseEENKUlvE_clEvENKUlvE0_clEvEUlfE_St5arrayIPcLm2EEEEviT0_T1_.num_named_barrier, max(0, .L_ZN2at6native25elementwise_kernel_helperILb0EZZZNS0_12_GLOBAL__N_137scaled_modified_bessel_k0_kernel_cudaERNS_18TensorIteratorBaseEENKUlvE_clEvENKUlvE0_clEvEUlfE_NS0_6memory8policies10vectorizedILi4ESt5arrayIPcLm2EELi4EEEEEvT0_T1_.num_named_barrier, .L_ZN2at6native25elementwise_kernel_helperILb0EZZZNS0_12_GLOBAL__N_137scaled_modified_bessel_k0_kernel_cudaERNS_18TensorIteratorBaseEENKUlvE_clEvENKUlvE0_clEvEUlfE_NS0_6memory8policies11unroll_baseILi256ESt5arrayIPcLm2EE23TrivialOffsetCalculatorILi1EjESF_NS8_15LoadWithoutCastENS8_16StoreWithoutCastELi4ELi1EEEEEvT0_T1_.num_named_barrier)
	.set _ZN2at6native29vectorized_elementwise_kernelILi8EZZZNS0_12_GLOBAL__N_137scaled_modified_bessel_k0_kernel_cudaERNS_18TensorIteratorBaseEENKUlvE_clEvENKUlvE0_clEvEUlfE_St5arrayIPcLm2EEEEviT0_T1_.private_seg_size, 0+max(.L_ZN2at6native25elementwise_kernel_helperILb0EZZZNS0_12_GLOBAL__N_137scaled_modified_bessel_k0_kernel_cudaERNS_18TensorIteratorBaseEENKUlvE_clEvENKUlvE0_clEvEUlfE_NS0_6memory8policies10vectorizedILi4ESt5arrayIPcLm2EELi4EEEEEvT0_T1_.private_seg_size, .L_ZN2at6native25elementwise_kernel_helperILb0EZZZNS0_12_GLOBAL__N_137scaled_modified_bessel_k0_kernel_cudaERNS_18TensorIteratorBaseEENKUlvE_clEvENKUlvE0_clEvEUlfE_NS0_6memory8policies11unroll_baseILi256ESt5arrayIPcLm2EE23TrivialOffsetCalculatorILi1EjESF_NS8_15LoadWithoutCastENS8_16StoreWithoutCastELi4ELi1EEEEEvT0_T1_.private_seg_size)
	.set _ZN2at6native29vectorized_elementwise_kernelILi8EZZZNS0_12_GLOBAL__N_137scaled_modified_bessel_k0_kernel_cudaERNS_18TensorIteratorBaseEENKUlvE_clEvENKUlvE0_clEvEUlfE_St5arrayIPcLm2EEEEviT0_T1_.uses_vcc, or(1, .L_ZN2at6native25elementwise_kernel_helperILb0EZZZNS0_12_GLOBAL__N_137scaled_modified_bessel_k0_kernel_cudaERNS_18TensorIteratorBaseEENKUlvE_clEvENKUlvE0_clEvEUlfE_NS0_6memory8policies10vectorizedILi4ESt5arrayIPcLm2EELi4EEEEEvT0_T1_.uses_vcc, .L_ZN2at6native25elementwise_kernel_helperILb0EZZZNS0_12_GLOBAL__N_137scaled_modified_bessel_k0_kernel_cudaERNS_18TensorIteratorBaseEENKUlvE_clEvENKUlvE0_clEvEUlfE_NS0_6memory8policies11unroll_baseILi256ESt5arrayIPcLm2EE23TrivialOffsetCalculatorILi1EjESF_NS8_15LoadWithoutCastENS8_16StoreWithoutCastELi4ELi1EEEEEvT0_T1_.uses_vcc)
	.set _ZN2at6native29vectorized_elementwise_kernelILi8EZZZNS0_12_GLOBAL__N_137scaled_modified_bessel_k0_kernel_cudaERNS_18TensorIteratorBaseEENKUlvE_clEvENKUlvE0_clEvEUlfE_St5arrayIPcLm2EEEEviT0_T1_.uses_flat_scratch, or(0, .L_ZN2at6native25elementwise_kernel_helperILb0EZZZNS0_12_GLOBAL__N_137scaled_modified_bessel_k0_kernel_cudaERNS_18TensorIteratorBaseEENKUlvE_clEvENKUlvE0_clEvEUlfE_NS0_6memory8policies10vectorizedILi4ESt5arrayIPcLm2EELi4EEEEEvT0_T1_.uses_flat_scratch, .L_ZN2at6native25elementwise_kernel_helperILb0EZZZNS0_12_GLOBAL__N_137scaled_modified_bessel_k0_kernel_cudaERNS_18TensorIteratorBaseEENKUlvE_clEvENKUlvE0_clEvEUlfE_NS0_6memory8policies11unroll_baseILi256ESt5arrayIPcLm2EE23TrivialOffsetCalculatorILi1EjESF_NS8_15LoadWithoutCastENS8_16StoreWithoutCastELi4ELi1EEEEEvT0_T1_.uses_flat_scratch)
	.set _ZN2at6native29vectorized_elementwise_kernelILi8EZZZNS0_12_GLOBAL__N_137scaled_modified_bessel_k0_kernel_cudaERNS_18TensorIteratorBaseEENKUlvE_clEvENKUlvE0_clEvEUlfE_St5arrayIPcLm2EEEEviT0_T1_.has_dyn_sized_stack, or(0, .L_ZN2at6native25elementwise_kernel_helperILb0EZZZNS0_12_GLOBAL__N_137scaled_modified_bessel_k0_kernel_cudaERNS_18TensorIteratorBaseEENKUlvE_clEvENKUlvE0_clEvEUlfE_NS0_6memory8policies10vectorizedILi4ESt5arrayIPcLm2EELi4EEEEEvT0_T1_.has_dyn_sized_stack, .L_ZN2at6native25elementwise_kernel_helperILb0EZZZNS0_12_GLOBAL__N_137scaled_modified_bessel_k0_kernel_cudaERNS_18TensorIteratorBaseEENKUlvE_clEvENKUlvE0_clEvEUlfE_NS0_6memory8policies11unroll_baseILi256ESt5arrayIPcLm2EE23TrivialOffsetCalculatorILi1EjESF_NS8_15LoadWithoutCastENS8_16StoreWithoutCastELi4ELi1EEEEEvT0_T1_.has_dyn_sized_stack)
	.set _ZN2at6native29vectorized_elementwise_kernelILi8EZZZNS0_12_GLOBAL__N_137scaled_modified_bessel_k0_kernel_cudaERNS_18TensorIteratorBaseEENKUlvE_clEvENKUlvE0_clEvEUlfE_St5arrayIPcLm2EEEEviT0_T1_.has_recursion, or(0, .L_ZN2at6native25elementwise_kernel_helperILb0EZZZNS0_12_GLOBAL__N_137scaled_modified_bessel_k0_kernel_cudaERNS_18TensorIteratorBaseEENKUlvE_clEvENKUlvE0_clEvEUlfE_NS0_6memory8policies10vectorizedILi4ESt5arrayIPcLm2EELi4EEEEEvT0_T1_.has_recursion, .L_ZN2at6native25elementwise_kernel_helperILb0EZZZNS0_12_GLOBAL__N_137scaled_modified_bessel_k0_kernel_cudaERNS_18TensorIteratorBaseEENKUlvE_clEvENKUlvE0_clEvEUlfE_NS0_6memory8policies11unroll_baseILi256ESt5arrayIPcLm2EE23TrivialOffsetCalculatorILi1EjESF_NS8_15LoadWithoutCastENS8_16StoreWithoutCastELi4ELi1EEEEEvT0_T1_.has_recursion)
	.set _ZN2at6native29vectorized_elementwise_kernelILi8EZZZNS0_12_GLOBAL__N_137scaled_modified_bessel_k0_kernel_cudaERNS_18TensorIteratorBaseEENKUlvE_clEvENKUlvE0_clEvEUlfE_St5arrayIPcLm2EEEEviT0_T1_.has_indirect_call, or(0, .L_ZN2at6native25elementwise_kernel_helperILb0EZZZNS0_12_GLOBAL__N_137scaled_modified_bessel_k0_kernel_cudaERNS_18TensorIteratorBaseEENKUlvE_clEvENKUlvE0_clEvEUlfE_NS0_6memory8policies10vectorizedILi4ESt5arrayIPcLm2EELi4EEEEEvT0_T1_.has_indirect_call, .L_ZN2at6native25elementwise_kernel_helperILb0EZZZNS0_12_GLOBAL__N_137scaled_modified_bessel_k0_kernel_cudaERNS_18TensorIteratorBaseEENKUlvE_clEvENKUlvE0_clEvEUlfE_NS0_6memory8policies11unroll_baseILi256ESt5arrayIPcLm2EE23TrivialOffsetCalculatorILi1EjESF_NS8_15LoadWithoutCastENS8_16StoreWithoutCastELi4ELi1EEEEEvT0_T1_.has_indirect_call)
	.section	.AMDGPU.csdata,"",@progbits
; Kernel info:
; codeLenInByte = 204
; TotalNumSgprs: 35
; NumVgprs: 32
; ScratchSize: 0
; MemoryBound: 0
; FloatMode: 240
; IeeeMode: 1
; LDSByteSize: 0 bytes/workgroup (compile time only)
; SGPRBlocks: 0
; VGPRBlocks: 1
; NumSGPRsForWavesPerEU: 35
; NumVGPRsForWavesPerEU: 32
; NamedBarCnt: 0
; Occupancy: 16
; WaveLimiterHint : 0
; COMPUTE_PGM_RSRC2:SCRATCH_EN: 0
; COMPUTE_PGM_RSRC2:USER_SGPR: 2
; COMPUTE_PGM_RSRC2:TRAP_HANDLER: 0
; COMPUTE_PGM_RSRC2:TGID_X_EN: 1
; COMPUTE_PGM_RSRC2:TGID_Y_EN: 0
; COMPUTE_PGM_RSRC2:TGID_Z_EN: 0
; COMPUTE_PGM_RSRC2:TIDIG_COMP_CNT: 0
	.section	.text._ZN2at6native29vectorized_elementwise_kernelILi4EZZZNS0_12_GLOBAL__N_137scaled_modified_bessel_k0_kernel_cudaERNS_18TensorIteratorBaseEENKUlvE_clEvENKUlvE0_clEvEUlfE_St5arrayIPcLm2EEEEviT0_T1_,"axG",@progbits,_ZN2at6native29vectorized_elementwise_kernelILi4EZZZNS0_12_GLOBAL__N_137scaled_modified_bessel_k0_kernel_cudaERNS_18TensorIteratorBaseEENKUlvE_clEvENKUlvE0_clEvEUlfE_St5arrayIPcLm2EEEEviT0_T1_,comdat
	.globl	_ZN2at6native29vectorized_elementwise_kernelILi4EZZZNS0_12_GLOBAL__N_137scaled_modified_bessel_k0_kernel_cudaERNS_18TensorIteratorBaseEENKUlvE_clEvENKUlvE0_clEvEUlfE_St5arrayIPcLm2EEEEviT0_T1_ ; -- Begin function _ZN2at6native29vectorized_elementwise_kernelILi4EZZZNS0_12_GLOBAL__N_137scaled_modified_bessel_k0_kernel_cudaERNS_18TensorIteratorBaseEENKUlvE_clEvENKUlvE0_clEvEUlfE_St5arrayIPcLm2EEEEviT0_T1_
	.p2align	8
	.type	_ZN2at6native29vectorized_elementwise_kernelILi4EZZZNS0_12_GLOBAL__N_137scaled_modified_bessel_k0_kernel_cudaERNS_18TensorIteratorBaseEENKUlvE_clEvENKUlvE0_clEvEUlfE_St5arrayIPcLm2EEEEviT0_T1_,@function
_ZN2at6native29vectorized_elementwise_kernelILi4EZZZNS0_12_GLOBAL__N_137scaled_modified_bessel_k0_kernel_cudaERNS_18TensorIteratorBaseEENKUlvE_clEvENKUlvE0_clEvEUlfE_St5arrayIPcLm2EEEEviT0_T1_: ; @_ZN2at6native29vectorized_elementwise_kernelILi4EZZZNS0_12_GLOBAL__N_137scaled_modified_bessel_k0_kernel_cudaERNS_18TensorIteratorBaseEENKUlvE_clEvENKUlvE0_clEvEUlfE_St5arrayIPcLm2EEEEviT0_T1_
; %bb.0:
	s_clause 0x1
	s_load_b32 s2, s[0:1], 0x0
	s_load_b128 s[8:11], s[0:1], 0x8
	s_wait_xcnt 0x0
	s_bfe_u32 s0, ttmp6, 0x4000c
	s_and_b32 s1, ttmp6, 15
	s_add_co_i32 s0, s0, 1
	s_getreg_b32 s3, hwreg(HW_REG_IB_STS2, 6, 4)
	s_mul_i32 s0, ttmp9, s0
	v_mov_b32_e32 v31, v0
	s_add_co_i32 s1, s1, s0
	s_cmp_eq_u32 s3, 0
	s_mov_b32 s32, 0
	s_cselect_b32 s0, ttmp9, s1
	s_delay_alu instid0(SALU_CYCLE_1)
	s_lshl_b32 s0, s0, 10
	s_wait_kmcnt 0x0
	s_sub_co_i32 s6, s2, s0
	s_mov_b32 s0, -1
	s_cmp_gt_i32 s6, 0x3ff
	s_cbranch_scc1 .LBB14_3
; %bb.1:
	s_and_not1_b32 vcc_lo, exec_lo, s0
	s_cbranch_vccz .LBB14_4
.LBB14_2:
	s_endpgm
.LBB14_3:
	v_dual_mov_b32 v0, s8 :: v_dual_mov_b32 v1, s9
	v_dual_mov_b32 v2, s10 :: v_dual_mov_b32 v3, s11
	s_get_pc_i64 s[0:1]
	s_add_nc_u64 s[0:1], s[0:1], _ZN2at6native25elementwise_kernel_helperILb0EZZZNS0_12_GLOBAL__N_137scaled_modified_bessel_k0_kernel_cudaERNS_18TensorIteratorBaseEENKUlvE_clEvENKUlvE0_clEvEUlfE_NS0_6memory8policies10vectorizedILi4ESt5arrayIPcLm2EELi4EEEEEvT0_T1_@rel64+4
	s_delay_alu instid0(SALU_CYCLE_1)
	s_swap_pc_i64 s[30:31], s[0:1]
	s_cbranch_execnz .LBB14_2
.LBB14_4:
	v_dual_mov_b32 v0, s8 :: v_dual_mov_b32 v1, s9
	v_dual_mov_b32 v2, s10 :: v_dual_mov_b32 v3, s11
	v_mov_b32_e32 v4, s6
	s_get_pc_i64 s[0:1]
	s_add_nc_u64 s[0:1], s[0:1], _ZN2at6native25elementwise_kernel_helperILb0EZZZNS0_12_GLOBAL__N_137scaled_modified_bessel_k0_kernel_cudaERNS_18TensorIteratorBaseEENKUlvE_clEvENKUlvE0_clEvEUlfE_NS0_6memory8policies11unroll_baseILi256ESt5arrayIPcLm2EE23TrivialOffsetCalculatorILi1EjESF_NS8_15LoadWithoutCastENS8_16StoreWithoutCastELi4ELi1EEEEEvT0_T1_@rel64+4
	s_delay_alu instid0(SALU_CYCLE_1)
	s_swap_pc_i64 s[30:31], s[0:1]
	s_endpgm
	.section	.rodata,"a",@progbits
	.p2align	6, 0x0
	.amdhsa_kernel _ZN2at6native29vectorized_elementwise_kernelILi4EZZZNS0_12_GLOBAL__N_137scaled_modified_bessel_k0_kernel_cudaERNS_18TensorIteratorBaseEENKUlvE_clEvENKUlvE0_clEvEUlfE_St5arrayIPcLm2EEEEviT0_T1_
		.amdhsa_group_segment_fixed_size 0
		.amdhsa_private_segment_fixed_size 0
		.amdhsa_kernarg_size 24
		.amdhsa_user_sgpr_count 2
		.amdhsa_user_sgpr_dispatch_ptr 0
		.amdhsa_user_sgpr_queue_ptr 0
		.amdhsa_user_sgpr_kernarg_segment_ptr 1
		.amdhsa_user_sgpr_dispatch_id 0
		.amdhsa_user_sgpr_kernarg_preload_length 0
		.amdhsa_user_sgpr_kernarg_preload_offset 0
		.amdhsa_user_sgpr_private_segment_size 0
		.amdhsa_wavefront_size32 1
		.amdhsa_uses_dynamic_stack 0
		.amdhsa_enable_private_segment 0
		.amdhsa_system_sgpr_workgroup_id_x 1
		.amdhsa_system_sgpr_workgroup_id_y 0
		.amdhsa_system_sgpr_workgroup_id_z 0
		.amdhsa_system_sgpr_workgroup_info 0
		.amdhsa_system_vgpr_workitem_id 0
		.amdhsa_next_free_vgpr 32
		.amdhsa_next_free_sgpr 33
		.amdhsa_named_barrier_count 0
		.amdhsa_reserve_vcc 1
		.amdhsa_float_round_mode_32 0
		.amdhsa_float_round_mode_16_64 0
		.amdhsa_float_denorm_mode_32 3
		.amdhsa_float_denorm_mode_16_64 3
		.amdhsa_fp16_overflow 0
		.amdhsa_memory_ordered 1
		.amdhsa_forward_progress 1
		.amdhsa_inst_pref_size 2
		.amdhsa_round_robin_scheduling 0
		.amdhsa_exception_fp_ieee_invalid_op 0
		.amdhsa_exception_fp_denorm_src 0
		.amdhsa_exception_fp_ieee_div_zero 0
		.amdhsa_exception_fp_ieee_overflow 0
		.amdhsa_exception_fp_ieee_underflow 0
		.amdhsa_exception_fp_ieee_inexact 0
		.amdhsa_exception_int_div_zero 0
	.end_amdhsa_kernel
	.section	.text._ZN2at6native29vectorized_elementwise_kernelILi4EZZZNS0_12_GLOBAL__N_137scaled_modified_bessel_k0_kernel_cudaERNS_18TensorIteratorBaseEENKUlvE_clEvENKUlvE0_clEvEUlfE_St5arrayIPcLm2EEEEviT0_T1_,"axG",@progbits,_ZN2at6native29vectorized_elementwise_kernelILi4EZZZNS0_12_GLOBAL__N_137scaled_modified_bessel_k0_kernel_cudaERNS_18TensorIteratorBaseEENKUlvE_clEvENKUlvE0_clEvEUlfE_St5arrayIPcLm2EEEEviT0_T1_,comdat
.Lfunc_end14:
	.size	_ZN2at6native29vectorized_elementwise_kernelILi4EZZZNS0_12_GLOBAL__N_137scaled_modified_bessel_k0_kernel_cudaERNS_18TensorIteratorBaseEENKUlvE_clEvENKUlvE0_clEvEUlfE_St5arrayIPcLm2EEEEviT0_T1_, .Lfunc_end14-_ZN2at6native29vectorized_elementwise_kernelILi4EZZZNS0_12_GLOBAL__N_137scaled_modified_bessel_k0_kernel_cudaERNS_18TensorIteratorBaseEENKUlvE_clEvENKUlvE0_clEvEUlfE_St5arrayIPcLm2EEEEviT0_T1_
                                        ; -- End function
	.set _ZN2at6native29vectorized_elementwise_kernelILi4EZZZNS0_12_GLOBAL__N_137scaled_modified_bessel_k0_kernel_cudaERNS_18TensorIteratorBaseEENKUlvE_clEvENKUlvE0_clEvEUlfE_St5arrayIPcLm2EEEEviT0_T1_.num_vgpr, max(32, .L_ZN2at6native25elementwise_kernel_helperILb0EZZZNS0_12_GLOBAL__N_137scaled_modified_bessel_k0_kernel_cudaERNS_18TensorIteratorBaseEENKUlvE_clEvENKUlvE0_clEvEUlfE_NS0_6memory8policies10vectorizedILi4ESt5arrayIPcLm2EELi4EEEEEvT0_T1_.num_vgpr, .L_ZN2at6native25elementwise_kernel_helperILb0EZZZNS0_12_GLOBAL__N_137scaled_modified_bessel_k0_kernel_cudaERNS_18TensorIteratorBaseEENKUlvE_clEvENKUlvE0_clEvEUlfE_NS0_6memory8policies11unroll_baseILi256ESt5arrayIPcLm2EE23TrivialOffsetCalculatorILi1EjESF_NS8_15LoadWithoutCastENS8_16StoreWithoutCastELi4ELi1EEEEEvT0_T1_.num_vgpr)
	.set _ZN2at6native29vectorized_elementwise_kernelILi4EZZZNS0_12_GLOBAL__N_137scaled_modified_bessel_k0_kernel_cudaERNS_18TensorIteratorBaseEENKUlvE_clEvENKUlvE0_clEvEUlfE_St5arrayIPcLm2EEEEviT0_T1_.num_agpr, max(0, .L_ZN2at6native25elementwise_kernel_helperILb0EZZZNS0_12_GLOBAL__N_137scaled_modified_bessel_k0_kernel_cudaERNS_18TensorIteratorBaseEENKUlvE_clEvENKUlvE0_clEvEUlfE_NS0_6memory8policies10vectorizedILi4ESt5arrayIPcLm2EELi4EEEEEvT0_T1_.num_agpr, .L_ZN2at6native25elementwise_kernel_helperILb0EZZZNS0_12_GLOBAL__N_137scaled_modified_bessel_k0_kernel_cudaERNS_18TensorIteratorBaseEENKUlvE_clEvENKUlvE0_clEvEUlfE_NS0_6memory8policies11unroll_baseILi256ESt5arrayIPcLm2EE23TrivialOffsetCalculatorILi1EjESF_NS8_15LoadWithoutCastENS8_16StoreWithoutCastELi4ELi1EEEEEvT0_T1_.num_agpr)
	.set _ZN2at6native29vectorized_elementwise_kernelILi4EZZZNS0_12_GLOBAL__N_137scaled_modified_bessel_k0_kernel_cudaERNS_18TensorIteratorBaseEENKUlvE_clEvENKUlvE0_clEvEUlfE_St5arrayIPcLm2EEEEviT0_T1_.numbered_sgpr, max(33, .L_ZN2at6native25elementwise_kernel_helperILb0EZZZNS0_12_GLOBAL__N_137scaled_modified_bessel_k0_kernel_cudaERNS_18TensorIteratorBaseEENKUlvE_clEvENKUlvE0_clEvEUlfE_NS0_6memory8policies10vectorizedILi4ESt5arrayIPcLm2EELi4EEEEEvT0_T1_.numbered_sgpr, .L_ZN2at6native25elementwise_kernel_helperILb0EZZZNS0_12_GLOBAL__N_137scaled_modified_bessel_k0_kernel_cudaERNS_18TensorIteratorBaseEENKUlvE_clEvENKUlvE0_clEvEUlfE_NS0_6memory8policies11unroll_baseILi256ESt5arrayIPcLm2EE23TrivialOffsetCalculatorILi1EjESF_NS8_15LoadWithoutCastENS8_16StoreWithoutCastELi4ELi1EEEEEvT0_T1_.numbered_sgpr)
	.set _ZN2at6native29vectorized_elementwise_kernelILi4EZZZNS0_12_GLOBAL__N_137scaled_modified_bessel_k0_kernel_cudaERNS_18TensorIteratorBaseEENKUlvE_clEvENKUlvE0_clEvEUlfE_St5arrayIPcLm2EEEEviT0_T1_.num_named_barrier, max(0, .L_ZN2at6native25elementwise_kernel_helperILb0EZZZNS0_12_GLOBAL__N_137scaled_modified_bessel_k0_kernel_cudaERNS_18TensorIteratorBaseEENKUlvE_clEvENKUlvE0_clEvEUlfE_NS0_6memory8policies10vectorizedILi4ESt5arrayIPcLm2EELi4EEEEEvT0_T1_.num_named_barrier, .L_ZN2at6native25elementwise_kernel_helperILb0EZZZNS0_12_GLOBAL__N_137scaled_modified_bessel_k0_kernel_cudaERNS_18TensorIteratorBaseEENKUlvE_clEvENKUlvE0_clEvEUlfE_NS0_6memory8policies11unroll_baseILi256ESt5arrayIPcLm2EE23TrivialOffsetCalculatorILi1EjESF_NS8_15LoadWithoutCastENS8_16StoreWithoutCastELi4ELi1EEEEEvT0_T1_.num_named_barrier)
	.set _ZN2at6native29vectorized_elementwise_kernelILi4EZZZNS0_12_GLOBAL__N_137scaled_modified_bessel_k0_kernel_cudaERNS_18TensorIteratorBaseEENKUlvE_clEvENKUlvE0_clEvEUlfE_St5arrayIPcLm2EEEEviT0_T1_.private_seg_size, 0+max(.L_ZN2at6native25elementwise_kernel_helperILb0EZZZNS0_12_GLOBAL__N_137scaled_modified_bessel_k0_kernel_cudaERNS_18TensorIteratorBaseEENKUlvE_clEvENKUlvE0_clEvEUlfE_NS0_6memory8policies10vectorizedILi4ESt5arrayIPcLm2EELi4EEEEEvT0_T1_.private_seg_size, .L_ZN2at6native25elementwise_kernel_helperILb0EZZZNS0_12_GLOBAL__N_137scaled_modified_bessel_k0_kernel_cudaERNS_18TensorIteratorBaseEENKUlvE_clEvENKUlvE0_clEvEUlfE_NS0_6memory8policies11unroll_baseILi256ESt5arrayIPcLm2EE23TrivialOffsetCalculatorILi1EjESF_NS8_15LoadWithoutCastENS8_16StoreWithoutCastELi4ELi1EEEEEvT0_T1_.private_seg_size)
	.set _ZN2at6native29vectorized_elementwise_kernelILi4EZZZNS0_12_GLOBAL__N_137scaled_modified_bessel_k0_kernel_cudaERNS_18TensorIteratorBaseEENKUlvE_clEvENKUlvE0_clEvEUlfE_St5arrayIPcLm2EEEEviT0_T1_.uses_vcc, or(1, .L_ZN2at6native25elementwise_kernel_helperILb0EZZZNS0_12_GLOBAL__N_137scaled_modified_bessel_k0_kernel_cudaERNS_18TensorIteratorBaseEENKUlvE_clEvENKUlvE0_clEvEUlfE_NS0_6memory8policies10vectorizedILi4ESt5arrayIPcLm2EELi4EEEEEvT0_T1_.uses_vcc, .L_ZN2at6native25elementwise_kernel_helperILb0EZZZNS0_12_GLOBAL__N_137scaled_modified_bessel_k0_kernel_cudaERNS_18TensorIteratorBaseEENKUlvE_clEvENKUlvE0_clEvEUlfE_NS0_6memory8policies11unroll_baseILi256ESt5arrayIPcLm2EE23TrivialOffsetCalculatorILi1EjESF_NS8_15LoadWithoutCastENS8_16StoreWithoutCastELi4ELi1EEEEEvT0_T1_.uses_vcc)
	.set _ZN2at6native29vectorized_elementwise_kernelILi4EZZZNS0_12_GLOBAL__N_137scaled_modified_bessel_k0_kernel_cudaERNS_18TensorIteratorBaseEENKUlvE_clEvENKUlvE0_clEvEUlfE_St5arrayIPcLm2EEEEviT0_T1_.uses_flat_scratch, or(0, .L_ZN2at6native25elementwise_kernel_helperILb0EZZZNS0_12_GLOBAL__N_137scaled_modified_bessel_k0_kernel_cudaERNS_18TensorIteratorBaseEENKUlvE_clEvENKUlvE0_clEvEUlfE_NS0_6memory8policies10vectorizedILi4ESt5arrayIPcLm2EELi4EEEEEvT0_T1_.uses_flat_scratch, .L_ZN2at6native25elementwise_kernel_helperILb0EZZZNS0_12_GLOBAL__N_137scaled_modified_bessel_k0_kernel_cudaERNS_18TensorIteratorBaseEENKUlvE_clEvENKUlvE0_clEvEUlfE_NS0_6memory8policies11unroll_baseILi256ESt5arrayIPcLm2EE23TrivialOffsetCalculatorILi1EjESF_NS8_15LoadWithoutCastENS8_16StoreWithoutCastELi4ELi1EEEEEvT0_T1_.uses_flat_scratch)
	.set _ZN2at6native29vectorized_elementwise_kernelILi4EZZZNS0_12_GLOBAL__N_137scaled_modified_bessel_k0_kernel_cudaERNS_18TensorIteratorBaseEENKUlvE_clEvENKUlvE0_clEvEUlfE_St5arrayIPcLm2EEEEviT0_T1_.has_dyn_sized_stack, or(0, .L_ZN2at6native25elementwise_kernel_helperILb0EZZZNS0_12_GLOBAL__N_137scaled_modified_bessel_k0_kernel_cudaERNS_18TensorIteratorBaseEENKUlvE_clEvENKUlvE0_clEvEUlfE_NS0_6memory8policies10vectorizedILi4ESt5arrayIPcLm2EELi4EEEEEvT0_T1_.has_dyn_sized_stack, .L_ZN2at6native25elementwise_kernel_helperILb0EZZZNS0_12_GLOBAL__N_137scaled_modified_bessel_k0_kernel_cudaERNS_18TensorIteratorBaseEENKUlvE_clEvENKUlvE0_clEvEUlfE_NS0_6memory8policies11unroll_baseILi256ESt5arrayIPcLm2EE23TrivialOffsetCalculatorILi1EjESF_NS8_15LoadWithoutCastENS8_16StoreWithoutCastELi4ELi1EEEEEvT0_T1_.has_dyn_sized_stack)
	.set _ZN2at6native29vectorized_elementwise_kernelILi4EZZZNS0_12_GLOBAL__N_137scaled_modified_bessel_k0_kernel_cudaERNS_18TensorIteratorBaseEENKUlvE_clEvENKUlvE0_clEvEUlfE_St5arrayIPcLm2EEEEviT0_T1_.has_recursion, or(0, .L_ZN2at6native25elementwise_kernel_helperILb0EZZZNS0_12_GLOBAL__N_137scaled_modified_bessel_k0_kernel_cudaERNS_18TensorIteratorBaseEENKUlvE_clEvENKUlvE0_clEvEUlfE_NS0_6memory8policies10vectorizedILi4ESt5arrayIPcLm2EELi4EEEEEvT0_T1_.has_recursion, .L_ZN2at6native25elementwise_kernel_helperILb0EZZZNS0_12_GLOBAL__N_137scaled_modified_bessel_k0_kernel_cudaERNS_18TensorIteratorBaseEENKUlvE_clEvENKUlvE0_clEvEUlfE_NS0_6memory8policies11unroll_baseILi256ESt5arrayIPcLm2EE23TrivialOffsetCalculatorILi1EjESF_NS8_15LoadWithoutCastENS8_16StoreWithoutCastELi4ELi1EEEEEvT0_T1_.has_recursion)
	.set _ZN2at6native29vectorized_elementwise_kernelILi4EZZZNS0_12_GLOBAL__N_137scaled_modified_bessel_k0_kernel_cudaERNS_18TensorIteratorBaseEENKUlvE_clEvENKUlvE0_clEvEUlfE_St5arrayIPcLm2EEEEviT0_T1_.has_indirect_call, or(0, .L_ZN2at6native25elementwise_kernel_helperILb0EZZZNS0_12_GLOBAL__N_137scaled_modified_bessel_k0_kernel_cudaERNS_18TensorIteratorBaseEENKUlvE_clEvENKUlvE0_clEvEUlfE_NS0_6memory8policies10vectorizedILi4ESt5arrayIPcLm2EELi4EEEEEvT0_T1_.has_indirect_call, .L_ZN2at6native25elementwise_kernel_helperILb0EZZZNS0_12_GLOBAL__N_137scaled_modified_bessel_k0_kernel_cudaERNS_18TensorIteratorBaseEENKUlvE_clEvENKUlvE0_clEvEUlfE_NS0_6memory8policies11unroll_baseILi256ESt5arrayIPcLm2EE23TrivialOffsetCalculatorILi1EjESF_NS8_15LoadWithoutCastENS8_16StoreWithoutCastELi4ELi1EEEEEvT0_T1_.has_indirect_call)
	.section	.AMDGPU.csdata,"",@progbits
; Kernel info:
; codeLenInByte = 204
; TotalNumSgprs: 35
; NumVgprs: 32
; ScratchSize: 0
; MemoryBound: 0
; FloatMode: 240
; IeeeMode: 1
; LDSByteSize: 0 bytes/workgroup (compile time only)
; SGPRBlocks: 0
; VGPRBlocks: 1
; NumSGPRsForWavesPerEU: 35
; NumVGPRsForWavesPerEU: 32
; NamedBarCnt: 0
; Occupancy: 16
; WaveLimiterHint : 0
; COMPUTE_PGM_RSRC2:SCRATCH_EN: 0
; COMPUTE_PGM_RSRC2:USER_SGPR: 2
; COMPUTE_PGM_RSRC2:TRAP_HANDLER: 0
; COMPUTE_PGM_RSRC2:TGID_X_EN: 1
; COMPUTE_PGM_RSRC2:TGID_Y_EN: 0
; COMPUTE_PGM_RSRC2:TGID_Z_EN: 0
; COMPUTE_PGM_RSRC2:TIDIG_COMP_CNT: 0
	.section	.text._ZN2at6native29vectorized_elementwise_kernelILi2EZZZNS0_12_GLOBAL__N_137scaled_modified_bessel_k0_kernel_cudaERNS_18TensorIteratorBaseEENKUlvE_clEvENKUlvE0_clEvEUlfE_St5arrayIPcLm2EEEEviT0_T1_,"axG",@progbits,_ZN2at6native29vectorized_elementwise_kernelILi2EZZZNS0_12_GLOBAL__N_137scaled_modified_bessel_k0_kernel_cudaERNS_18TensorIteratorBaseEENKUlvE_clEvENKUlvE0_clEvEUlfE_St5arrayIPcLm2EEEEviT0_T1_,comdat
	.globl	_ZN2at6native29vectorized_elementwise_kernelILi2EZZZNS0_12_GLOBAL__N_137scaled_modified_bessel_k0_kernel_cudaERNS_18TensorIteratorBaseEENKUlvE_clEvENKUlvE0_clEvEUlfE_St5arrayIPcLm2EEEEviT0_T1_ ; -- Begin function _ZN2at6native29vectorized_elementwise_kernelILi2EZZZNS0_12_GLOBAL__N_137scaled_modified_bessel_k0_kernel_cudaERNS_18TensorIteratorBaseEENKUlvE_clEvENKUlvE0_clEvEUlfE_St5arrayIPcLm2EEEEviT0_T1_
	.p2align	8
	.type	_ZN2at6native29vectorized_elementwise_kernelILi2EZZZNS0_12_GLOBAL__N_137scaled_modified_bessel_k0_kernel_cudaERNS_18TensorIteratorBaseEENKUlvE_clEvENKUlvE0_clEvEUlfE_St5arrayIPcLm2EEEEviT0_T1_,@function
_ZN2at6native29vectorized_elementwise_kernelILi2EZZZNS0_12_GLOBAL__N_137scaled_modified_bessel_k0_kernel_cudaERNS_18TensorIteratorBaseEENKUlvE_clEvENKUlvE0_clEvEUlfE_St5arrayIPcLm2EEEEviT0_T1_: ; @_ZN2at6native29vectorized_elementwise_kernelILi2EZZZNS0_12_GLOBAL__N_137scaled_modified_bessel_k0_kernel_cudaERNS_18TensorIteratorBaseEENKUlvE_clEvENKUlvE0_clEvEUlfE_St5arrayIPcLm2EEEEviT0_T1_
; %bb.0:
	s_clause 0x1
	s_load_b32 s2, s[0:1], 0x0
	s_load_b128 s[4:7], s[0:1], 0x8
	s_wait_xcnt 0x0
	s_bfe_u32 s0, ttmp6, 0x4000c
	s_and_b32 s1, ttmp6, 15
	s_add_co_i32 s0, s0, 1
	s_getreg_b32 s3, hwreg(HW_REG_IB_STS2, 6, 4)
	s_mul_i32 s0, ttmp9, s0
	s_mov_b32 s32, 0
	s_add_co_i32 s1, s1, s0
	s_cmp_eq_u32 s3, 0
	s_cselect_b32 s0, ttmp9, s1
	s_mov_b32 s1, -1
	s_lshl_b32 s0, s0, 10
	s_wait_kmcnt 0x0
	s_sub_co_i32 s8, s2, s0
	s_delay_alu instid0(SALU_CYCLE_1)
	s_cmp_gt_i32 s8, 0x3ff
	s_cbranch_scc1 .LBB15_3
; %bb.1:
	s_and_b32 vcc_lo, exec_lo, s1
	s_cbranch_vccnz .LBB15_36
.LBB15_2:
	s_sendmsg sendmsg(MSG_DEALLOC_VGPRS)
	s_endpgm
.LBB15_3:
	s_ashr_i32 s1, s0, 31
	v_dual_mov_b32 v3, 0x7f800000 :: v_dual_mov_b32 v2, 0x7f800000
	s_lshl_b64 s[2:3], s[0:1], 2
	s_delay_alu instid0(SALU_CYCLE_1)
	s_add_nc_u64 s[0:1], s[6:7], s[2:3]
	s_clause 0x1
	global_load_b64 v[6:7], v0, s[0:1] scale_offset
	global_load_b64 v[4:5], v0, s[0:1] offset:2048 scale_offset
	s_wait_xcnt 0x0
	s_mov_b32 s1, exec_lo
	s_wait_loadcnt 0x1
	v_cmpx_neq_f32_e32 0, v6
	s_cbranch_execz .LBB15_11
; %bb.4:
	v_mov_b32_e32 v2, 0x7fc00000
	s_mov_b32 s9, exec_lo
	v_cmpx_ngt_f32_e32 0, v6
	s_cbranch_execz .LBB15_10
; %bb.5:
	s_mov_b32 s0, exec_lo
	v_cmpx_ge_f32_e32 2.0, v6
	s_xor_b32 s10, exec_lo, s0
	s_cbranch_execz .LBB15_7
; %bb.6:
	v_dual_mov_b32 v9, 0.5 :: v_dual_mov_b32 v8, v6
	s_mov_b32 s0, 0xa2a2e5b9
	v_mov_b64_e32 v[14:15], 0x3ad6e3ac293fd856
	v_mov_b32_e32 v12, 0xa51e770f
	v_mov_b64_e32 v[18:19], 0xbb8db2f12d3612e2
	v_pk_fma_f32 v[10:11], v[6:7], v[8:9], -2.0 op_sel_hi:[0,1,0]
	v_pk_mul_f32 v[20:21], v[6:7], v[8:9] op_sel_hi:[0,1]
	v_mov_b64_e32 v[22:23], 0xbdc25b823aa5c174
	s_delay_alu instid0(VALU_DEP_3) | instskip(NEXT) | instid1(VALU_DEP_4)
	v_fmaak_f32 v1, s0, v11, 0x24199b15
	v_mul_f32_e32 v16, 0x251e770f, v10
	s_mov_b32 s0, 0xa51e770f
	v_cmp_gt_f32_e32 vcc_lo, 0x800000, v21
	s_delay_alu instid0(VALU_DEP_3) | instskip(NEXT) | instid1(VALU_DEP_1)
	v_fmaak_f32 v2, v11, v1, 0x22a2e5b9
	v_add_f32_e32 v2, 0xa58c275c, v2
	s_delay_alu instid0(VALU_DEP_1) | instskip(NEXT) | instid1(VALU_DEP_1)
	v_fma_f32 v1, v11, v2, -v1
	v_add_f32_e32 v1, 0x26f736c5, v1
	s_delay_alu instid0(VALU_DEP_1) | instskip(NEXT) | instid1(VALU_DEP_1)
	v_fma_f32 v2, v11, v1, -v2
	;; [unrolled: 3-line block ×18, first 2 shown]
	v_add_f32_e32 v13, 0xba1717e9, v2
	s_delay_alu instid0(VALU_DEP_1) | instskip(SKIP_1) | instid1(VALU_DEP_1)
	v_fma_f32 v17, v11, v13, -v1
	v_mul_f32_e32 v1, 0x3fb8aa3b, v6
	v_rndne_f32_e32 v2, v1
	v_fma_f32 v8, 0x3fb8aa3b, v6, -v1
	s_delay_alu instid0(VALU_DEP_2) | instskip(SKIP_2) | instid1(VALU_DEP_4)
	v_sub_f32_e32 v1, v1, v2
	v_pk_add_f32 v[14:15], v[16:17], v[14:15]
	v_mov_b64_e32 v[16:17], s[0:1]
	v_fmamk_f32 v8, v6, 0x32a5705f, v8
	v_cvt_i32_f32_e32 v2, v2
	v_cmp_ngt_f32_e64 s0, 0xc2ce8ed0, v6
	v_pk_fma_f32 v[12:13], v[10:11], v[14:15], v[12:13] neg_lo:[0,0,1] neg_hi:[0,0,1]
	s_delay_alu instid0(VALU_DEP_4) | instskip(SKIP_1) | instid1(VALU_DEP_3)
	v_add_f32_e32 v1, v1, v8
	v_pk_fma_f32 v[16:17], v[10:11], v[14:15], v[16:17]
	v_mov_b32_e32 v17, v13
	s_delay_alu instid0(VALU_DEP_3) | instskip(NEXT) | instid1(VALU_DEP_1)
	v_exp_f32_e32 v1, v1
	v_pk_add_f32 v[12:13], v[16:17], v[18:19]
	v_mov_b64_e32 v[16:17], 0x3c2ccb103102e09b
	v_mov_b64_e32 v[18:19], 0xc000000037bfc808
	s_delay_alu instid0(TRANS32_DEP_1) | instskip(NEXT) | instid1(VALU_DEP_4)
	v_ldexp_f32 v1, v1, v2
	v_pk_fma_f32 v[14:15], v[10:11], v[12:13], v[14:15] neg_lo:[0,0,1] neg_hi:[0,0,1]
	s_delay_alu instid0(VALU_DEP_2) | instskip(NEXT) | instid1(VALU_DEP_2)
	v_cndmask_b32_e64 v1, 0, v1, s0
	v_pk_add_f32 v[14:15], v[14:15], v[16:17]
	v_mov_b64_e32 v[16:17], 0xbcc274f8348815e7
	v_cmp_nlt_f32_e64 s0, 0x42b17218, v6
	s_delay_alu instid0(VALU_DEP_3) | instskip(NEXT) | instid1(VALU_DEP_1)
	v_pk_fma_f32 v[12:13], v[10:11], v[14:15], v[12:13] neg_lo:[0,0,1] neg_hi:[0,0,1]
	v_pk_add_f32 v[12:13], v[12:13], v[16:17]
	v_mov_b64_e32 v[16:17], 0x3d49f45637bfc808
	s_delay_alu instid0(VALU_DEP_2) | instskip(NEXT) | instid1(VALU_DEP_1)
	v_pk_fma_f32 v[14:15], v[10:11], v[12:13], v[14:15] neg_lo:[0,0,1] neg_hi:[0,0,1]
	v_mov_b32_e32 v20, v14
	s_delay_alu instid0(VALU_DEP_2) | instskip(SKIP_1) | instid1(VALU_DEP_3)
	v_pk_add_f32 v[14:15], v[14:15], v[16:17]
	v_mov_b32_e32 v16, v10
	v_pk_add_f32 v[18:19], v[20:21], v[18:19]
	s_delay_alu instid0(VALU_DEP_3) | instskip(NEXT) | instid1(VALU_DEP_1)
	v_mov_b32_e32 v17, v15
	v_pk_fma_f32 v[12:13], v[18:19], v[16:17], v[12:13] neg_lo:[0,0,1] neg_hi:[0,0,1]
	v_mov_b64_e32 v[16:17], 0x3e2fbd643d135fb3
	v_cndmask_b32_e64 v18, 0, 32, vcc_lo
	s_delay_alu instid0(VALU_DEP_3) | instskip(NEXT) | instid1(VALU_DEP_1)
	v_pk_add_f32 v[12:13], v[12:13], v[22:23]
	v_pk_fma_f32 v[14:15], v[10:11], v[12:13], v[14:15] neg_lo:[0,0,1] neg_hi:[0,0,1]
	s_delay_alu instid0(VALU_DEP_1) | instskip(NEXT) | instid1(VALU_DEP_4)
	v_pk_add_f32 v[14:15], v[14:15], v[16:17]
	v_ldexp_f32 v16, v21, v18
	s_delay_alu instid0(VALU_DEP_2) | instskip(NEXT) | instid1(VALU_DEP_2)
	v_pk_fma_f32 v[12:13], v[10:11], v[14:15], v[12:13] neg_lo:[0,0,1] neg_hi:[0,0,1]
	v_log_f32_e32 v8, v16
	s_delay_alu instid0(VALU_DEP_1) | instskip(NEXT) | instid1(VALU_DEP_2)
	v_add_f32_e32 v13, 0xbe9bff5e, v13
	v_add_f32_e32 v12, 0x3eb046c4, v12
	s_delay_alu instid0(TRANS32_DEP_1) | instskip(NEXT) | instid1(VALU_DEP_2)
	v_mul_f32_e32 v16, 0x3f317217, v8
	v_dual_fma_f32 v11, v11, v13, -v15 :: v_dual_mul_f32 v10, v10, v12
	v_cndmask_b32_e64 v13, 0x7f800000, v1, s0
	s_delay_alu instid0(VALU_DEP_3) | instskip(NEXT) | instid1(VALU_DEP_3)
	v_fma_f32 v2, 0x3f317217, v8, -v16
	v_dual_mov_b32 v12, v14 :: v_dual_add_f32 v11, 0x3f2d4275, v11
	v_cndmask_b32_e64 v1, 0, 0x41b17218, vcc_lo
	v_cmp_gt_f32_e64 vcc_lo, 0x7f800000, |v8|
	s_delay_alu instid0(VALU_DEP_4) | instskip(SKIP_2) | instid1(VALU_DEP_3)
	v_fmamk_f32 v18, v8, 0x3377d1cf, v2
	v_mov_b32_e32 v2, 0xbf090b37
	v_pk_add_f32 v[10:11], v[10:11], v[14:15] neg_lo:[0,1] neg_hi:[0,1]
	v_fmac_f32_e32 v18, 0x3f317217, v8
	s_delay_alu instid0(VALU_DEP_2) | instskip(NEXT) | instid1(VALU_DEP_4)
	v_pk_mul_f32 v[16:17], v[10:11], v[8:9]
	v_pk_add_f32 v[10:11], v[10:11], v[2:3]
	s_delay_alu instid0(VALU_DEP_3) | instskip(NEXT) | instid1(VALU_DEP_3)
	v_dual_cndmask_b32 v8, v8, v18, vcc_lo :: v_dual_mov_b32 v18, v9
	v_pk_mul_f32 v[16:17], v[16:17], v[12:13]
	s_delay_alu instid0(VALU_DEP_3) | instskip(NEXT) | instid1(VALU_DEP_2)
	v_pk_add_f32 v[10:11], v[10:11], v[14:15] neg_lo:[0,1] neg_hi:[0,1]
	v_dual_sub_f32 v19, v8, v1 :: v_dual_mov_b32 v11, v17
	s_delay_alu instid0(VALU_DEP_1) | instskip(NEXT) | instid1(VALU_DEP_1)
	v_pk_mul_f32 v[8:9], v[18:19], v[10:11]
	v_sub_f32_e32 v1, v8, v9
	s_delay_alu instid0(VALU_DEP_1)
	v_mul_f32_e32 v2, v13, v1
.LBB15_7:
	s_and_not1_saveexec_b32 s10, s10
	s_cbranch_execz .LBB15_9
; %bb.8:
	v_div_scale_f32 v1, null, v6, v6, 0x41000000
	v_div_scale_f32 v9, vcc_lo, 0x41000000, v6, 0x41000000
	s_mov_b32 s0, 0x22c38d2e
	v_rcp_f32_e32 v2, v1
	v_nop
	s_delay_alu instid0(TRANS32_DEP_1) | instskip(NEXT) | instid1(VALU_DEP_1)
	v_fma_f32 v8, -v1, v2, 1.0
	v_fmac_f32_e32 v2, v8, v2
	s_delay_alu instid0(VALU_DEP_1) | instskip(NEXT) | instid1(VALU_DEP_1)
	v_mul_f32_e32 v8, v9, v2
	v_fma_f32 v10, -v1, v8, v9
	s_delay_alu instid0(VALU_DEP_1) | instskip(NEXT) | instid1(VALU_DEP_1)
	v_fmac_f32_e32 v8, v10, v2
	v_fma_f32 v1, -v1, v8, v9
	v_mul_f32_e32 v9, 0x4f800000, v6
	s_delay_alu instid0(VALU_DEP_2) | instskip(SKIP_1) | instid1(VALU_DEP_2)
	v_div_fmas_f32 v1, v1, v2, v8
	v_cmp_gt_f32_e32 vcc_lo, 0xf800000, v6
	v_div_fixup_f32 v1, v1, v6, 0x41000000
	s_delay_alu instid0(VALU_DEP_4) | instskip(NEXT) | instid1(VALU_DEP_2)
	v_cndmask_b32_e32 v6, v6, v9, vcc_lo
	v_add_f32_e32 v1, -2.0, v1
	s_delay_alu instid0(VALU_DEP_2) | instskip(NEXT) | instid1(VALU_DEP_1)
	v_sqrt_f32_e32 v9, v6
	v_fmaak_f32 v2, s0, v1, 0xa397f665
	s_delay_alu instid0(TRANS32_DEP_1) | instskip(NEXT) | instid1(VALU_DEP_2)
	v_dual_add_nc_u32 v10, -1, v9 :: v_dual_add_nc_u32 v11, 1, v9
	v_fmaak_f32 v8, v1, v2, 0xa2c38d2e
	s_delay_alu instid0(VALU_DEP_2) | instskip(NEXT) | instid1(VALU_DEP_2)
	v_dual_fma_f32 v12, -v10, v9, v6 :: v_dual_fma_f32 v13, -v11, v9, v6
	v_add_f32_e32 v8, 0x24704972, v8
	s_delay_alu instid0(VALU_DEP_2) | instskip(NEXT) | instid1(VALU_DEP_2)
	v_cmp_ge_f32_e64 s0, 0, v12
	v_fma_f32 v2, v1, v8, -v2
	s_delay_alu instid0(VALU_DEP_2) | instskip(SKIP_1) | instid1(VALU_DEP_3)
	v_cndmask_b32_e64 v9, v9, v10, s0
	v_cmp_lt_f32_e64 s0, 0, v13
	v_add_f32_e32 v2, 0xa5417ca4, v2
	s_delay_alu instid0(VALU_DEP_2) | instskip(NEXT) | instid1(VALU_DEP_2)
	v_cndmask_b32_e64 v9, v9, v11, s0
	v_fma_f32 v8, v1, v2, -v8
	s_delay_alu instid0(VALU_DEP_1) | instskip(NEXT) | instid1(VALU_DEP_1)
	v_add_f32_e32 v8, 0x261edfcb, v8
	v_fma_f32 v2, v1, v8, -v2
	s_delay_alu instid0(VALU_DEP_1) | instskip(NEXT) | instid1(VALU_DEP_1)
	v_add_f32_e32 v2, 0xa7053487, v2
	;; [unrolled: 3-line block ×20, first 2 shown]
	v_fma_f32 v1, v1, v2, -v8
	v_mul_f32_e32 v2, 0x37800000, v9
	s_delay_alu instid0(VALU_DEP_1) | instskip(SKIP_1) | instid1(VALU_DEP_2)
	v_dual_add_f32 v1, 0x401c2ded, v1 :: v_dual_cndmask_b32 v2, v9, v2
	v_cmp_class_f32_e64 vcc_lo, v6, 0x260
	v_dual_sub_f32 v1, v1, v8 :: v_dual_cndmask_b32 v2, v2, v6
	s_delay_alu instid0(VALU_DEP_1) | instskip(NEXT) | instid1(VALU_DEP_1)
	v_mul_f32_e32 v1, 0.5, v1
	v_div_scale_f32 v6, null, v2, v2, v1
	s_delay_alu instid0(VALU_DEP_1) | instskip(SKIP_1) | instid1(TRANS32_DEP_1)
	v_rcp_f32_e32 v8, v6
	v_nop
	v_fma_f32 v9, -v6, v8, 1.0
	s_delay_alu instid0(VALU_DEP_1) | instskip(SKIP_1) | instid1(VALU_DEP_1)
	v_fmac_f32_e32 v8, v9, v8
	v_div_scale_f32 v9, vcc_lo, v1, v2, v1
	v_mul_f32_e32 v10, v9, v8
	s_delay_alu instid0(VALU_DEP_1) | instskip(NEXT) | instid1(VALU_DEP_1)
	v_fma_f32 v11, -v6, v10, v9
	v_fmac_f32_e32 v10, v11, v8
	s_delay_alu instid0(VALU_DEP_1) | instskip(NEXT) | instid1(VALU_DEP_1)
	v_fma_f32 v6, -v6, v10, v9
	v_div_fmas_f32 v6, v6, v8, v10
	s_delay_alu instid0(VALU_DEP_1)
	v_div_fixup_f32 v2, v6, v2, v1
.LBB15_9:
	s_or_b32 exec_lo, exec_lo, s10
.LBB15_10:
	s_delay_alu instid0(SALU_CYCLE_1)
	s_or_b32 exec_lo, exec_lo, s9
.LBB15_11:
	s_delay_alu instid0(SALU_CYCLE_1) | instskip(NEXT) | instid1(SALU_CYCLE_1)
	s_or_b32 exec_lo, exec_lo, s1
	s_mov_b32 s1, exec_lo
	v_cmpx_neq_f32_e32 0, v7
	s_cbranch_execz .LBB15_19
; %bb.12:
	v_mov_b32_e32 v3, 0x7fc00000
	s_mov_b32 s9, exec_lo
	v_cmpx_ngt_f32_e32 0, v7
	s_cbranch_execz .LBB15_18
; %bb.13:
	s_mov_b32 s0, exec_lo
	v_cmpx_ge_f32_e32 2.0, v7
	s_xor_b32 s10, exec_lo, s0
	s_cbranch_execz .LBB15_15
; %bb.14:
	v_dual_mov_b32 v6, v7 :: v_dual_mov_b32 v9, 0.5
	s_mov_b32 s0, 0xa2a2e5b9
	v_mov_b32_e32 v8, v7
	v_mov_b64_e32 v[14:15], 0x3ad6e3ac293fd856
	v_mov_b32_e32 v12, 0xa51e770f
	v_mov_b64_e32 v[18:19], 0xbb8db2f12d3612e2
	v_mov_b64_e32 v[22:23], 0xbdc25b823aa5c174
	v_pk_fma_f32 v[10:11], v[6:7], v[8:9], -2.0 op_sel_hi:[0,1,0]
	s_delay_alu instid0(VALU_DEP_1) | instskip(SKIP_1) | instid1(VALU_DEP_3)
	v_fmaak_f32 v1, s0, v11, 0x24199b15
	v_pk_mul_f32 v[20:21], v[6:7], v[8:9] op_sel_hi:[0,1]
	v_mul_f32_e32 v16, 0x251e770f, v10
	s_mov_b32 s0, 0xa51e770f
	s_delay_alu instid0(VALU_DEP_3) | instskip(NEXT) | instid1(VALU_DEP_3)
	v_fmaak_f32 v3, v11, v1, 0x22a2e5b9
	v_cmp_gt_f32_e32 vcc_lo, 0x800000, v21
	s_delay_alu instid0(VALU_DEP_2) | instskip(SKIP_1) | instid1(VALU_DEP_2)
	v_add_f32_e32 v3, 0xa58c275c, v3
	v_cndmask_b32_e64 v8, 0, 32, vcc_lo
	v_fma_f32 v1, v11, v3, -v1
	s_delay_alu instid0(VALU_DEP_2) | instskip(NEXT) | instid1(VALU_DEP_2)
	v_ldexp_f32 v8, v21, v8
	v_add_f32_e32 v1, 0x26f736c5, v1
	s_delay_alu instid0(VALU_DEP_2) | instskip(NEXT) | instid1(VALU_DEP_1)
	v_log_f32_e32 v8, v8
	v_fma_f32 v3, v11, v1, -v3
	s_delay_alu instid0(VALU_DEP_1) | instskip(NEXT) | instid1(VALU_DEP_1)
	v_add_f32_e32 v3, 0xa8528116, v3
	v_fma_f32 v1, v11, v3, -v1
	s_delay_alu instid0(VALU_DEP_1) | instskip(NEXT) | instid1(VALU_DEP_1)
	v_add_f32_e32 v1, 0x29acda32, v1
	;; [unrolled: 3-line block ×17, first 2 shown]
	v_fma_f32 v17, v11, v13, -v1
	v_mul_f32_e32 v1, 0x3fb8aa3b, v7
	s_delay_alu instid0(VALU_DEP_1) | instskip(SKIP_1) | instid1(VALU_DEP_2)
	v_rndne_f32_e32 v3, v1
	v_fma_f32 v6, 0x3fb8aa3b, v7, -v1
	v_sub_f32_e32 v1, v1, v3
	v_pk_add_f32 v[14:15], v[16:17], v[14:15]
	v_mov_b64_e32 v[16:17], s[0:1]
	s_delay_alu instid0(VALU_DEP_4) | instskip(SKIP_3) | instid1(VALU_DEP_4)
	v_fmamk_f32 v6, v7, 0x32a5705f, v6
	v_cvt_i32_f32_e32 v3, v3
	v_cmp_ngt_f32_e64 s0, 0xc2ce8ed0, v7
	v_pk_fma_f32 v[12:13], v[10:11], v[14:15], v[12:13] neg_lo:[0,0,1] neg_hi:[0,0,1]
	v_add_f32_e32 v1, v1, v6
	v_pk_fma_f32 v[16:17], v[10:11], v[14:15], v[16:17]
	s_delay_alu instid0(VALU_DEP_3) | instskip(NEXT) | instid1(VALU_DEP_3)
	v_mov_b32_e32 v17, v13
	v_exp_f32_e32 v1, v1
	s_delay_alu instid0(VALU_DEP_1) | instskip(SKIP_2) | instid1(TRANS32_DEP_1)
	v_pk_add_f32 v[12:13], v[16:17], v[18:19]
	v_mov_b64_e32 v[16:17], 0x3c2ccb103102e09b
	v_mov_b64_e32 v[18:19], 0xc000000037bfc808
	v_ldexp_f32 v1, v1, v3
	s_delay_alu instid0(VALU_DEP_4) | instskip(NEXT) | instid1(VALU_DEP_2)
	v_pk_fma_f32 v[14:15], v[10:11], v[12:13], v[14:15] neg_lo:[0,0,1] neg_hi:[0,0,1]
	v_cndmask_b32_e64 v1, 0, v1, s0
	s_delay_alu instid0(VALU_DEP_2) | instskip(SKIP_2) | instid1(VALU_DEP_3)
	v_pk_add_f32 v[14:15], v[14:15], v[16:17]
	v_mov_b64_e32 v[16:17], 0xbcc274f8348815e7
	v_cmp_nlt_f32_e64 s0, 0x42b17218, v7
	v_pk_fma_f32 v[12:13], v[10:11], v[14:15], v[12:13] neg_lo:[0,0,1] neg_hi:[0,0,1]
	s_delay_alu instid0(VALU_DEP_1) | instskip(SKIP_1) | instid1(VALU_DEP_2)
	v_pk_add_f32 v[12:13], v[12:13], v[16:17]
	v_mov_b64_e32 v[16:17], 0x3d49f45637bfc808
	v_pk_fma_f32 v[14:15], v[10:11], v[12:13], v[14:15] neg_lo:[0,0,1] neg_hi:[0,0,1]
	s_delay_alu instid0(VALU_DEP_1) | instskip(NEXT) | instid1(VALU_DEP_2)
	v_mov_b32_e32 v20, v14
	v_pk_add_f32 v[14:15], v[14:15], v[16:17]
	v_mov_b32_e32 v16, v10
	s_delay_alu instid0(VALU_DEP_3) | instskip(NEXT) | instid1(VALU_DEP_3)
	v_pk_add_f32 v[18:19], v[20:21], v[18:19]
	v_mov_b32_e32 v17, v15
	s_delay_alu instid0(VALU_DEP_1) | instskip(SKIP_1) | instid1(VALU_DEP_2)
	v_pk_fma_f32 v[12:13], v[18:19], v[16:17], v[12:13] neg_lo:[0,0,1] neg_hi:[0,0,1]
	v_mov_b64_e32 v[16:17], 0x3e2fbd643d135fb3
	v_pk_add_f32 v[12:13], v[12:13], v[22:23]
	s_delay_alu instid0(VALU_DEP_1) | instskip(NEXT) | instid1(VALU_DEP_1)
	v_pk_fma_f32 v[14:15], v[10:11], v[12:13], v[14:15] neg_lo:[0,0,1] neg_hi:[0,0,1]
	v_pk_add_f32 v[14:15], v[14:15], v[16:17]
	s_delay_alu instid0(VALU_DEP_1) | instskip(NEXT) | instid1(VALU_DEP_1)
	v_pk_fma_f32 v[12:13], v[10:11], v[14:15], v[12:13] neg_lo:[0,0,1] neg_hi:[0,0,1]
	v_add_f32_e32 v6, 0xbe9bff5e, v13
	v_mul_f32_e32 v13, 0x3f317217, v8
	s_delay_alu instid0(VALU_DEP_3) | instskip(NEXT) | instid1(VALU_DEP_3)
	v_add_f32_e32 v12, 0x3eb046c4, v12
	v_fma_f32 v6, v11, v6, -v15
	s_delay_alu instid0(VALU_DEP_3) | instskip(NEXT) | instid1(VALU_DEP_3)
	v_fma_f32 v3, 0x3f317217, v8, -v13
	v_mul_f32_e32 v10, v10, v12
	v_cndmask_b32_e64 v13, 0x7f800000, v1, s0
	s_delay_alu instid0(VALU_DEP_4) | instskip(NEXT) | instid1(VALU_DEP_4)
	v_dual_mov_b32 v12, v14 :: v_dual_add_f32 v11, 0x3f2d4275, v6
	v_fmamk_f32 v3, v8, 0x3377d1cf, v3
	v_mov_b32_e32 v6, 0xbf090b37
	v_cndmask_b32_e64 v1, 0, 0x41b17218, vcc_lo
	v_cmp_gt_f32_e64 vcc_lo, 0x7f800000, |v8|
	v_pk_add_f32 v[10:11], v[10:11], v[14:15] neg_lo:[0,1] neg_hi:[0,1]
	v_fmac_f32_e32 v3, 0x3f317217, v8
	s_delay_alu instid0(VALU_DEP_2) | instskip(SKIP_1) | instid1(VALU_DEP_3)
	v_pk_mul_f32 v[16:17], v[10:11], v[8:9]
	v_pk_add_f32 v[6:7], v[10:11], v[6:7]
	v_cndmask_b32_e32 v3, v8, v3, vcc_lo
	s_delay_alu instid0(VALU_DEP_3) | instskip(NEXT) | instid1(VALU_DEP_3)
	v_pk_mul_f32 v[10:11], v[16:17], v[12:13]
	v_pk_add_f32 v[6:7], v[6:7], v[14:15] neg_lo:[0,1] neg_hi:[0,1]
	s_delay_alu instid0(VALU_DEP_3) | instskip(NEXT) | instid1(VALU_DEP_3)
	v_dual_sub_f32 v17, v3, v1 :: v_dual_mov_b32 v16, v9
	v_mov_b32_e32 v7, v11
	s_delay_alu instid0(VALU_DEP_1) | instskip(NEXT) | instid1(VALU_DEP_1)
	v_pk_mul_f32 v[6:7], v[16:17], v[6:7]
	v_sub_f32_e32 v1, v6, v7
                                        ; implicit-def: $vgpr6_vgpr7
	s_delay_alu instid0(VALU_DEP_1)
	v_mul_f32_e32 v3, v13, v1
.LBB15_15:
	s_and_not1_saveexec_b32 s10, s10
	s_cbranch_execz .LBB15_17
; %bb.16:
	v_div_scale_f32 v1, null, v7, v7, 0x41000000
	v_div_scale_f32 v8, vcc_lo, 0x41000000, v7, 0x41000000
	s_mov_b32 s0, 0x22c38d2e
	v_rcp_f32_e32 v3, v1
	v_nop
	s_delay_alu instid0(TRANS32_DEP_1) | instskip(NEXT) | instid1(VALU_DEP_1)
	v_fma_f32 v6, -v1, v3, 1.0
	v_fmac_f32_e32 v3, v6, v3
	s_delay_alu instid0(VALU_DEP_1) | instskip(NEXT) | instid1(VALU_DEP_1)
	v_mul_f32_e32 v6, v8, v3
	v_fma_f32 v9, -v1, v6, v8
	s_delay_alu instid0(VALU_DEP_1) | instskip(NEXT) | instid1(VALU_DEP_1)
	v_fmac_f32_e32 v6, v9, v3
	v_fma_f32 v1, -v1, v6, v8
	v_mul_f32_e32 v8, 0x4f800000, v7
	s_delay_alu instid0(VALU_DEP_2) | instskip(SKIP_1) | instid1(VALU_DEP_2)
	v_div_fmas_f32 v1, v1, v3, v6
	v_cmp_gt_f32_e32 vcc_lo, 0xf800000, v7
	v_div_fixup_f32 v1, v1, v7, 0x41000000
	s_delay_alu instid0(VALU_DEP_1) | instskip(NEXT) | instid1(VALU_DEP_1)
	v_dual_cndmask_b32 v7, v7, v8, vcc_lo :: v_dual_add_f32 v1, -2.0, v1
	v_sqrt_f32_e32 v8, v7
	s_delay_alu instid0(VALU_DEP_1) | instskip(NEXT) | instid1(TRANS32_DEP_1)
	v_fmaak_f32 v3, s0, v1, 0xa397f665
	v_dual_add_nc_u32 v9, -1, v8 :: v_dual_add_nc_u32 v10, 1, v8
	s_delay_alu instid0(VALU_DEP_2) | instskip(NEXT) | instid1(VALU_DEP_2)
	v_fmaak_f32 v6, v1, v3, 0xa2c38d2e
	v_fma_f32 v11, -v9, v8, v7
	s_delay_alu instid0(VALU_DEP_1) | instskip(NEXT) | instid1(VALU_DEP_1)
	v_cmp_ge_f32_e64 s0, 0, v11
	v_dual_fma_f32 v12, -v10, v8, v7 :: v_dual_cndmask_b32 v8, v8, v9, s0
	s_delay_alu instid0(VALU_DEP_1) | instskip(NEXT) | instid1(VALU_DEP_1)
	v_cmp_lt_f32_e64 s0, 0, v12
	v_cndmask_b32_e64 v8, v8, v10, s0
	v_add_f32_e32 v6, 0x24704972, v6
	s_delay_alu instid0(VALU_DEP_1) | instskip(NEXT) | instid1(VALU_DEP_1)
	v_fma_f32 v3, v1, v6, -v3
	v_add_f32_e32 v3, 0xa5417ca4, v3
	s_delay_alu instid0(VALU_DEP_1) | instskip(NEXT) | instid1(VALU_DEP_1)
	v_fma_f32 v6, v1, v3, -v6
	;; [unrolled: 3-line block ×21, first 2 shown]
	v_add_f32_e32 v3, 0xbd00cfb9, v3
	s_delay_alu instid0(VALU_DEP_1) | instskip(SKIP_1) | instid1(VALU_DEP_2)
	v_fma_f32 v1, v1, v3, -v6
	v_mul_f32_e32 v3, 0x37800000, v8
	v_add_f32_e32 v1, 0x401c2ded, v1
	s_delay_alu instid0(VALU_DEP_2) | instskip(SKIP_1) | instid1(VALU_DEP_1)
	v_cndmask_b32_e32 v3, v8, v3, vcc_lo
	v_cmp_class_f32_e64 vcc_lo, v7, 0x260
	v_dual_sub_f32 v1, v1, v6 :: v_dual_cndmask_b32 v3, v3, v7, vcc_lo
	s_delay_alu instid0(VALU_DEP_1) | instskip(NEXT) | instid1(VALU_DEP_1)
	v_mul_f32_e32 v1, 0.5, v1
	v_div_scale_f32 v6, null, v3, v3, v1
	s_delay_alu instid0(VALU_DEP_1) | instskip(SKIP_1) | instid1(TRANS32_DEP_1)
	v_rcp_f32_e32 v7, v6
	v_nop
	v_fma_f32 v8, -v6, v7, 1.0
	s_delay_alu instid0(VALU_DEP_1) | instskip(SKIP_1) | instid1(VALU_DEP_1)
	v_fmac_f32_e32 v7, v8, v7
	v_div_scale_f32 v8, vcc_lo, v1, v3, v1
	v_mul_f32_e32 v9, v8, v7
	s_delay_alu instid0(VALU_DEP_1) | instskip(NEXT) | instid1(VALU_DEP_1)
	v_fma_f32 v10, -v6, v9, v8
	v_fmac_f32_e32 v9, v10, v7
	s_delay_alu instid0(VALU_DEP_1) | instskip(NEXT) | instid1(VALU_DEP_1)
	v_fma_f32 v6, -v6, v9, v8
	v_div_fmas_f32 v6, v6, v7, v9
	s_delay_alu instid0(VALU_DEP_1)
	v_div_fixup_f32 v3, v6, v3, v1
.LBB15_17:
	s_or_b32 exec_lo, exec_lo, s10
.LBB15_18:
	s_delay_alu instid0(SALU_CYCLE_1)
	s_or_b32 exec_lo, exec_lo, s9
.LBB15_19:
	s_delay_alu instid0(SALU_CYCLE_1)
	s_or_b32 exec_lo, exec_lo, s1
	v_dual_mov_b32 v7, 0x7f800000 :: v_dual_mov_b32 v6, 0x7f800000
	s_mov_b32 s1, exec_lo
	s_wait_loadcnt 0x0
	v_cmpx_neq_f32_e32 0, v4
	s_cbranch_execz .LBB15_27
; %bb.20:
	v_mov_b32_e32 v6, 0x7fc00000
	s_mov_b32 s9, exec_lo
	v_cmpx_ngt_f32_e32 0, v4
	s_cbranch_execz .LBB15_26
; %bb.21:
	s_mov_b32 s0, exec_lo
	v_cmpx_ge_f32_e32 2.0, v4
	s_xor_b32 s10, exec_lo, s0
	s_cbranch_execz .LBB15_23
; %bb.22:
	v_dual_mov_b32 v9, 0.5 :: v_dual_mov_b32 v8, v4
	s_mov_b32 s0, 0xa2a2e5b9
	v_mov_b64_e32 v[14:15], 0x3ad6e3ac293fd856
	v_mov_b32_e32 v12, 0xa51e770f
	v_mov_b64_e32 v[18:19], 0xbb8db2f12d3612e2
	v_pk_fma_f32 v[10:11], v[4:5], v[8:9], -2.0 op_sel_hi:[0,1,0]
	v_pk_mul_f32 v[20:21], v[4:5], v[8:9] op_sel_hi:[0,1]
	v_mov_b64_e32 v[22:23], 0xbdc25b823aa5c174
	s_delay_alu instid0(VALU_DEP_3) | instskip(NEXT) | instid1(VALU_DEP_4)
	v_fmaak_f32 v1, s0, v11, 0x24199b15
	v_mul_f32_e32 v16, 0x251e770f, v10
	s_mov_b32 s0, 0xa51e770f
	v_cmp_gt_f32_e32 vcc_lo, 0x800000, v21
	s_delay_alu instid0(VALU_DEP_3) | instskip(NEXT) | instid1(VALU_DEP_1)
	v_fmaak_f32 v6, v11, v1, 0x22a2e5b9
	v_add_f32_e32 v6, 0xa58c275c, v6
	s_delay_alu instid0(VALU_DEP_1) | instskip(NEXT) | instid1(VALU_DEP_1)
	v_fma_f32 v1, v11, v6, -v1
	v_add_f32_e32 v1, 0x26f736c5, v1
	s_delay_alu instid0(VALU_DEP_1) | instskip(NEXT) | instid1(VALU_DEP_1)
	v_fma_f32 v6, v11, v1, -v6
	;; [unrolled: 3-line block ×18, first 2 shown]
	v_add_f32_e32 v13, 0xba1717e9, v6
	s_delay_alu instid0(VALU_DEP_1) | instskip(SKIP_1) | instid1(VALU_DEP_1)
	v_fma_f32 v17, v11, v13, -v1
	v_mul_f32_e32 v1, 0x3fb8aa3b, v4
	v_rndne_f32_e32 v6, v1
	v_fma_f32 v8, 0x3fb8aa3b, v4, -v1
	s_delay_alu instid0(VALU_DEP_2) | instskip(SKIP_2) | instid1(VALU_DEP_4)
	v_sub_f32_e32 v1, v1, v6
	v_pk_add_f32 v[14:15], v[16:17], v[14:15]
	v_mov_b64_e32 v[16:17], s[0:1]
	v_fmamk_f32 v8, v4, 0x32a5705f, v8
	v_cvt_i32_f32_e32 v6, v6
	v_cmp_ngt_f32_e64 s0, 0xc2ce8ed0, v4
	v_pk_fma_f32 v[12:13], v[10:11], v[14:15], v[12:13] neg_lo:[0,0,1] neg_hi:[0,0,1]
	s_delay_alu instid0(VALU_DEP_4) | instskip(SKIP_1) | instid1(VALU_DEP_3)
	v_add_f32_e32 v1, v1, v8
	v_pk_fma_f32 v[16:17], v[10:11], v[14:15], v[16:17]
	v_mov_b32_e32 v17, v13
	s_delay_alu instid0(VALU_DEP_3) | instskip(NEXT) | instid1(VALU_DEP_1)
	v_exp_f32_e32 v1, v1
	v_pk_add_f32 v[12:13], v[16:17], v[18:19]
	v_mov_b64_e32 v[16:17], 0x3c2ccb103102e09b
	v_mov_b64_e32 v[18:19], 0xc000000037bfc808
	s_delay_alu instid0(TRANS32_DEP_1) | instskip(NEXT) | instid1(VALU_DEP_4)
	v_ldexp_f32 v1, v1, v6
	v_pk_fma_f32 v[14:15], v[10:11], v[12:13], v[14:15] neg_lo:[0,0,1] neg_hi:[0,0,1]
	s_delay_alu instid0(VALU_DEP_2) | instskip(NEXT) | instid1(VALU_DEP_2)
	v_cndmask_b32_e64 v1, 0, v1, s0
	v_pk_add_f32 v[14:15], v[14:15], v[16:17]
	v_mov_b64_e32 v[16:17], 0xbcc274f8348815e7
	v_cmp_nlt_f32_e64 s0, 0x42b17218, v4
	s_delay_alu instid0(VALU_DEP_3) | instskip(NEXT) | instid1(VALU_DEP_1)
	v_pk_fma_f32 v[12:13], v[10:11], v[14:15], v[12:13] neg_lo:[0,0,1] neg_hi:[0,0,1]
	v_pk_add_f32 v[12:13], v[12:13], v[16:17]
	v_mov_b64_e32 v[16:17], 0x3d49f45637bfc808
	s_delay_alu instid0(VALU_DEP_2) | instskip(NEXT) | instid1(VALU_DEP_1)
	v_pk_fma_f32 v[14:15], v[10:11], v[12:13], v[14:15] neg_lo:[0,0,1] neg_hi:[0,0,1]
	v_mov_b32_e32 v20, v14
	s_delay_alu instid0(VALU_DEP_2) | instskip(SKIP_1) | instid1(VALU_DEP_3)
	v_pk_add_f32 v[14:15], v[14:15], v[16:17]
	v_mov_b32_e32 v16, v10
	v_pk_add_f32 v[18:19], v[20:21], v[18:19]
	s_delay_alu instid0(VALU_DEP_3) | instskip(NEXT) | instid1(VALU_DEP_1)
	v_mov_b32_e32 v17, v15
	v_pk_fma_f32 v[12:13], v[18:19], v[16:17], v[12:13] neg_lo:[0,0,1] neg_hi:[0,0,1]
	v_mov_b64_e32 v[16:17], 0x3e2fbd643d135fb3
	v_cndmask_b32_e64 v18, 0, 32, vcc_lo
	s_delay_alu instid0(VALU_DEP_3) | instskip(NEXT) | instid1(VALU_DEP_1)
	v_pk_add_f32 v[12:13], v[12:13], v[22:23]
	v_pk_fma_f32 v[14:15], v[10:11], v[12:13], v[14:15] neg_lo:[0,0,1] neg_hi:[0,0,1]
	s_delay_alu instid0(VALU_DEP_1) | instskip(NEXT) | instid1(VALU_DEP_4)
	v_pk_add_f32 v[14:15], v[14:15], v[16:17]
	v_ldexp_f32 v16, v21, v18
	s_delay_alu instid0(VALU_DEP_2) | instskip(NEXT) | instid1(VALU_DEP_2)
	v_pk_fma_f32 v[12:13], v[10:11], v[14:15], v[12:13] neg_lo:[0,0,1] neg_hi:[0,0,1]
	v_log_f32_e32 v8, v16
	s_delay_alu instid0(VALU_DEP_1) | instskip(NEXT) | instid1(VALU_DEP_2)
	v_add_f32_e32 v13, 0xbe9bff5e, v13
	v_add_f32_e32 v12, 0x3eb046c4, v12
	s_delay_alu instid0(TRANS32_DEP_1) | instskip(NEXT) | instid1(VALU_DEP_2)
	v_mul_f32_e32 v16, 0x3f317217, v8
	v_dual_fma_f32 v11, v11, v13, -v15 :: v_dual_mul_f32 v10, v10, v12
	v_cndmask_b32_e64 v13, 0x7f800000, v1, s0
	s_delay_alu instid0(VALU_DEP_3) | instskip(NEXT) | instid1(VALU_DEP_3)
	v_fma_f32 v6, 0x3f317217, v8, -v16
	v_dual_mov_b32 v12, v14 :: v_dual_add_f32 v11, 0x3f2d4275, v11
	v_cndmask_b32_e64 v1, 0, 0x41b17218, vcc_lo
	v_cmp_gt_f32_e64 vcc_lo, 0x7f800000, |v8|
	s_delay_alu instid0(VALU_DEP_4) | instskip(SKIP_2) | instid1(VALU_DEP_3)
	v_fmamk_f32 v18, v8, 0x3377d1cf, v6
	v_mov_b32_e32 v6, 0xbf090b37
	v_pk_add_f32 v[10:11], v[10:11], v[14:15] neg_lo:[0,1] neg_hi:[0,1]
	v_fmac_f32_e32 v18, 0x3f317217, v8
	s_delay_alu instid0(VALU_DEP_2) | instskip(NEXT) | instid1(VALU_DEP_4)
	v_pk_mul_f32 v[16:17], v[10:11], v[8:9]
	v_pk_add_f32 v[10:11], v[10:11], v[6:7]
	s_delay_alu instid0(VALU_DEP_3) | instskip(NEXT) | instid1(VALU_DEP_3)
	v_dual_cndmask_b32 v8, v8, v18, vcc_lo :: v_dual_mov_b32 v18, v9
	v_pk_mul_f32 v[16:17], v[16:17], v[12:13]
	s_delay_alu instid0(VALU_DEP_3) | instskip(NEXT) | instid1(VALU_DEP_2)
	v_pk_add_f32 v[10:11], v[10:11], v[14:15] neg_lo:[0,1] neg_hi:[0,1]
	v_dual_sub_f32 v19, v8, v1 :: v_dual_mov_b32 v11, v17
	s_delay_alu instid0(VALU_DEP_1) | instskip(NEXT) | instid1(VALU_DEP_1)
	v_pk_mul_f32 v[8:9], v[18:19], v[10:11]
	v_sub_f32_e32 v1, v8, v9
	s_delay_alu instid0(VALU_DEP_1)
	v_mul_f32_e32 v6, v13, v1
.LBB15_23:
	s_and_not1_saveexec_b32 s10, s10
	s_cbranch_execz .LBB15_25
; %bb.24:
	v_div_scale_f32 v1, null, v4, v4, 0x41000000
	v_div_scale_f32 v9, vcc_lo, 0x41000000, v4, 0x41000000
	s_mov_b32 s0, 0x22c38d2e
	v_rcp_f32_e32 v6, v1
	v_nop
	s_delay_alu instid0(TRANS32_DEP_1) | instskip(NEXT) | instid1(VALU_DEP_1)
	v_fma_f32 v8, -v1, v6, 1.0
	v_fmac_f32_e32 v6, v8, v6
	s_delay_alu instid0(VALU_DEP_1) | instskip(NEXT) | instid1(VALU_DEP_1)
	v_mul_f32_e32 v8, v9, v6
	v_fma_f32 v10, -v1, v8, v9
	s_delay_alu instid0(VALU_DEP_1) | instskip(NEXT) | instid1(VALU_DEP_1)
	v_fmac_f32_e32 v8, v10, v6
	v_fma_f32 v1, -v1, v8, v9
	v_mul_f32_e32 v9, 0x4f800000, v4
	s_delay_alu instid0(VALU_DEP_2) | instskip(SKIP_1) | instid1(VALU_DEP_2)
	v_div_fmas_f32 v1, v1, v6, v8
	v_cmp_gt_f32_e32 vcc_lo, 0xf800000, v4
	v_div_fixup_f32 v1, v1, v4, 0x41000000
	s_delay_alu instid0(VALU_DEP_4) | instskip(NEXT) | instid1(VALU_DEP_2)
	v_cndmask_b32_e32 v4, v4, v9, vcc_lo
	v_add_f32_e32 v1, -2.0, v1
	s_delay_alu instid0(VALU_DEP_2) | instskip(NEXT) | instid1(VALU_DEP_1)
	v_sqrt_f32_e32 v9, v4
	v_fmaak_f32 v6, s0, v1, 0xa397f665
	s_delay_alu instid0(TRANS32_DEP_1) | instskip(NEXT) | instid1(VALU_DEP_2)
	v_dual_add_nc_u32 v11, 1, v9 :: v_dual_add_nc_u32 v10, -1, v9
	v_fmaak_f32 v8, v1, v6, 0xa2c38d2e
	s_delay_alu instid0(VALU_DEP_2) | instskip(NEXT) | instid1(VALU_DEP_2)
	v_dual_fma_f32 v13, -v11, v9, v4 :: v_dual_fma_f32 v12, -v10, v9, v4
	v_add_f32_e32 v8, 0x24704972, v8
	s_delay_alu instid0(VALU_DEP_2) | instskip(NEXT) | instid1(VALU_DEP_2)
	v_cmp_ge_f32_e64 s0, 0, v12
	v_fma_f32 v6, v1, v8, -v6
	s_delay_alu instid0(VALU_DEP_2) | instskip(NEXT) | instid1(VALU_DEP_2)
	v_cndmask_b32_e64 v9, v9, v10, s0
	v_add_f32_e32 v6, 0xa5417ca4, v6
	v_cmp_lt_f32_e64 s0, 0, v13
	s_delay_alu instid0(VALU_DEP_2) | instskip(NEXT) | instid1(VALU_DEP_2)
	v_fma_f32 v8, v1, v6, -v8
	v_cndmask_b32_e64 v9, v9, v11, s0
	s_delay_alu instid0(VALU_DEP_2) | instskip(NEXT) | instid1(VALU_DEP_1)
	v_add_f32_e32 v8, 0x261edfcb, v8
	v_fma_f32 v6, v1, v8, -v6
	s_delay_alu instid0(VALU_DEP_1) | instskip(NEXT) | instid1(VALU_DEP_1)
	v_add_f32_e32 v6, 0xa7053487, v6
	v_fma_f32 v8, v1, v6, -v8
	s_delay_alu instid0(VALU_DEP_1) | instskip(NEXT) | instid1(VALU_DEP_1)
	;; [unrolled: 3-line block ×19, first 2 shown]
	v_add_f32_e32 v6, 0xbd00cfb9, v6
	v_fma_f32 v1, v1, v6, -v8
	v_mul_f32_e32 v6, 0x37800000, v9
	s_delay_alu instid0(VALU_DEP_1) | instskip(SKIP_1) | instid1(VALU_DEP_2)
	v_dual_add_f32 v1, 0x401c2ded, v1 :: v_dual_cndmask_b32 v6, v9, v6
	v_cmp_class_f32_e64 vcc_lo, v4, 0x260
	v_sub_f32_e32 v1, v1, v8
	s_delay_alu instid0(VALU_DEP_1) | instskip(NEXT) | instid1(VALU_DEP_1)
	v_dual_cndmask_b32 v4, v6, v4 :: v_dual_mul_f32 v1, 0.5, v1
	v_div_scale_f32 v6, null, v4, v4, v1
	s_delay_alu instid0(VALU_DEP_1) | instskip(SKIP_1) | instid1(TRANS32_DEP_1)
	v_rcp_f32_e32 v8, v6
	v_nop
	v_fma_f32 v9, -v6, v8, 1.0
	s_delay_alu instid0(VALU_DEP_1) | instskip(SKIP_1) | instid1(VALU_DEP_1)
	v_fmac_f32_e32 v8, v9, v8
	v_div_scale_f32 v9, vcc_lo, v1, v4, v1
	v_mul_f32_e32 v10, v9, v8
	s_delay_alu instid0(VALU_DEP_1) | instskip(NEXT) | instid1(VALU_DEP_1)
	v_fma_f32 v11, -v6, v10, v9
	v_fmac_f32_e32 v10, v11, v8
	s_delay_alu instid0(VALU_DEP_1) | instskip(NEXT) | instid1(VALU_DEP_1)
	v_fma_f32 v6, -v6, v10, v9
	v_div_fmas_f32 v6, v6, v8, v10
	s_delay_alu instid0(VALU_DEP_1)
	v_div_fixup_f32 v6, v6, v4, v1
.LBB15_25:
	s_or_b32 exec_lo, exec_lo, s10
.LBB15_26:
	s_delay_alu instid0(SALU_CYCLE_1)
	s_or_b32 exec_lo, exec_lo, s9
.LBB15_27:
	s_delay_alu instid0(SALU_CYCLE_1)
	s_or_b32 exec_lo, exec_lo, s1
	s_mov_b32 s1, 0
	s_mov_b32 s9, exec_lo
	v_cmpx_neq_f32_e32 0, v5
	s_cbranch_execz .LBB15_35
; %bb.28:
	v_mov_b32_e32 v7, 0x7fc00000
	s_mov_b32 s10, exec_lo
	v_cmpx_ngt_f32_e32 0, v5
	s_cbranch_execz .LBB15_34
; %bb.29:
	s_mov_b32 s0, exec_lo
	v_cmpx_ge_f32_e32 2.0, v5
	s_xor_b32 s11, exec_lo, s0
	s_cbranch_execz .LBB15_31
; %bb.30:
	v_dual_mov_b32 v4, v5 :: v_dual_mov_b32 v9, 0.5
	s_mov_b32 s0, 0xa2a2e5b9
	v_mov_b32_e32 v8, v5
	v_mov_b64_e32 v[14:15], 0x3ad6e3ac293fd856
	v_mov_b64_e32 v[18:19], 0xbb8db2f12d3612e2
	;; [unrolled: 1-line block ×3, first 2 shown]
	s_delay_alu instid0(VALU_DEP_4) | instskip(NEXT) | instid1(VALU_DEP_1)
	v_pk_fma_f32 v[10:11], v[4:5], v[8:9], -2.0 op_sel_hi:[0,1,0]
	v_fmaak_f32 v1, s0, v11, 0x24199b15
	v_pk_mul_f32 v[20:21], v[4:5], v[8:9] op_sel_hi:[0,1]
	s_delay_alu instid0(VALU_DEP_3) | instskip(SKIP_1) | instid1(VALU_DEP_3)
	v_mul_f32_e32 v16, 0x251e770f, v10
	s_mov_b32 s0, 0xa51e770f
	v_fmaak_f32 v7, v11, v1, 0x22a2e5b9
	s_delay_alu instid0(VALU_DEP_3) | instskip(NEXT) | instid1(VALU_DEP_2)
	v_cmp_gt_f32_e32 vcc_lo, 0x800000, v21
	v_add_f32_e32 v7, 0xa58c275c, v7
	v_cndmask_b32_e64 v8, 0, 32, vcc_lo
	s_delay_alu instid0(VALU_DEP_2) | instskip(NEXT) | instid1(VALU_DEP_2)
	v_fma_f32 v1, v11, v7, -v1
	v_ldexp_f32 v8, v21, v8
	s_delay_alu instid0(VALU_DEP_2) | instskip(NEXT) | instid1(VALU_DEP_1)
	v_add_f32_e32 v1, 0x26f736c5, v1
	v_fma_f32 v7, v11, v1, -v7
	s_delay_alu instid0(VALU_DEP_1) | instskip(NEXT) | instid1(VALU_DEP_1)
	v_add_f32_e32 v7, 0xa8528116, v7
	v_fma_f32 v1, v11, v7, -v1
	s_delay_alu instid0(VALU_DEP_1) | instskip(NEXT) | instid1(VALU_DEP_1)
	v_add_f32_e32 v1, 0x29acda32, v1
	v_fma_f32 v7, v11, v1, -v7
	s_delay_alu instid0(VALU_DEP_1) | instskip(NEXT) | instid1(VALU_DEP_1)
	v_add_f32_e32 v7, 0xab08b263, v7
	v_fma_f32 v1, v11, v7, -v1
	s_delay_alu instid0(VALU_DEP_1) | instskip(NEXT) | instid1(VALU_DEP_1)
	v_add_f32_e32 v1, 0x2c4ff17f, v1
	v_fma_f32 v7, v11, v1, -v7
	s_delay_alu instid0(VALU_DEP_1) | instskip(NEXT) | instid1(VALU_DEP_1)
	v_add_f32_e32 v7, 0xad97e4ac, v7
	v_fma_f32 v1, v11, v7, -v1
	s_delay_alu instid0(VALU_DEP_1) | instskip(NEXT) | instid1(VALU_DEP_1)
	v_add_f32_e32 v1, 0x2ed4c5f6, v1
	v_fma_f32 v7, v11, v1, -v7
	s_delay_alu instid0(VALU_DEP_1) | instskip(NEXT) | instid1(VALU_DEP_1)
	v_add_f32_e32 v7, 0xb00ea7f1, v7
	v_fma_f32 v1, v11, v7, -v1
	s_delay_alu instid0(VALU_DEP_1) | instskip(NEXT) | instid1(VALU_DEP_1)
	v_add_f32_e32 v1, 0x3136c81d, v1
	v_fma_f32 v7, v11, v1, -v7
	s_delay_alu instid0(VALU_DEP_1) | instskip(NEXT) | instid1(VALU_DEP_1)
	v_add_f32_e32 v7, 0xb25f57b4, v7
	v_fma_f32 v1, v11, v7, -v1
	s_delay_alu instid0(VALU_DEP_1) | instskip(NEXT) | instid1(VALU_DEP_1)
	v_add_f32_e32 v1, 0x3381dbb5, v1
	v_fma_f32 v7, v11, v1, -v7
	s_delay_alu instid0(VALU_DEP_1) | instskip(NEXT) | instid1(VALU_DEP_1)
	v_add_f32_e32 v7, 0xb48f631c, v7
	v_fma_f32 v1, v11, v7, -v1
	s_delay_alu instid0(VALU_DEP_1) | instskip(NEXT) | instid1(VALU_DEP_1)
	v_add_f32_e32 v1, 0x3595f925, v1
	v_fma_f32 v7, v11, v1, -v7
	s_delay_alu instid0(VALU_DEP_1) | instskip(NEXT) | instid1(VALU_DEP_1)
	v_add_f32_e32 v7, 0xb694337e, v7
	v_fma_f32 v1, v11, v7, -v1
	s_delay_alu instid0(VALU_DEP_1) | instskip(NEXT) | instid1(VALU_DEP_1)
	v_add_f32_e32 v1, 0x3789fac6, v1
	v_fma_f32 v7, v11, v1, -v7
	s_delay_alu instid0(VALU_DEP_1) | instskip(NEXT) | instid1(VALU_DEP_1)
	v_add_f32_e32 v7, 0xb8715933, v7
	v_fma_f32 v1, v11, v7, -v1
	s_delay_alu instid0(VALU_DEP_1) | instskip(NEXT) | instid1(VALU_DEP_1)
	v_add_f32_e32 v1, 0x3945a8dc, v1
	v_fma_f32 v7, v11, v1, -v7
	s_delay_alu instid0(VALU_DEP_1) | instskip(NEXT) | instid1(VALU_DEP_1)
	v_add_f32_e32 v13, 0xba1717e9, v7
	v_fma_f32 v17, v11, v13, -v1
	v_mul_f32_e32 v1, 0x3fb8aa3b, v5
	s_delay_alu instid0(VALU_DEP_1) | instskip(SKIP_1) | instid1(VALU_DEP_2)
	v_rndne_f32_e32 v4, v1
	v_fma_f32 v7, 0x3fb8aa3b, v5, -v1
	v_sub_f32_e32 v1, v1, v4
	s_delay_alu instid0(VALU_DEP_2) | instskip(SKIP_1) | instid1(VALU_DEP_2)
	v_fmamk_f32 v7, v5, 0x32a5705f, v7
	v_cvt_i32_f32_e32 v4, v4
	v_add_f32_e32 v1, v1, v7
	v_pk_add_f32 v[14:15], v[16:17], v[14:15]
	v_log_f32_e32 v7, v8
	v_mov_b32_e32 v12, 0xa51e770f
	v_mov_b64_e32 v[16:17], s[0:1]
	v_exp_f32_e32 v1, v1
	v_cmp_ngt_f32_e64 s0, 0xc2ce8ed0, v5
	s_delay_alu instid0(VALU_DEP_3) | instskip(NEXT) | instid1(VALU_DEP_3)
	v_pk_fma_f32 v[12:13], v[10:11], v[14:15], v[12:13] neg_lo:[0,0,1] neg_hi:[0,0,1]
	v_pk_fma_f32 v[16:17], v[10:11], v[14:15], v[16:17]
	s_delay_alu instid0(TRANS32_DEP_1) | instskip(NEXT) | instid1(VALU_DEP_1)
	v_ldexp_f32 v1, v1, v4
	v_dual_mov_b32 v17, v13 :: v_dual_cndmask_b32 v1, 0, v1, s0
	s_delay_alu instid0(VALU_DEP_1) | instskip(SKIP_3) | instid1(VALU_DEP_4)
	v_pk_add_f32 v[12:13], v[16:17], v[18:19]
	v_mov_b64_e32 v[16:17], 0x3c2ccb103102e09b
	v_mov_b64_e32 v[18:19], 0xc000000037bfc808
	v_cmp_nlt_f32_e64 s0, 0x42b17218, v5
	v_pk_fma_f32 v[14:15], v[10:11], v[12:13], v[14:15] neg_lo:[0,0,1] neg_hi:[0,0,1]
	s_delay_alu instid0(VALU_DEP_1) | instskip(SKIP_1) | instid1(VALU_DEP_2)
	v_pk_add_f32 v[14:15], v[14:15], v[16:17]
	v_mov_b64_e32 v[16:17], 0xbcc274f8348815e7
	v_pk_fma_f32 v[12:13], v[10:11], v[14:15], v[12:13] neg_lo:[0,0,1] neg_hi:[0,0,1]
	s_delay_alu instid0(VALU_DEP_1) | instskip(SKIP_1) | instid1(VALU_DEP_2)
	v_pk_add_f32 v[12:13], v[12:13], v[16:17]
	v_mov_b64_e32 v[16:17], 0x3d49f45637bfc808
	v_pk_fma_f32 v[14:15], v[10:11], v[12:13], v[14:15] neg_lo:[0,0,1] neg_hi:[0,0,1]
	s_delay_alu instid0(VALU_DEP_1) | instskip(NEXT) | instid1(VALU_DEP_2)
	v_mov_b32_e32 v20, v14
	v_pk_add_f32 v[14:15], v[14:15], v[16:17]
	v_mov_b32_e32 v16, v10
	s_delay_alu instid0(VALU_DEP_3) | instskip(NEXT) | instid1(VALU_DEP_3)
	v_pk_add_f32 v[18:19], v[20:21], v[18:19]
	v_mov_b32_e32 v17, v15
	s_delay_alu instid0(VALU_DEP_1) | instskip(SKIP_1) | instid1(VALU_DEP_2)
	v_pk_fma_f32 v[12:13], v[18:19], v[16:17], v[12:13] neg_lo:[0,0,1] neg_hi:[0,0,1]
	v_mov_b64_e32 v[16:17], 0x3e2fbd643d135fb3
	v_pk_add_f32 v[12:13], v[12:13], v[22:23]
	s_delay_alu instid0(VALU_DEP_1) | instskip(NEXT) | instid1(VALU_DEP_1)
	v_pk_fma_f32 v[14:15], v[10:11], v[12:13], v[14:15] neg_lo:[0,0,1] neg_hi:[0,0,1]
	v_pk_add_f32 v[14:15], v[14:15], v[16:17]
	s_delay_alu instid0(VALU_DEP_1) | instskip(NEXT) | instid1(VALU_DEP_1)
	v_pk_fma_f32 v[12:13], v[10:11], v[14:15], v[12:13] neg_lo:[0,0,1] neg_hi:[0,0,1]
	v_add_f32_e32 v8, 0xbe9bff5e, v13
	v_mul_f32_e32 v13, 0x3f317217, v7
	s_delay_alu instid0(VALU_DEP_2) | instskip(NEXT) | instid1(VALU_DEP_2)
	v_fma_f32 v8, v11, v8, -v15
	v_fma_f32 v4, 0x3f317217, v7, -v13
	v_cndmask_b32_e64 v13, 0x7f800000, v1, s0
	v_cndmask_b32_e64 v1, 0, 0x41b17218, vcc_lo
	v_cmp_gt_f32_e64 vcc_lo, 0x7f800000, |v7|
	v_add_f32_e32 v11, 0x3f2d4275, v8
	v_fmamk_f32 v8, v7, 0x3377d1cf, v4
	v_mov_b32_e32 v4, 0xbf090b37
	s_delay_alu instid0(VALU_DEP_2) | instskip(NEXT) | instid1(VALU_DEP_1)
	v_fmac_f32_e32 v8, 0x3f317217, v7
	v_cndmask_b32_e32 v7, v7, v8, vcc_lo
	v_add_f32_e32 v12, 0x3eb046c4, v12
	s_delay_alu instid0(VALU_DEP_1) | instskip(SKIP_1) | instid1(VALU_DEP_2)
	v_mul_f32_e32 v10, v10, v12
	v_mov_b32_e32 v12, v14
	v_pk_add_f32 v[10:11], v[10:11], v[14:15] neg_lo:[0,1] neg_hi:[0,1]
	s_delay_alu instid0(VALU_DEP_1) | instskip(SKIP_1) | instid1(VALU_DEP_2)
	v_pk_mul_f32 v[16:17], v[10:11], v[8:9]
	v_pk_add_f32 v[4:5], v[10:11], v[4:5]
	v_pk_mul_f32 v[10:11], v[16:17], v[12:13]
	s_delay_alu instid0(VALU_DEP_2) | instskip(SKIP_1) | instid1(VALU_DEP_3)
	v_pk_add_f32 v[4:5], v[4:5], v[14:15] neg_lo:[0,1] neg_hi:[0,1]
	v_dual_sub_f32 v17, v7, v1 :: v_dual_mov_b32 v16, v9
	v_mov_b32_e32 v5, v11
	s_delay_alu instid0(VALU_DEP_1) | instskip(NEXT) | instid1(VALU_DEP_1)
	v_pk_mul_f32 v[4:5], v[16:17], v[4:5]
	v_sub_f32_e32 v1, v4, v5
                                        ; implicit-def: $vgpr4_vgpr5
	s_delay_alu instid0(VALU_DEP_1)
	v_mul_f32_e32 v7, v13, v1
.LBB15_31:
	s_and_not1_saveexec_b32 s11, s11
	s_cbranch_execz .LBB15_33
; %bb.32:
	v_div_scale_f32 v1, null, v5, v5, 0x41000000
	v_div_scale_f32 v8, vcc_lo, 0x41000000, v5, 0x41000000
	s_mov_b32 s0, 0x22c38d2e
	v_rcp_f32_e32 v4, v1
	v_nop
	s_delay_alu instid0(TRANS32_DEP_1) | instskip(NEXT) | instid1(VALU_DEP_1)
	v_fma_f32 v7, -v1, v4, 1.0
	v_fmac_f32_e32 v4, v7, v4
	s_delay_alu instid0(VALU_DEP_1) | instskip(NEXT) | instid1(VALU_DEP_1)
	v_mul_f32_e32 v7, v8, v4
	v_fma_f32 v9, -v1, v7, v8
	s_delay_alu instid0(VALU_DEP_1) | instskip(NEXT) | instid1(VALU_DEP_1)
	v_fmac_f32_e32 v7, v9, v4
	v_fma_f32 v1, -v1, v7, v8
	v_mul_f32_e32 v8, 0x4f800000, v5
	s_delay_alu instid0(VALU_DEP_2) | instskip(SKIP_1) | instid1(VALU_DEP_2)
	v_div_fmas_f32 v1, v1, v4, v7
	v_cmp_gt_f32_e32 vcc_lo, 0xf800000, v5
	v_div_fixup_f32 v1, v1, v5, 0x41000000
	s_delay_alu instid0(VALU_DEP_1) | instskip(NEXT) | instid1(VALU_DEP_1)
	v_dual_cndmask_b32 v5, v5, v8, vcc_lo :: v_dual_add_f32 v1, -2.0, v1
	v_sqrt_f32_e32 v8, v5
	v_nop
	s_delay_alu instid0(TRANS32_DEP_1) | instskip(NEXT) | instid1(VALU_DEP_1)
	v_dual_fmaak_f32 v4, s0, v1, 0xa397f665 :: v_dual_add_nc_u32 v9, -1, v8
	v_dual_add_nc_u32 v10, 1, v8 :: v_dual_fma_f32 v11, -v9, v8, v5
	s_delay_alu instid0(VALU_DEP_1) | instskip(NEXT) | instid1(VALU_DEP_1)
	v_cmp_ge_f32_e64 s0, 0, v11
	v_dual_fma_f32 v12, -v10, v8, v5 :: v_dual_cndmask_b32 v8, v8, v9, s0
	s_delay_alu instid0(VALU_DEP_1) | instskip(NEXT) | instid1(VALU_DEP_1)
	v_cmp_lt_f32_e64 s0, 0, v12
	v_cndmask_b32_e64 v8, v8, v10, s0
	v_fmaak_f32 v7, v1, v4, 0xa2c38d2e
	s_delay_alu instid0(VALU_DEP_1) | instskip(NEXT) | instid1(VALU_DEP_1)
	v_add_f32_e32 v7, 0x24704972, v7
	v_fma_f32 v4, v1, v7, -v4
	s_delay_alu instid0(VALU_DEP_1) | instskip(NEXT) | instid1(VALU_DEP_1)
	v_add_f32_e32 v4, 0xa5417ca4, v4
	v_fma_f32 v7, v1, v4, -v7
	;; [unrolled: 3-line block ×22, first 2 shown]
	v_mul_f32_e32 v4, 0x37800000, v8
	s_delay_alu instid0(VALU_DEP_1) | instskip(SKIP_1) | instid1(VALU_DEP_2)
	v_dual_add_f32 v1, 0x401c2ded, v1 :: v_dual_cndmask_b32 v4, v8, v4
	v_cmp_class_f32_e64 vcc_lo, v5, 0x260
	v_dual_sub_f32 v1, v1, v7 :: v_dual_cndmask_b32 v4, v4, v5
	s_delay_alu instid0(VALU_DEP_1) | instskip(NEXT) | instid1(VALU_DEP_1)
	v_mul_f32_e32 v1, 0.5, v1
	v_div_scale_f32 v5, null, v4, v4, v1
	s_delay_alu instid0(VALU_DEP_1) | instskip(SKIP_1) | instid1(TRANS32_DEP_1)
	v_rcp_f32_e32 v7, v5
	v_nop
	v_fma_f32 v8, -v5, v7, 1.0
	s_delay_alu instid0(VALU_DEP_1) | instskip(SKIP_1) | instid1(VALU_DEP_1)
	v_fmac_f32_e32 v7, v8, v7
	v_div_scale_f32 v8, vcc_lo, v1, v4, v1
	v_mul_f32_e32 v9, v8, v7
	s_delay_alu instid0(VALU_DEP_1) | instskip(NEXT) | instid1(VALU_DEP_1)
	v_fma_f32 v10, -v5, v9, v8
	v_fmac_f32_e32 v9, v10, v7
	s_delay_alu instid0(VALU_DEP_1) | instskip(NEXT) | instid1(VALU_DEP_1)
	v_fma_f32 v5, -v5, v9, v8
	v_div_fmas_f32 v5, v5, v7, v9
	s_delay_alu instid0(VALU_DEP_1)
	v_div_fixup_f32 v7, v5, v4, v1
.LBB15_33:
	s_or_b32 exec_lo, exec_lo, s11
.LBB15_34:
	s_delay_alu instid0(SALU_CYCLE_1)
	s_or_b32 exec_lo, exec_lo, s10
.LBB15_35:
	s_delay_alu instid0(SALU_CYCLE_1)
	s_or_b32 exec_lo, exec_lo, s9
	s_add_nc_u64 s[2:3], s[4:5], s[2:3]
	s_clause 0x1
	global_store_b64 v0, v[2:3], s[2:3] scale_offset
	global_store_b64 v0, v[6:7], s[2:3] offset:2048 scale_offset
	s_and_b32 vcc_lo, exec_lo, s1
	s_cbranch_vccz .LBB15_2
.LBB15_36:
	s_wait_xcnt 0x0
	v_dual_mov_b32 v31, v0 :: v_dual_mov_b32 v0, s4
	v_dual_mov_b32 v1, s5 :: v_dual_mov_b32 v2, s6
	;; [unrolled: 1-line block ×3, first 2 shown]
	s_get_pc_i64 s[0:1]
	s_add_nc_u64 s[0:1], s[0:1], _ZN2at6native25elementwise_kernel_helperILb0EZZZNS0_12_GLOBAL__N_137scaled_modified_bessel_k0_kernel_cudaERNS_18TensorIteratorBaseEENKUlvE_clEvENKUlvE0_clEvEUlfE_NS0_6memory8policies11unroll_baseILi256ESt5arrayIPcLm2EE23TrivialOffsetCalculatorILi1EjESF_NS8_15LoadWithoutCastENS8_16StoreWithoutCastELi4ELi1EEEEEvT0_T1_@rel64+4
	s_delay_alu instid0(SALU_CYCLE_1)
	s_swap_pc_i64 s[30:31], s[0:1]
	s_endpgm
	.section	.rodata,"a",@progbits
	.p2align	6, 0x0
	.amdhsa_kernel _ZN2at6native29vectorized_elementwise_kernelILi2EZZZNS0_12_GLOBAL__N_137scaled_modified_bessel_k0_kernel_cudaERNS_18TensorIteratorBaseEENKUlvE_clEvENKUlvE0_clEvEUlfE_St5arrayIPcLm2EEEEviT0_T1_
		.amdhsa_group_segment_fixed_size 0
		.amdhsa_private_segment_fixed_size 0
		.amdhsa_kernarg_size 24
		.amdhsa_user_sgpr_count 2
		.amdhsa_user_sgpr_dispatch_ptr 0
		.amdhsa_user_sgpr_queue_ptr 0
		.amdhsa_user_sgpr_kernarg_segment_ptr 1
		.amdhsa_user_sgpr_dispatch_id 0
		.amdhsa_user_sgpr_kernarg_preload_length 0
		.amdhsa_user_sgpr_kernarg_preload_offset 0
		.amdhsa_user_sgpr_private_segment_size 0
		.amdhsa_wavefront_size32 1
		.amdhsa_uses_dynamic_stack 0
		.amdhsa_enable_private_segment 0
		.amdhsa_system_sgpr_workgroup_id_x 1
		.amdhsa_system_sgpr_workgroup_id_y 0
		.amdhsa_system_sgpr_workgroup_id_z 0
		.amdhsa_system_sgpr_workgroup_info 0
		.amdhsa_system_vgpr_workitem_id 0
		.amdhsa_next_free_vgpr 32
		.amdhsa_next_free_sgpr 33
		.amdhsa_named_barrier_count 0
		.amdhsa_reserve_vcc 1
		.amdhsa_float_round_mode_32 0
		.amdhsa_float_round_mode_16_64 0
		.amdhsa_float_denorm_mode_32 3
		.amdhsa_float_denorm_mode_16_64 3
		.amdhsa_fp16_overflow 0
		.amdhsa_memory_ordered 1
		.amdhsa_forward_progress 1
		.amdhsa_inst_pref_size 65
		.amdhsa_round_robin_scheduling 0
		.amdhsa_exception_fp_ieee_invalid_op 0
		.amdhsa_exception_fp_denorm_src 0
		.amdhsa_exception_fp_ieee_div_zero 0
		.amdhsa_exception_fp_ieee_overflow 0
		.amdhsa_exception_fp_ieee_underflow 0
		.amdhsa_exception_fp_ieee_inexact 0
		.amdhsa_exception_int_div_zero 0
	.end_amdhsa_kernel
	.section	.text._ZN2at6native29vectorized_elementwise_kernelILi2EZZZNS0_12_GLOBAL__N_137scaled_modified_bessel_k0_kernel_cudaERNS_18TensorIteratorBaseEENKUlvE_clEvENKUlvE0_clEvEUlfE_St5arrayIPcLm2EEEEviT0_T1_,"axG",@progbits,_ZN2at6native29vectorized_elementwise_kernelILi2EZZZNS0_12_GLOBAL__N_137scaled_modified_bessel_k0_kernel_cudaERNS_18TensorIteratorBaseEENKUlvE_clEvENKUlvE0_clEvEUlfE_St5arrayIPcLm2EEEEviT0_T1_,comdat
.Lfunc_end15:
	.size	_ZN2at6native29vectorized_elementwise_kernelILi2EZZZNS0_12_GLOBAL__N_137scaled_modified_bessel_k0_kernel_cudaERNS_18TensorIteratorBaseEENKUlvE_clEvENKUlvE0_clEvEUlfE_St5arrayIPcLm2EEEEviT0_T1_, .Lfunc_end15-_ZN2at6native29vectorized_elementwise_kernelILi2EZZZNS0_12_GLOBAL__N_137scaled_modified_bessel_k0_kernel_cudaERNS_18TensorIteratorBaseEENKUlvE_clEvENKUlvE0_clEvEUlfE_St5arrayIPcLm2EEEEviT0_T1_
                                        ; -- End function
	.set _ZN2at6native29vectorized_elementwise_kernelILi2EZZZNS0_12_GLOBAL__N_137scaled_modified_bessel_k0_kernel_cudaERNS_18TensorIteratorBaseEENKUlvE_clEvENKUlvE0_clEvEUlfE_St5arrayIPcLm2EEEEviT0_T1_.num_vgpr, max(32, .L_ZN2at6native25elementwise_kernel_helperILb0EZZZNS0_12_GLOBAL__N_137scaled_modified_bessel_k0_kernel_cudaERNS_18TensorIteratorBaseEENKUlvE_clEvENKUlvE0_clEvEUlfE_NS0_6memory8policies11unroll_baseILi256ESt5arrayIPcLm2EE23TrivialOffsetCalculatorILi1EjESF_NS8_15LoadWithoutCastENS8_16StoreWithoutCastELi4ELi1EEEEEvT0_T1_.num_vgpr)
	.set _ZN2at6native29vectorized_elementwise_kernelILi2EZZZNS0_12_GLOBAL__N_137scaled_modified_bessel_k0_kernel_cudaERNS_18TensorIteratorBaseEENKUlvE_clEvENKUlvE0_clEvEUlfE_St5arrayIPcLm2EEEEviT0_T1_.num_agpr, max(0, .L_ZN2at6native25elementwise_kernel_helperILb0EZZZNS0_12_GLOBAL__N_137scaled_modified_bessel_k0_kernel_cudaERNS_18TensorIteratorBaseEENKUlvE_clEvENKUlvE0_clEvEUlfE_NS0_6memory8policies11unroll_baseILi256ESt5arrayIPcLm2EE23TrivialOffsetCalculatorILi1EjESF_NS8_15LoadWithoutCastENS8_16StoreWithoutCastELi4ELi1EEEEEvT0_T1_.num_agpr)
	.set _ZN2at6native29vectorized_elementwise_kernelILi2EZZZNS0_12_GLOBAL__N_137scaled_modified_bessel_k0_kernel_cudaERNS_18TensorIteratorBaseEENKUlvE_clEvENKUlvE0_clEvEUlfE_St5arrayIPcLm2EEEEviT0_T1_.numbered_sgpr, max(33, .L_ZN2at6native25elementwise_kernel_helperILb0EZZZNS0_12_GLOBAL__N_137scaled_modified_bessel_k0_kernel_cudaERNS_18TensorIteratorBaseEENKUlvE_clEvENKUlvE0_clEvEUlfE_NS0_6memory8policies11unroll_baseILi256ESt5arrayIPcLm2EE23TrivialOffsetCalculatorILi1EjESF_NS8_15LoadWithoutCastENS8_16StoreWithoutCastELi4ELi1EEEEEvT0_T1_.numbered_sgpr)
	.set _ZN2at6native29vectorized_elementwise_kernelILi2EZZZNS0_12_GLOBAL__N_137scaled_modified_bessel_k0_kernel_cudaERNS_18TensorIteratorBaseEENKUlvE_clEvENKUlvE0_clEvEUlfE_St5arrayIPcLm2EEEEviT0_T1_.num_named_barrier, max(0, .L_ZN2at6native25elementwise_kernel_helperILb0EZZZNS0_12_GLOBAL__N_137scaled_modified_bessel_k0_kernel_cudaERNS_18TensorIteratorBaseEENKUlvE_clEvENKUlvE0_clEvEUlfE_NS0_6memory8policies11unroll_baseILi256ESt5arrayIPcLm2EE23TrivialOffsetCalculatorILi1EjESF_NS8_15LoadWithoutCastENS8_16StoreWithoutCastELi4ELi1EEEEEvT0_T1_.num_named_barrier)
	.set _ZN2at6native29vectorized_elementwise_kernelILi2EZZZNS0_12_GLOBAL__N_137scaled_modified_bessel_k0_kernel_cudaERNS_18TensorIteratorBaseEENKUlvE_clEvENKUlvE0_clEvEUlfE_St5arrayIPcLm2EEEEviT0_T1_.private_seg_size, 0+max(.L_ZN2at6native25elementwise_kernel_helperILb0EZZZNS0_12_GLOBAL__N_137scaled_modified_bessel_k0_kernel_cudaERNS_18TensorIteratorBaseEENKUlvE_clEvENKUlvE0_clEvEUlfE_NS0_6memory8policies11unroll_baseILi256ESt5arrayIPcLm2EE23TrivialOffsetCalculatorILi1EjESF_NS8_15LoadWithoutCastENS8_16StoreWithoutCastELi4ELi1EEEEEvT0_T1_.private_seg_size)
	.set _ZN2at6native29vectorized_elementwise_kernelILi2EZZZNS0_12_GLOBAL__N_137scaled_modified_bessel_k0_kernel_cudaERNS_18TensorIteratorBaseEENKUlvE_clEvENKUlvE0_clEvEUlfE_St5arrayIPcLm2EEEEviT0_T1_.uses_vcc, or(1, .L_ZN2at6native25elementwise_kernel_helperILb0EZZZNS0_12_GLOBAL__N_137scaled_modified_bessel_k0_kernel_cudaERNS_18TensorIteratorBaseEENKUlvE_clEvENKUlvE0_clEvEUlfE_NS0_6memory8policies11unroll_baseILi256ESt5arrayIPcLm2EE23TrivialOffsetCalculatorILi1EjESF_NS8_15LoadWithoutCastENS8_16StoreWithoutCastELi4ELi1EEEEEvT0_T1_.uses_vcc)
	.set _ZN2at6native29vectorized_elementwise_kernelILi2EZZZNS0_12_GLOBAL__N_137scaled_modified_bessel_k0_kernel_cudaERNS_18TensorIteratorBaseEENKUlvE_clEvENKUlvE0_clEvEUlfE_St5arrayIPcLm2EEEEviT0_T1_.uses_flat_scratch, or(0, .L_ZN2at6native25elementwise_kernel_helperILb0EZZZNS0_12_GLOBAL__N_137scaled_modified_bessel_k0_kernel_cudaERNS_18TensorIteratorBaseEENKUlvE_clEvENKUlvE0_clEvEUlfE_NS0_6memory8policies11unroll_baseILi256ESt5arrayIPcLm2EE23TrivialOffsetCalculatorILi1EjESF_NS8_15LoadWithoutCastENS8_16StoreWithoutCastELi4ELi1EEEEEvT0_T1_.uses_flat_scratch)
	.set _ZN2at6native29vectorized_elementwise_kernelILi2EZZZNS0_12_GLOBAL__N_137scaled_modified_bessel_k0_kernel_cudaERNS_18TensorIteratorBaseEENKUlvE_clEvENKUlvE0_clEvEUlfE_St5arrayIPcLm2EEEEviT0_T1_.has_dyn_sized_stack, or(0, .L_ZN2at6native25elementwise_kernel_helperILb0EZZZNS0_12_GLOBAL__N_137scaled_modified_bessel_k0_kernel_cudaERNS_18TensorIteratorBaseEENKUlvE_clEvENKUlvE0_clEvEUlfE_NS0_6memory8policies11unroll_baseILi256ESt5arrayIPcLm2EE23TrivialOffsetCalculatorILi1EjESF_NS8_15LoadWithoutCastENS8_16StoreWithoutCastELi4ELi1EEEEEvT0_T1_.has_dyn_sized_stack)
	.set _ZN2at6native29vectorized_elementwise_kernelILi2EZZZNS0_12_GLOBAL__N_137scaled_modified_bessel_k0_kernel_cudaERNS_18TensorIteratorBaseEENKUlvE_clEvENKUlvE0_clEvEUlfE_St5arrayIPcLm2EEEEviT0_T1_.has_recursion, or(0, .L_ZN2at6native25elementwise_kernel_helperILb0EZZZNS0_12_GLOBAL__N_137scaled_modified_bessel_k0_kernel_cudaERNS_18TensorIteratorBaseEENKUlvE_clEvENKUlvE0_clEvEUlfE_NS0_6memory8policies11unroll_baseILi256ESt5arrayIPcLm2EE23TrivialOffsetCalculatorILi1EjESF_NS8_15LoadWithoutCastENS8_16StoreWithoutCastELi4ELi1EEEEEvT0_T1_.has_recursion)
	.set _ZN2at6native29vectorized_elementwise_kernelILi2EZZZNS0_12_GLOBAL__N_137scaled_modified_bessel_k0_kernel_cudaERNS_18TensorIteratorBaseEENKUlvE_clEvENKUlvE0_clEvEUlfE_St5arrayIPcLm2EEEEviT0_T1_.has_indirect_call, or(0, .L_ZN2at6native25elementwise_kernel_helperILb0EZZZNS0_12_GLOBAL__N_137scaled_modified_bessel_k0_kernel_cudaERNS_18TensorIteratorBaseEENKUlvE_clEvENKUlvE0_clEvEUlfE_NS0_6memory8policies11unroll_baseILi256ESt5arrayIPcLm2EE23TrivialOffsetCalculatorILi1EjESF_NS8_15LoadWithoutCastENS8_16StoreWithoutCastELi4ELi1EEEEEvT0_T1_.has_indirect_call)
	.section	.AMDGPU.csdata,"",@progbits
; Kernel info:
; codeLenInByte = 8288
; TotalNumSgprs: 35
; NumVgprs: 32
; ScratchSize: 0
; MemoryBound: 0
; FloatMode: 240
; IeeeMode: 1
; LDSByteSize: 0 bytes/workgroup (compile time only)
; SGPRBlocks: 0
; VGPRBlocks: 1
; NumSGPRsForWavesPerEU: 35
; NumVGPRsForWavesPerEU: 32
; NamedBarCnt: 0
; Occupancy: 16
; WaveLimiterHint : 1
; COMPUTE_PGM_RSRC2:SCRATCH_EN: 0
; COMPUTE_PGM_RSRC2:USER_SGPR: 2
; COMPUTE_PGM_RSRC2:TRAP_HANDLER: 0
; COMPUTE_PGM_RSRC2:TGID_X_EN: 1
; COMPUTE_PGM_RSRC2:TGID_Y_EN: 0
; COMPUTE_PGM_RSRC2:TGID_Z_EN: 0
; COMPUTE_PGM_RSRC2:TIDIG_COMP_CNT: 0
	.section	.text._ZN2at6native27unrolled_elementwise_kernelIZZZNS0_12_GLOBAL__N_137scaled_modified_bessel_k0_kernel_cudaERNS_18TensorIteratorBaseEENKUlvE_clEvENKUlvE0_clEvEUlfE_St5arrayIPcLm2EELi4E23TrivialOffsetCalculatorILi1EjESC_NS0_6memory15LoadWithoutCastENSD_16StoreWithoutCastEEEviT_T0_T2_T3_T4_T5_,"axG",@progbits,_ZN2at6native27unrolled_elementwise_kernelIZZZNS0_12_GLOBAL__N_137scaled_modified_bessel_k0_kernel_cudaERNS_18TensorIteratorBaseEENKUlvE_clEvENKUlvE0_clEvEUlfE_St5arrayIPcLm2EELi4E23TrivialOffsetCalculatorILi1EjESC_NS0_6memory15LoadWithoutCastENSD_16StoreWithoutCastEEEviT_T0_T2_T3_T4_T5_,comdat
	.globl	_ZN2at6native27unrolled_elementwise_kernelIZZZNS0_12_GLOBAL__N_137scaled_modified_bessel_k0_kernel_cudaERNS_18TensorIteratorBaseEENKUlvE_clEvENKUlvE0_clEvEUlfE_St5arrayIPcLm2EELi4E23TrivialOffsetCalculatorILi1EjESC_NS0_6memory15LoadWithoutCastENSD_16StoreWithoutCastEEEviT_T0_T2_T3_T4_T5_ ; -- Begin function _ZN2at6native27unrolled_elementwise_kernelIZZZNS0_12_GLOBAL__N_137scaled_modified_bessel_k0_kernel_cudaERNS_18TensorIteratorBaseEENKUlvE_clEvENKUlvE0_clEvEUlfE_St5arrayIPcLm2EELi4E23TrivialOffsetCalculatorILi1EjESC_NS0_6memory15LoadWithoutCastENSD_16StoreWithoutCastEEEviT_T0_T2_T3_T4_T5_
	.p2align	8
	.type	_ZN2at6native27unrolled_elementwise_kernelIZZZNS0_12_GLOBAL__N_137scaled_modified_bessel_k0_kernel_cudaERNS_18TensorIteratorBaseEENKUlvE_clEvENKUlvE0_clEvEUlfE_St5arrayIPcLm2EELi4E23TrivialOffsetCalculatorILi1EjESC_NS0_6memory15LoadWithoutCastENSD_16StoreWithoutCastEEEviT_T0_T2_T3_T4_T5_,@function
_ZN2at6native27unrolled_elementwise_kernelIZZZNS0_12_GLOBAL__N_137scaled_modified_bessel_k0_kernel_cudaERNS_18TensorIteratorBaseEENKUlvE_clEvENKUlvE0_clEvEUlfE_St5arrayIPcLm2EELi4E23TrivialOffsetCalculatorILi1EjESC_NS0_6memory15LoadWithoutCastENSD_16StoreWithoutCastEEEviT_T0_T2_T3_T4_T5_: ; @_ZN2at6native27unrolled_elementwise_kernelIZZZNS0_12_GLOBAL__N_137scaled_modified_bessel_k0_kernel_cudaERNS_18TensorIteratorBaseEENKUlvE_clEvENKUlvE0_clEvEUlfE_St5arrayIPcLm2EELi4E23TrivialOffsetCalculatorILi1EjESC_NS0_6memory15LoadWithoutCastENSD_16StoreWithoutCastEEEviT_T0_T2_T3_T4_T5_
; %bb.0:
	s_clause 0x1
	s_load_b32 s2, s[0:1], 0x0
	s_load_b128 s[4:7], s[0:1], 0x8
	s_wait_xcnt 0x0
	s_bfe_u32 s0, ttmp6, 0x4000c
	s_and_b32 s1, ttmp6, 15
	s_add_co_i32 s0, s0, 1
	s_getreg_b32 s3, hwreg(HW_REG_IB_STS2, 6, 4)
	s_mul_i32 s0, ttmp9, s0
	v_mov_b32_e32 v31, v0
	s_add_co_i32 s1, s1, s0
	s_cmp_eq_u32 s3, 0
	s_mov_b32 s32, 0
	s_cselect_b32 s3, ttmp9, s1
	s_get_pc_i64 s[0:1]
	s_add_nc_u64 s[0:1], s[0:1], _ZN2at6native25elementwise_kernel_helperILb0EZZZNS0_12_GLOBAL__N_137scaled_modified_bessel_k0_kernel_cudaERNS_18TensorIteratorBaseEENKUlvE_clEvENKUlvE0_clEvEUlfE_NS0_6memory8policies11unroll_baseILi256ESt5arrayIPcLm2EE23TrivialOffsetCalculatorILi1EjESF_NS8_15LoadWithoutCastENS8_16StoreWithoutCastELi4ELi1EEEEEvT0_T1_@rel64+4
	s_lshl_b32 s3, s3, 10
	s_wait_kmcnt 0x0
	s_sub_co_i32 s2, s2, s3
	v_dual_mov_b32 v0, s4 :: v_dual_mov_b32 v1, s5
	v_dual_mov_b32 v2, s6 :: v_dual_mov_b32 v3, s7
	v_mov_b32_e32 v4, s2
	s_swap_pc_i64 s[30:31], s[0:1]
	s_endpgm
	.section	.rodata,"a",@progbits
	.p2align	6, 0x0
	.amdhsa_kernel _ZN2at6native27unrolled_elementwise_kernelIZZZNS0_12_GLOBAL__N_137scaled_modified_bessel_k0_kernel_cudaERNS_18TensorIteratorBaseEENKUlvE_clEvENKUlvE0_clEvEUlfE_St5arrayIPcLm2EELi4E23TrivialOffsetCalculatorILi1EjESC_NS0_6memory15LoadWithoutCastENSD_16StoreWithoutCastEEEviT_T0_T2_T3_T4_T5_
		.amdhsa_group_segment_fixed_size 0
		.amdhsa_private_segment_fixed_size 0
		.amdhsa_kernarg_size 28
		.amdhsa_user_sgpr_count 2
		.amdhsa_user_sgpr_dispatch_ptr 0
		.amdhsa_user_sgpr_queue_ptr 0
		.amdhsa_user_sgpr_kernarg_segment_ptr 1
		.amdhsa_user_sgpr_dispatch_id 0
		.amdhsa_user_sgpr_kernarg_preload_length 0
		.amdhsa_user_sgpr_kernarg_preload_offset 0
		.amdhsa_user_sgpr_private_segment_size 0
		.amdhsa_wavefront_size32 1
		.amdhsa_uses_dynamic_stack 0
		.amdhsa_enable_private_segment 0
		.amdhsa_system_sgpr_workgroup_id_x 1
		.amdhsa_system_sgpr_workgroup_id_y 0
		.amdhsa_system_sgpr_workgroup_id_z 0
		.amdhsa_system_sgpr_workgroup_info 0
		.amdhsa_system_vgpr_workitem_id 0
		.amdhsa_next_free_vgpr 32
		.amdhsa_next_free_sgpr 33
		.amdhsa_named_barrier_count 0
		.amdhsa_reserve_vcc 1
		.amdhsa_float_round_mode_32 0
		.amdhsa_float_round_mode_16_64 0
		.amdhsa_float_denorm_mode_32 3
		.amdhsa_float_denorm_mode_16_64 3
		.amdhsa_fp16_overflow 0
		.amdhsa_memory_ordered 1
		.amdhsa_forward_progress 1
		.amdhsa_inst_pref_size 1
		.amdhsa_round_robin_scheduling 0
		.amdhsa_exception_fp_ieee_invalid_op 0
		.amdhsa_exception_fp_denorm_src 0
		.amdhsa_exception_fp_ieee_div_zero 0
		.amdhsa_exception_fp_ieee_overflow 0
		.amdhsa_exception_fp_ieee_underflow 0
		.amdhsa_exception_fp_ieee_inexact 0
		.amdhsa_exception_int_div_zero 0
	.end_amdhsa_kernel
	.section	.text._ZN2at6native27unrolled_elementwise_kernelIZZZNS0_12_GLOBAL__N_137scaled_modified_bessel_k0_kernel_cudaERNS_18TensorIteratorBaseEENKUlvE_clEvENKUlvE0_clEvEUlfE_St5arrayIPcLm2EELi4E23TrivialOffsetCalculatorILi1EjESC_NS0_6memory15LoadWithoutCastENSD_16StoreWithoutCastEEEviT_T0_T2_T3_T4_T5_,"axG",@progbits,_ZN2at6native27unrolled_elementwise_kernelIZZZNS0_12_GLOBAL__N_137scaled_modified_bessel_k0_kernel_cudaERNS_18TensorIteratorBaseEENKUlvE_clEvENKUlvE0_clEvEUlfE_St5arrayIPcLm2EELi4E23TrivialOffsetCalculatorILi1EjESC_NS0_6memory15LoadWithoutCastENSD_16StoreWithoutCastEEEviT_T0_T2_T3_T4_T5_,comdat
.Lfunc_end16:
	.size	_ZN2at6native27unrolled_elementwise_kernelIZZZNS0_12_GLOBAL__N_137scaled_modified_bessel_k0_kernel_cudaERNS_18TensorIteratorBaseEENKUlvE_clEvENKUlvE0_clEvEUlfE_St5arrayIPcLm2EELi4E23TrivialOffsetCalculatorILi1EjESC_NS0_6memory15LoadWithoutCastENSD_16StoreWithoutCastEEEviT_T0_T2_T3_T4_T5_, .Lfunc_end16-_ZN2at6native27unrolled_elementwise_kernelIZZZNS0_12_GLOBAL__N_137scaled_modified_bessel_k0_kernel_cudaERNS_18TensorIteratorBaseEENKUlvE_clEvENKUlvE0_clEvEUlfE_St5arrayIPcLm2EELi4E23TrivialOffsetCalculatorILi1EjESC_NS0_6memory15LoadWithoutCastENSD_16StoreWithoutCastEEEviT_T0_T2_T3_T4_T5_
                                        ; -- End function
	.set _ZN2at6native27unrolled_elementwise_kernelIZZZNS0_12_GLOBAL__N_137scaled_modified_bessel_k0_kernel_cudaERNS_18TensorIteratorBaseEENKUlvE_clEvENKUlvE0_clEvEUlfE_St5arrayIPcLm2EELi4E23TrivialOffsetCalculatorILi1EjESC_NS0_6memory15LoadWithoutCastENSD_16StoreWithoutCastEEEviT_T0_T2_T3_T4_T5_.num_vgpr, max(32, .L_ZN2at6native25elementwise_kernel_helperILb0EZZZNS0_12_GLOBAL__N_137scaled_modified_bessel_k0_kernel_cudaERNS_18TensorIteratorBaseEENKUlvE_clEvENKUlvE0_clEvEUlfE_NS0_6memory8policies11unroll_baseILi256ESt5arrayIPcLm2EE23TrivialOffsetCalculatorILi1EjESF_NS8_15LoadWithoutCastENS8_16StoreWithoutCastELi4ELi1EEEEEvT0_T1_.num_vgpr)
	.set _ZN2at6native27unrolled_elementwise_kernelIZZZNS0_12_GLOBAL__N_137scaled_modified_bessel_k0_kernel_cudaERNS_18TensorIteratorBaseEENKUlvE_clEvENKUlvE0_clEvEUlfE_St5arrayIPcLm2EELi4E23TrivialOffsetCalculatorILi1EjESC_NS0_6memory15LoadWithoutCastENSD_16StoreWithoutCastEEEviT_T0_T2_T3_T4_T5_.num_agpr, max(0, .L_ZN2at6native25elementwise_kernel_helperILb0EZZZNS0_12_GLOBAL__N_137scaled_modified_bessel_k0_kernel_cudaERNS_18TensorIteratorBaseEENKUlvE_clEvENKUlvE0_clEvEUlfE_NS0_6memory8policies11unroll_baseILi256ESt5arrayIPcLm2EE23TrivialOffsetCalculatorILi1EjESF_NS8_15LoadWithoutCastENS8_16StoreWithoutCastELi4ELi1EEEEEvT0_T1_.num_agpr)
	.set _ZN2at6native27unrolled_elementwise_kernelIZZZNS0_12_GLOBAL__N_137scaled_modified_bessel_k0_kernel_cudaERNS_18TensorIteratorBaseEENKUlvE_clEvENKUlvE0_clEvEUlfE_St5arrayIPcLm2EELi4E23TrivialOffsetCalculatorILi1EjESC_NS0_6memory15LoadWithoutCastENSD_16StoreWithoutCastEEEviT_T0_T2_T3_T4_T5_.numbered_sgpr, max(33, .L_ZN2at6native25elementwise_kernel_helperILb0EZZZNS0_12_GLOBAL__N_137scaled_modified_bessel_k0_kernel_cudaERNS_18TensorIteratorBaseEENKUlvE_clEvENKUlvE0_clEvEUlfE_NS0_6memory8policies11unroll_baseILi256ESt5arrayIPcLm2EE23TrivialOffsetCalculatorILi1EjESF_NS8_15LoadWithoutCastENS8_16StoreWithoutCastELi4ELi1EEEEEvT0_T1_.numbered_sgpr)
	.set _ZN2at6native27unrolled_elementwise_kernelIZZZNS0_12_GLOBAL__N_137scaled_modified_bessel_k0_kernel_cudaERNS_18TensorIteratorBaseEENKUlvE_clEvENKUlvE0_clEvEUlfE_St5arrayIPcLm2EELi4E23TrivialOffsetCalculatorILi1EjESC_NS0_6memory15LoadWithoutCastENSD_16StoreWithoutCastEEEviT_T0_T2_T3_T4_T5_.num_named_barrier, max(0, .L_ZN2at6native25elementwise_kernel_helperILb0EZZZNS0_12_GLOBAL__N_137scaled_modified_bessel_k0_kernel_cudaERNS_18TensorIteratorBaseEENKUlvE_clEvENKUlvE0_clEvEUlfE_NS0_6memory8policies11unroll_baseILi256ESt5arrayIPcLm2EE23TrivialOffsetCalculatorILi1EjESF_NS8_15LoadWithoutCastENS8_16StoreWithoutCastELi4ELi1EEEEEvT0_T1_.num_named_barrier)
	.set _ZN2at6native27unrolled_elementwise_kernelIZZZNS0_12_GLOBAL__N_137scaled_modified_bessel_k0_kernel_cudaERNS_18TensorIteratorBaseEENKUlvE_clEvENKUlvE0_clEvEUlfE_St5arrayIPcLm2EELi4E23TrivialOffsetCalculatorILi1EjESC_NS0_6memory15LoadWithoutCastENSD_16StoreWithoutCastEEEviT_T0_T2_T3_T4_T5_.private_seg_size, 0+max(.L_ZN2at6native25elementwise_kernel_helperILb0EZZZNS0_12_GLOBAL__N_137scaled_modified_bessel_k0_kernel_cudaERNS_18TensorIteratorBaseEENKUlvE_clEvENKUlvE0_clEvEUlfE_NS0_6memory8policies11unroll_baseILi256ESt5arrayIPcLm2EE23TrivialOffsetCalculatorILi1EjESF_NS8_15LoadWithoutCastENS8_16StoreWithoutCastELi4ELi1EEEEEvT0_T1_.private_seg_size)
	.set _ZN2at6native27unrolled_elementwise_kernelIZZZNS0_12_GLOBAL__N_137scaled_modified_bessel_k0_kernel_cudaERNS_18TensorIteratorBaseEENKUlvE_clEvENKUlvE0_clEvEUlfE_St5arrayIPcLm2EELi4E23TrivialOffsetCalculatorILi1EjESC_NS0_6memory15LoadWithoutCastENSD_16StoreWithoutCastEEEviT_T0_T2_T3_T4_T5_.uses_vcc, or(1, .L_ZN2at6native25elementwise_kernel_helperILb0EZZZNS0_12_GLOBAL__N_137scaled_modified_bessel_k0_kernel_cudaERNS_18TensorIteratorBaseEENKUlvE_clEvENKUlvE0_clEvEUlfE_NS0_6memory8policies11unroll_baseILi256ESt5arrayIPcLm2EE23TrivialOffsetCalculatorILi1EjESF_NS8_15LoadWithoutCastENS8_16StoreWithoutCastELi4ELi1EEEEEvT0_T1_.uses_vcc)
	.set _ZN2at6native27unrolled_elementwise_kernelIZZZNS0_12_GLOBAL__N_137scaled_modified_bessel_k0_kernel_cudaERNS_18TensorIteratorBaseEENKUlvE_clEvENKUlvE0_clEvEUlfE_St5arrayIPcLm2EELi4E23TrivialOffsetCalculatorILi1EjESC_NS0_6memory15LoadWithoutCastENSD_16StoreWithoutCastEEEviT_T0_T2_T3_T4_T5_.uses_flat_scratch, or(0, .L_ZN2at6native25elementwise_kernel_helperILb0EZZZNS0_12_GLOBAL__N_137scaled_modified_bessel_k0_kernel_cudaERNS_18TensorIteratorBaseEENKUlvE_clEvENKUlvE0_clEvEUlfE_NS0_6memory8policies11unroll_baseILi256ESt5arrayIPcLm2EE23TrivialOffsetCalculatorILi1EjESF_NS8_15LoadWithoutCastENS8_16StoreWithoutCastELi4ELi1EEEEEvT0_T1_.uses_flat_scratch)
	.set _ZN2at6native27unrolled_elementwise_kernelIZZZNS0_12_GLOBAL__N_137scaled_modified_bessel_k0_kernel_cudaERNS_18TensorIteratorBaseEENKUlvE_clEvENKUlvE0_clEvEUlfE_St5arrayIPcLm2EELi4E23TrivialOffsetCalculatorILi1EjESC_NS0_6memory15LoadWithoutCastENSD_16StoreWithoutCastEEEviT_T0_T2_T3_T4_T5_.has_dyn_sized_stack, or(0, .L_ZN2at6native25elementwise_kernel_helperILb0EZZZNS0_12_GLOBAL__N_137scaled_modified_bessel_k0_kernel_cudaERNS_18TensorIteratorBaseEENKUlvE_clEvENKUlvE0_clEvEUlfE_NS0_6memory8policies11unroll_baseILi256ESt5arrayIPcLm2EE23TrivialOffsetCalculatorILi1EjESF_NS8_15LoadWithoutCastENS8_16StoreWithoutCastELi4ELi1EEEEEvT0_T1_.has_dyn_sized_stack)
	.set _ZN2at6native27unrolled_elementwise_kernelIZZZNS0_12_GLOBAL__N_137scaled_modified_bessel_k0_kernel_cudaERNS_18TensorIteratorBaseEENKUlvE_clEvENKUlvE0_clEvEUlfE_St5arrayIPcLm2EELi4E23TrivialOffsetCalculatorILi1EjESC_NS0_6memory15LoadWithoutCastENSD_16StoreWithoutCastEEEviT_T0_T2_T3_T4_T5_.has_recursion, or(0, .L_ZN2at6native25elementwise_kernel_helperILb0EZZZNS0_12_GLOBAL__N_137scaled_modified_bessel_k0_kernel_cudaERNS_18TensorIteratorBaseEENKUlvE_clEvENKUlvE0_clEvEUlfE_NS0_6memory8policies11unroll_baseILi256ESt5arrayIPcLm2EE23TrivialOffsetCalculatorILi1EjESF_NS8_15LoadWithoutCastENS8_16StoreWithoutCastELi4ELi1EEEEEvT0_T1_.has_recursion)
	.set _ZN2at6native27unrolled_elementwise_kernelIZZZNS0_12_GLOBAL__N_137scaled_modified_bessel_k0_kernel_cudaERNS_18TensorIteratorBaseEENKUlvE_clEvENKUlvE0_clEvEUlfE_St5arrayIPcLm2EELi4E23TrivialOffsetCalculatorILi1EjESC_NS0_6memory15LoadWithoutCastENSD_16StoreWithoutCastEEEviT_T0_T2_T3_T4_T5_.has_indirect_call, or(0, .L_ZN2at6native25elementwise_kernel_helperILb0EZZZNS0_12_GLOBAL__N_137scaled_modified_bessel_k0_kernel_cudaERNS_18TensorIteratorBaseEENKUlvE_clEvENKUlvE0_clEvEUlfE_NS0_6memory8policies11unroll_baseILi256ESt5arrayIPcLm2EE23TrivialOffsetCalculatorILi1EjESF_NS8_15LoadWithoutCastENS8_16StoreWithoutCastELi4ELi1EEEEEvT0_T1_.has_indirect_call)
	.section	.AMDGPU.csdata,"",@progbits
; Kernel info:
; codeLenInByte = 124
; TotalNumSgprs: 35
; NumVgprs: 32
; ScratchSize: 0
; MemoryBound: 0
; FloatMode: 240
; IeeeMode: 1
; LDSByteSize: 0 bytes/workgroup (compile time only)
; SGPRBlocks: 0
; VGPRBlocks: 1
; NumSGPRsForWavesPerEU: 35
; NumVGPRsForWavesPerEU: 32
; NamedBarCnt: 0
; Occupancy: 16
; WaveLimiterHint : 0
; COMPUTE_PGM_RSRC2:SCRATCH_EN: 0
; COMPUTE_PGM_RSRC2:USER_SGPR: 2
; COMPUTE_PGM_RSRC2:TRAP_HANDLER: 0
; COMPUTE_PGM_RSRC2:TGID_X_EN: 1
; COMPUTE_PGM_RSRC2:TGID_Y_EN: 0
; COMPUTE_PGM_RSRC2:TGID_Z_EN: 0
; COMPUTE_PGM_RSRC2:TIDIG_COMP_CNT: 0
	.section	.text._ZN2at6native32elementwise_kernel_manual_unrollILi128ELi4EZNS0_22gpu_kernel_impl_nocastIZZZNS0_12_GLOBAL__N_137scaled_modified_bessel_k0_kernel_cudaERNS_18TensorIteratorBaseEENKUlvE_clEvENKUlvE0_clEvEUlfE_EEvS5_RKT_EUlibE_EEviT1_,"axG",@progbits,_ZN2at6native32elementwise_kernel_manual_unrollILi128ELi4EZNS0_22gpu_kernel_impl_nocastIZZZNS0_12_GLOBAL__N_137scaled_modified_bessel_k0_kernel_cudaERNS_18TensorIteratorBaseEENKUlvE_clEvENKUlvE0_clEvEUlfE_EEvS5_RKT_EUlibE_EEviT1_,comdat
	.globl	_ZN2at6native32elementwise_kernel_manual_unrollILi128ELi4EZNS0_22gpu_kernel_impl_nocastIZZZNS0_12_GLOBAL__N_137scaled_modified_bessel_k0_kernel_cudaERNS_18TensorIteratorBaseEENKUlvE_clEvENKUlvE0_clEvEUlfE_EEvS5_RKT_EUlibE_EEviT1_ ; -- Begin function _ZN2at6native32elementwise_kernel_manual_unrollILi128ELi4EZNS0_22gpu_kernel_impl_nocastIZZZNS0_12_GLOBAL__N_137scaled_modified_bessel_k0_kernel_cudaERNS_18TensorIteratorBaseEENKUlvE_clEvENKUlvE0_clEvEUlfE_EEvS5_RKT_EUlibE_EEviT1_
	.p2align	8
	.type	_ZN2at6native32elementwise_kernel_manual_unrollILi128ELi4EZNS0_22gpu_kernel_impl_nocastIZZZNS0_12_GLOBAL__N_137scaled_modified_bessel_k0_kernel_cudaERNS_18TensorIteratorBaseEENKUlvE_clEvENKUlvE0_clEvEUlfE_EEvS5_RKT_EUlibE_EEviT1_,@function
_ZN2at6native32elementwise_kernel_manual_unrollILi128ELi4EZNS0_22gpu_kernel_impl_nocastIZZZNS0_12_GLOBAL__N_137scaled_modified_bessel_k0_kernel_cudaERNS_18TensorIteratorBaseEENKUlvE_clEvENKUlvE0_clEvEUlfE_EEvS5_RKT_EUlibE_EEviT1_: ; @_ZN2at6native32elementwise_kernel_manual_unrollILi128ELi4EZNS0_22gpu_kernel_impl_nocastIZZZNS0_12_GLOBAL__N_137scaled_modified_bessel_k0_kernel_cudaERNS_18TensorIteratorBaseEENKUlvE_clEvENKUlvE0_clEvEUlfE_EEvS5_RKT_EUlibE_EEviT1_
; %bb.0:
	s_clause 0x1
	s_load_b32 s28, s[0:1], 0x8
	s_load_b32 s34, s[0:1], 0x0
	s_bfe_u32 s2, ttmp6, 0x4000c
	s_and_b32 s3, ttmp6, 15
	s_add_co_i32 s2, s2, 1
	s_getreg_b32 s4, hwreg(HW_REG_IB_STS2, 6, 4)
	s_mul_i32 s2, ttmp9, s2
	s_mov_b32 s17, 0
	s_add_co_i32 s3, s3, s2
	s_cmp_eq_u32 s4, 0
	s_cselect_b32 s2, ttmp9, s3
	s_delay_alu instid0(SALU_CYCLE_1) | instskip(SKIP_3) | instid1(VALU_DEP_1)
	v_lshl_or_b32 v0, s2, 9, v0
	s_add_nc_u64 s[2:3], s[0:1], 8
	s_wait_xcnt 0x0
	s_mov_b32 s0, exec_lo
	v_or_b32_e32 v8, 0x180, v0
	s_wait_kmcnt 0x0
	s_add_co_i32 s29, s28, -1
	s_delay_alu instid0(SALU_CYCLE_1)
	s_cmp_gt_u32 s29, 1
	s_cselect_b32 s30, -1, 0
	v_cmpx_le_i32_e64 s34, v8
	s_xor_b32 s31, exec_lo, s0
	s_cbranch_execz .LBB17_7
; %bb.1:
	s_clause 0x3
	s_load_b128 s[8:11], s[2:3], 0x4
	s_load_b64 s[0:1], s[2:3], 0x14
	s_load_b128 s[12:15], s[2:3], 0xc4
	s_load_b128 s[4:7], s[2:3], 0x148
	s_cmp_lg_u32 s28, 0
	s_add_nc_u64 s[20:21], s[2:3], 0xc4
	s_cselect_b32 s36, -1, 0
	s_min_u32 s35, s29, 15
	s_cmp_gt_u32 s28, 1
	s_mov_b32 s19, s17
	s_cselect_b32 s33, -1, 0
	s_wait_kmcnt 0x0
	s_mov_b32 s16, s9
	s_mov_b32 s18, s0
	s_mov_b32 s9, exec_lo
	v_cmpx_gt_i32_e64 s34, v0
	s_cbranch_execz .LBB17_14
; %bb.2:
	s_and_not1_b32 vcc_lo, exec_lo, s30
	s_cbranch_vccnz .LBB17_21
; %bb.3:
	s_and_not1_b32 vcc_lo, exec_lo, s36
	s_cbranch_vccnz .LBB17_105
; %bb.4:
	s_add_co_i32 s0, s35, 1
	s_cmp_eq_u32 s29, 2
	s_cbranch_scc1 .LBB17_107
; %bb.5:
	v_dual_mov_b32 v2, 0 :: v_dual_mov_b32 v3, 0
	v_mov_b32_e32 v1, v0
	s_and_b32 s22, s0, 28
	s_mov_b32 s23, 0
	s_mov_b64 s[24:25], s[2:3]
	s_mov_b64 s[26:27], s[20:21]
.LBB17_6:                               ; =>This Inner Loop Header: Depth=1
	s_clause 0x1
	s_load_b256 s[40:47], s[24:25], 0x4
	s_load_b128 s[56:59], s[24:25], 0x24
	s_load_b256 s[48:55], s[26:27], 0x0
	s_add_co_i32 s23, s23, 4
	s_wait_xcnt 0x0
	s_add_nc_u64 s[24:25], s[24:25], 48
	s_cmp_lg_u32 s22, s23
	s_add_nc_u64 s[26:27], s[26:27], 32
	s_wait_kmcnt 0x0
	v_mul_hi_u32 v4, s41, v1
	s_delay_alu instid0(VALU_DEP_1) | instskip(NEXT) | instid1(VALU_DEP_1)
	v_add_nc_u32_e32 v4, v1, v4
	v_lshrrev_b32_e32 v4, s42, v4
	s_delay_alu instid0(VALU_DEP_1) | instskip(NEXT) | instid1(VALU_DEP_1)
	v_mul_hi_u32 v5, s44, v4
	v_add_nc_u32_e32 v5, v4, v5
	s_delay_alu instid0(VALU_DEP_1) | instskip(NEXT) | instid1(VALU_DEP_1)
	v_lshrrev_b32_e32 v5, s45, v5
	v_mul_hi_u32 v6, s47, v5
	s_delay_alu instid0(VALU_DEP_1) | instskip(SKIP_1) | instid1(VALU_DEP_1)
	v_add_nc_u32_e32 v6, v5, v6
	v_mul_lo_u32 v7, v4, s40
	v_sub_nc_u32_e32 v1, v1, v7
	v_mul_lo_u32 v7, v5, s43
	s_delay_alu instid0(VALU_DEP_4) | instskip(NEXT) | instid1(VALU_DEP_3)
	v_lshrrev_b32_e32 v6, s56, v6
	v_mad_u32 v3, v1, s49, v3
	v_mad_u32 v1, v1, s48, v2
	s_delay_alu instid0(VALU_DEP_4) | instskip(NEXT) | instid1(VALU_DEP_4)
	v_sub_nc_u32_e32 v2, v4, v7
	v_mul_hi_u32 v8, s58, v6
	v_mul_lo_u32 v4, v6, s46
	s_delay_alu instid0(VALU_DEP_3) | instskip(SKIP_1) | instid1(VALU_DEP_4)
	v_mad_u32 v3, v2, s51, v3
	v_mad_u32 v2, v2, s50, v1
	v_add_nc_u32_e32 v7, v6, v8
	s_delay_alu instid0(VALU_DEP_1) | instskip(NEXT) | instid1(VALU_DEP_1)
	v_dual_sub_nc_u32 v4, v5, v4 :: v_dual_lshrrev_b32 v1, s59, v7
	v_mad_u32 v3, v4, s53, v3
	s_delay_alu instid0(VALU_DEP_4) | instskip(NEXT) | instid1(VALU_DEP_3)
	v_mad_u32 v2, v4, s52, v2
	v_mul_lo_u32 v5, v1, s57
	s_delay_alu instid0(VALU_DEP_1) | instskip(NEXT) | instid1(VALU_DEP_1)
	v_sub_nc_u32_e32 v4, v6, v5
	v_mad_u32 v3, v4, s55, v3
	s_delay_alu instid0(VALU_DEP_4)
	v_mad_u32 v2, v4, s54, v2
	s_cbranch_scc1 .LBB17_6
	s_branch .LBB17_108
.LBB17_7:
	s_and_not1_saveexec_b32 s0, s31
	s_cbranch_execz .LBB17_149
.LBB17_8:
	v_cndmask_b32_e64 v6, 0, 1, s30
	s_and_not1_b32 vcc_lo, exec_lo, s30
	s_cbranch_vccnz .LBB17_20
; %bb.9:
	s_cmp_lg_u32 s28, 0
	s_mov_b32 s8, 0
	s_cbranch_scc0 .LBB17_23
; %bb.10:
	s_min_u32 s1, s29, 15
	s_delay_alu instid0(SALU_CYCLE_1)
	s_add_co_i32 s1, s1, 1
	s_cmp_eq_u32 s29, 2
	s_cbranch_scc1 .LBB17_24
; %bb.11:
	v_dual_mov_b32 v2, 0 :: v_dual_mov_b32 v3, 0
	v_mov_b32_e32 v1, v0
	s_and_b32 s0, s1, 28
	s_add_nc_u64 s[4:5], s[2:3], 0xc4
	s_mov_b32 s9, 0
	s_mov_b64 s[6:7], s[2:3]
.LBB17_12:                              ; =>This Inner Loop Header: Depth=1
	s_clause 0x1
	s_load_b256 s[12:19], s[6:7], 0x4
	s_load_b128 s[36:39], s[6:7], 0x24
	s_load_b256 s[20:27], s[4:5], 0x0
	s_add_co_i32 s9, s9, 4
	s_wait_xcnt 0x0
	s_add_nc_u64 s[6:7], s[6:7], 48
	s_cmp_lg_u32 s0, s9
	s_add_nc_u64 s[4:5], s[4:5], 32
	s_wait_kmcnt 0x0
	v_mul_hi_u32 v4, s13, v1
	s_delay_alu instid0(VALU_DEP_1) | instskip(NEXT) | instid1(VALU_DEP_1)
	v_add_nc_u32_e32 v4, v1, v4
	v_lshrrev_b32_e32 v4, s14, v4
	s_delay_alu instid0(VALU_DEP_1) | instskip(NEXT) | instid1(VALU_DEP_1)
	v_mul_hi_u32 v5, s16, v4
	v_add_nc_u32_e32 v5, v4, v5
	s_delay_alu instid0(VALU_DEP_1) | instskip(NEXT) | instid1(VALU_DEP_1)
	v_lshrrev_b32_e32 v5, s17, v5
	v_mul_hi_u32 v7, s19, v5
	s_delay_alu instid0(VALU_DEP_1) | instskip(SKIP_1) | instid1(VALU_DEP_2)
	v_add_nc_u32_e32 v7, v5, v7
	v_mul_lo_u32 v9, v4, s12
	v_lshrrev_b32_e32 v7, s36, v7
	s_delay_alu instid0(VALU_DEP_1) | instskip(NEXT) | instid1(VALU_DEP_3)
	v_mul_hi_u32 v10, s38, v7
	v_sub_nc_u32_e32 v1, v1, v9
	v_mul_lo_u32 v9, v5, s15
	s_delay_alu instid0(VALU_DEP_2) | instskip(SKIP_1) | instid1(VALU_DEP_3)
	v_mad_u32 v3, v1, s21, v3
	v_mad_u32 v1, v1, s20, v2
	v_sub_nc_u32_e32 v2, v4, v9
	v_mul_lo_u32 v4, v7, s18
	v_add_nc_u32_e32 v9, v7, v10
	s_delay_alu instid0(VALU_DEP_3) | instskip(SKIP_1) | instid1(VALU_DEP_3)
	v_mad_u32 v3, v2, s23, v3
	v_mad_u32 v2, v2, s22, v1
	v_dual_sub_nc_u32 v4, v5, v4 :: v_dual_lshrrev_b32 v1, s39, v9
	s_delay_alu instid0(VALU_DEP_1) | instskip(NEXT) | instid1(VALU_DEP_2)
	v_mad_u32 v3, v4, s25, v3
	v_mul_lo_u32 v5, v1, s37
	s_delay_alu instid0(VALU_DEP_4) | instskip(NEXT) | instid1(VALU_DEP_2)
	v_mad_u32 v2, v4, s24, v2
	v_sub_nc_u32_e32 v4, v7, v5
	s_delay_alu instid0(VALU_DEP_1) | instskip(NEXT) | instid1(VALU_DEP_3)
	v_mad_u32 v3, v4, s27, v3
	v_mad_u32 v2, v4, s26, v2
	s_cbranch_scc1 .LBB17_12
; %bb.13:
	s_and_b32 s6, s1, 3
	s_mov_b32 s1, 0
	s_cmp_eq_u32 s6, 0
	s_cbranch_scc0 .LBB17_25
	s_branch .LBB17_27
.LBB17_14:
	s_or_b32 exec_lo, exec_lo, s9
	s_delay_alu instid0(SALU_CYCLE_1)
	s_mov_b32 s9, exec_lo
	v_cmpx_gt_i32_e64 s34, v0
	s_cbranch_execz .LBB17_123
.LBB17_15:
	s_and_not1_b32 vcc_lo, exec_lo, s30
	s_cbranch_vccnz .LBB17_22
; %bb.16:
	s_and_not1_b32 vcc_lo, exec_lo, s36
	s_cbranch_vccnz .LBB17_106
; %bb.17:
	s_add_co_i32 s0, s35, 1
	s_cmp_eq_u32 s29, 2
	s_cbranch_scc1 .LBB17_131
; %bb.18:
	v_dual_mov_b32 v2, 0 :: v_dual_mov_b32 v3, 0
	v_mov_b32_e32 v1, v0
	s_and_b32 s22, s0, 28
	s_mov_b32 s23, 0
	s_mov_b64 s[24:25], s[2:3]
	s_mov_b64 s[26:27], s[20:21]
.LBB17_19:                              ; =>This Inner Loop Header: Depth=1
	s_clause 0x1
	s_load_b256 s[40:47], s[24:25], 0x4
	s_load_b128 s[56:59], s[24:25], 0x24
	s_load_b256 s[48:55], s[26:27], 0x0
	s_add_co_i32 s23, s23, 4
	s_wait_xcnt 0x0
	s_add_nc_u64 s[24:25], s[24:25], 48
	s_cmp_eq_u32 s22, s23
	s_add_nc_u64 s[26:27], s[26:27], 32
	s_wait_kmcnt 0x0
	v_mul_hi_u32 v4, s41, v1
	s_delay_alu instid0(VALU_DEP_1) | instskip(NEXT) | instid1(VALU_DEP_1)
	v_add_nc_u32_e32 v4, v1, v4
	v_lshrrev_b32_e32 v4, s42, v4
	s_delay_alu instid0(VALU_DEP_1) | instskip(NEXT) | instid1(VALU_DEP_1)
	v_mul_hi_u32 v5, s44, v4
	v_add_nc_u32_e32 v5, v4, v5
	s_delay_alu instid0(VALU_DEP_1) | instskip(NEXT) | instid1(VALU_DEP_1)
	v_lshrrev_b32_e32 v5, s45, v5
	v_mul_hi_u32 v6, s47, v5
	s_delay_alu instid0(VALU_DEP_1) | instskip(SKIP_1) | instid1(VALU_DEP_1)
	v_add_nc_u32_e32 v6, v5, v6
	v_mul_lo_u32 v7, v4, s40
	v_sub_nc_u32_e32 v1, v1, v7
	v_mul_lo_u32 v7, v5, s43
	s_delay_alu instid0(VALU_DEP_4) | instskip(NEXT) | instid1(VALU_DEP_3)
	v_lshrrev_b32_e32 v6, s56, v6
	v_mad_u32 v3, v1, s49, v3
	v_mad_u32 v1, v1, s48, v2
	s_delay_alu instid0(VALU_DEP_4) | instskip(NEXT) | instid1(VALU_DEP_4)
	v_sub_nc_u32_e32 v2, v4, v7
	v_mul_hi_u32 v8, s58, v6
	v_mul_lo_u32 v4, v6, s46
	s_delay_alu instid0(VALU_DEP_3) | instskip(SKIP_1) | instid1(VALU_DEP_4)
	v_mad_u32 v3, v2, s51, v3
	v_mad_u32 v2, v2, s50, v1
	v_add_nc_u32_e32 v7, v6, v8
	s_delay_alu instid0(VALU_DEP_1) | instskip(NEXT) | instid1(VALU_DEP_1)
	v_dual_sub_nc_u32 v4, v5, v4 :: v_dual_lshrrev_b32 v1, s59, v7
	v_mad_u32 v3, v4, s53, v3
	s_delay_alu instid0(VALU_DEP_4) | instskip(NEXT) | instid1(VALU_DEP_3)
	v_mad_u32 v2, v4, s52, v2
	v_mul_lo_u32 v5, v1, s57
	s_delay_alu instid0(VALU_DEP_1) | instskip(NEXT) | instid1(VALU_DEP_1)
	v_sub_nc_u32_e32 v4, v6, v5
	v_mad_u32 v3, v4, s55, v3
	s_delay_alu instid0(VALU_DEP_4)
	v_mad_u32 v2, v4, s54, v2
	s_cbranch_scc0 .LBB17_19
	s_branch .LBB17_132
.LBB17_20:
	s_mov_b32 s8, -1
                                        ; implicit-def: $vgpr3
	s_branch .LBB17_27
.LBB17_21:
                                        ; implicit-def: $vgpr3
	s_branch .LBB17_112
.LBB17_22:
                                        ; implicit-def: $vgpr3
	s_branch .LBB17_136
.LBB17_23:
	v_dual_mov_b32 v3, 0 :: v_dual_mov_b32 v2, 0
	s_branch .LBB17_27
.LBB17_24:
	v_mov_b64_e32 v[2:3], 0
	v_mov_b32_e32 v1, v0
	s_mov_b32 s0, 0
	s_and_b32 s6, s1, 3
	s_mov_b32 s1, 0
	s_cmp_eq_u32 s6, 0
	s_cbranch_scc1 .LBB17_27
.LBB17_25:
	s_lshl_b32 s4, s0, 3
	s_mov_b32 s5, s1
	s_mul_u64 s[10:11], s[0:1], 12
	s_add_nc_u64 s[4:5], s[2:3], s[4:5]
	s_delay_alu instid0(SALU_CYCLE_1)
	s_add_nc_u64 s[0:1], s[4:5], 0xc4
	s_add_nc_u64 s[4:5], s[2:3], s[10:11]
.LBB17_26:                              ; =>This Inner Loop Header: Depth=1
	s_load_b96 s[12:14], s[4:5], 0x4
	s_load_b64 s[10:11], s[0:1], 0x0
	s_add_co_i32 s6, s6, -1
	s_wait_xcnt 0x0
	s_add_nc_u64 s[4:5], s[4:5], 12
	s_cmp_lg_u32 s6, 0
	s_add_nc_u64 s[0:1], s[0:1], 8
	s_wait_kmcnt 0x0
	v_mul_hi_u32 v4, s13, v1
	s_delay_alu instid0(VALU_DEP_1) | instskip(NEXT) | instid1(VALU_DEP_1)
	v_add_nc_u32_e32 v4, v1, v4
	v_lshrrev_b32_e32 v4, s14, v4
	s_delay_alu instid0(VALU_DEP_1) | instskip(NEXT) | instid1(VALU_DEP_1)
	v_mul_lo_u32 v5, v4, s12
	v_sub_nc_u32_e32 v1, v1, v5
	s_delay_alu instid0(VALU_DEP_1)
	v_mad_u32 v3, v1, s11, v3
	v_mad_u32 v2, v1, s10, v2
	v_mov_b32_e32 v1, v4
	s_cbranch_scc1 .LBB17_26
.LBB17_27:
	s_and_not1_b32 vcc_lo, exec_lo, s8
	s_cbranch_vccnz .LBB17_30
; %bb.28:
	s_clause 0x1
	s_load_b96 s[4:6], s[2:3], 0x4
	s_load_b64 s[0:1], s[2:3], 0xc4
	s_cmp_lt_u32 s28, 2
	s_wait_kmcnt 0x0
	v_mul_hi_u32 v1, s5, v0
	s_delay_alu instid0(VALU_DEP_1) | instskip(NEXT) | instid1(VALU_DEP_1)
	v_add_nc_u32_e32 v1, v0, v1
	v_lshrrev_b32_e32 v1, s6, v1
	s_delay_alu instid0(VALU_DEP_1) | instskip(NEXT) | instid1(VALU_DEP_1)
	v_mul_lo_u32 v2, v1, s4
	v_sub_nc_u32_e32 v2, v0, v2
	s_delay_alu instid0(VALU_DEP_1)
	v_mul_lo_u32 v3, v2, s1
	v_mul_lo_u32 v2, v2, s0
	s_cbranch_scc1 .LBB17_30
; %bb.29:
	s_clause 0x1
	s_load_b96 s[4:6], s[2:3], 0x10
	s_load_b64 s[0:1], s[2:3], 0xcc
	s_wait_kmcnt 0x0
	v_mul_hi_u32 v4, s5, v1
	s_delay_alu instid0(VALU_DEP_1) | instskip(NEXT) | instid1(VALU_DEP_1)
	v_add_nc_u32_e32 v4, v1, v4
	v_lshrrev_b32_e32 v4, s6, v4
	s_delay_alu instid0(VALU_DEP_1) | instskip(NEXT) | instid1(VALU_DEP_1)
	v_mul_lo_u32 v4, v4, s4
	v_sub_nc_u32_e32 v1, v1, v4
	s_delay_alu instid0(VALU_DEP_1)
	v_mad_u32 v2, v1, s0, v2
	v_mad_u32 v3, v1, s1, v3
.LBB17_30:
	v_cmp_ne_u32_e32 vcc_lo, 1, v6
	v_add_nc_u32_e32 v1, 0x80, v0
	s_cbranch_vccnz .LBB17_36
; %bb.31:
	s_cmp_lg_u32 s28, 0
	s_mov_b32 s8, 0
	s_cbranch_scc0 .LBB17_37
; %bb.32:
	s_min_u32 s1, s29, 15
	s_delay_alu instid0(SALU_CYCLE_1)
	s_add_co_i32 s1, s1, 1
	s_cmp_eq_u32 s29, 2
	s_cbranch_scc1 .LBB17_38
; %bb.33:
	v_dual_mov_b32 v4, 0 :: v_dual_mov_b32 v5, 0
	v_mov_b32_e32 v7, v1
	s_and_b32 s0, s1, 28
	s_add_nc_u64 s[4:5], s[2:3], 0xc4
	s_mov_b32 s9, 0
	s_mov_b64 s[6:7], s[2:3]
.LBB17_34:                              ; =>This Inner Loop Header: Depth=1
	s_clause 0x1
	s_load_b256 s[12:19], s[6:7], 0x4
	s_load_b128 s[36:39], s[6:7], 0x24
	s_load_b256 s[20:27], s[4:5], 0x0
	s_add_co_i32 s9, s9, 4
	s_wait_xcnt 0x0
	s_add_nc_u64 s[6:7], s[6:7], 48
	s_cmp_lg_u32 s0, s9
	s_add_nc_u64 s[4:5], s[4:5], 32
	s_wait_kmcnt 0x0
	v_mul_hi_u32 v9, s13, v7
	s_delay_alu instid0(VALU_DEP_1) | instskip(NEXT) | instid1(VALU_DEP_1)
	v_add_nc_u32_e32 v9, v7, v9
	v_lshrrev_b32_e32 v9, s14, v9
	s_delay_alu instid0(VALU_DEP_1) | instskip(NEXT) | instid1(VALU_DEP_1)
	v_mul_hi_u32 v10, s16, v9
	v_add_nc_u32_e32 v10, v9, v10
	s_delay_alu instid0(VALU_DEP_1) | instskip(NEXT) | instid1(VALU_DEP_1)
	v_lshrrev_b32_e32 v10, s17, v10
	v_mul_hi_u32 v11, s19, v10
	s_delay_alu instid0(VALU_DEP_1) | instskip(SKIP_1) | instid1(VALU_DEP_1)
	v_add_nc_u32_e32 v11, v10, v11
	v_mul_lo_u32 v12, v9, s12
	v_sub_nc_u32_e32 v7, v7, v12
	v_mul_lo_u32 v12, v10, s15
	s_delay_alu instid0(VALU_DEP_4) | instskip(NEXT) | instid1(VALU_DEP_3)
	v_lshrrev_b32_e32 v11, s36, v11
	v_mad_u32 v5, v7, s21, v5
	v_mad_u32 v4, v7, s20, v4
	s_delay_alu instid0(VALU_DEP_4) | instskip(NEXT) | instid1(VALU_DEP_4)
	v_sub_nc_u32_e32 v7, v9, v12
	v_mul_hi_u32 v13, s38, v11
	v_mul_lo_u32 v9, v11, s18
	s_delay_alu instid0(VALU_DEP_3) | instskip(SKIP_1) | instid1(VALU_DEP_4)
	v_mad_u32 v5, v7, s23, v5
	v_mad_u32 v4, v7, s22, v4
	v_add_nc_u32_e32 v12, v11, v13
	s_delay_alu instid0(VALU_DEP_1) | instskip(NEXT) | instid1(VALU_DEP_1)
	v_dual_sub_nc_u32 v9, v10, v9 :: v_dual_lshrrev_b32 v7, s39, v12
	v_mad_u32 v5, v9, s25, v5
	s_delay_alu instid0(VALU_DEP_4) | instskip(NEXT) | instid1(VALU_DEP_3)
	v_mad_u32 v4, v9, s24, v4
	v_mul_lo_u32 v10, v7, s37
	s_delay_alu instid0(VALU_DEP_1) | instskip(NEXT) | instid1(VALU_DEP_1)
	v_sub_nc_u32_e32 v9, v11, v10
	v_mad_u32 v5, v9, s27, v5
	s_delay_alu instid0(VALU_DEP_4)
	v_mad_u32 v4, v9, s26, v4
	s_cbranch_scc1 .LBB17_34
; %bb.35:
	s_and_b32 s6, s1, 3
	s_mov_b32 s1, 0
	s_cmp_eq_u32 s6, 0
	s_cbranch_scc0 .LBB17_39
	s_branch .LBB17_41
.LBB17_36:
	s_mov_b32 s8, -1
                                        ; implicit-def: $vgpr5
	s_branch .LBB17_41
.LBB17_37:
	v_dual_mov_b32 v5, 0 :: v_dual_mov_b32 v4, 0
	s_branch .LBB17_41
.LBB17_38:
	v_mov_b64_e32 v[4:5], 0
	v_mov_b32_e32 v7, v1
	s_mov_b32 s0, 0
	s_and_b32 s6, s1, 3
	s_mov_b32 s1, 0
	s_cmp_eq_u32 s6, 0
	s_cbranch_scc1 .LBB17_41
.LBB17_39:
	s_lshl_b32 s4, s0, 3
	s_mov_b32 s5, s1
	s_mul_u64 s[10:11], s[0:1], 12
	s_add_nc_u64 s[4:5], s[2:3], s[4:5]
	s_delay_alu instid0(SALU_CYCLE_1)
	s_add_nc_u64 s[0:1], s[4:5], 0xc4
	s_add_nc_u64 s[4:5], s[2:3], s[10:11]
.LBB17_40:                              ; =>This Inner Loop Header: Depth=1
	s_load_b96 s[12:14], s[4:5], 0x4
	s_load_b64 s[10:11], s[0:1], 0x0
	s_add_co_i32 s6, s6, -1
	s_wait_xcnt 0x0
	s_add_nc_u64 s[4:5], s[4:5], 12
	s_cmp_lg_u32 s6, 0
	s_add_nc_u64 s[0:1], s[0:1], 8
	s_wait_kmcnt 0x0
	v_mul_hi_u32 v9, s13, v7
	s_delay_alu instid0(VALU_DEP_1) | instskip(NEXT) | instid1(VALU_DEP_1)
	v_add_nc_u32_e32 v9, v7, v9
	v_lshrrev_b32_e32 v9, s14, v9
	s_delay_alu instid0(VALU_DEP_1) | instskip(NEXT) | instid1(VALU_DEP_1)
	v_mul_lo_u32 v10, v9, s12
	v_sub_nc_u32_e32 v7, v7, v10
	s_delay_alu instid0(VALU_DEP_1)
	v_mad_u32 v5, v7, s11, v5
	v_mad_u32 v4, v7, s10, v4
	v_mov_b32_e32 v7, v9
	s_cbranch_scc1 .LBB17_40
.LBB17_41:
	s_and_not1_b32 vcc_lo, exec_lo, s8
	s_cbranch_vccnz .LBB17_44
; %bb.42:
	s_clause 0x1
	s_load_b96 s[4:6], s[2:3], 0x4
	s_load_b64 s[0:1], s[2:3], 0xc4
	s_cmp_lt_u32 s28, 2
	s_wait_kmcnt 0x0
	v_mul_hi_u32 v4, s5, v1
	s_delay_alu instid0(VALU_DEP_1) | instskip(NEXT) | instid1(VALU_DEP_1)
	v_add_nc_u32_e32 v4, v1, v4
	v_lshrrev_b32_e32 v7, s6, v4
	s_delay_alu instid0(VALU_DEP_1) | instskip(NEXT) | instid1(VALU_DEP_1)
	v_mul_lo_u32 v4, v7, s4
	v_sub_nc_u32_e32 v1, v1, v4
	s_delay_alu instid0(VALU_DEP_1)
	v_mul_lo_u32 v5, v1, s1
	v_mul_lo_u32 v4, v1, s0
	s_cbranch_scc1 .LBB17_44
; %bb.43:
	s_clause 0x1
	s_load_b96 s[4:6], s[2:3], 0x10
	s_load_b64 s[0:1], s[2:3], 0xcc
	s_wait_kmcnt 0x0
	v_mul_hi_u32 v1, s5, v7
	s_delay_alu instid0(VALU_DEP_1) | instskip(NEXT) | instid1(VALU_DEP_1)
	v_add_nc_u32_e32 v1, v7, v1
	v_lshrrev_b32_e32 v1, s6, v1
	s_delay_alu instid0(VALU_DEP_1) | instskip(NEXT) | instid1(VALU_DEP_1)
	v_mul_lo_u32 v1, v1, s4
	v_sub_nc_u32_e32 v1, v7, v1
	s_delay_alu instid0(VALU_DEP_1)
	v_mad_u32 v4, v1, s0, v4
	v_mad_u32 v5, v1, s1, v5
.LBB17_44:
	v_cmp_ne_u32_e32 vcc_lo, 1, v6
	v_add_nc_u32_e32 v7, 0x100, v0
	s_cbranch_vccnz .LBB17_50
; %bb.45:
	s_cmp_lg_u32 s28, 0
	s_mov_b32 s8, 0
	s_cbranch_scc0 .LBB17_51
; %bb.46:
	s_min_u32 s1, s29, 15
	s_delay_alu instid0(SALU_CYCLE_1)
	s_add_co_i32 s1, s1, 1
	s_cmp_eq_u32 s29, 2
	s_cbranch_scc1 .LBB17_52
; %bb.47:
	v_dual_mov_b32 v0, 0 :: v_dual_mov_b32 v1, 0
	v_mov_b32_e32 v9, v7
	s_and_b32 s0, s1, 28
	s_add_nc_u64 s[4:5], s[2:3], 0xc4
	s_mov_b32 s9, 0
	s_mov_b64 s[6:7], s[2:3]
.LBB17_48:                              ; =>This Inner Loop Header: Depth=1
	s_clause 0x1
	s_load_b256 s[12:19], s[6:7], 0x4
	s_load_b128 s[36:39], s[6:7], 0x24
	s_load_b256 s[20:27], s[4:5], 0x0
	s_add_co_i32 s9, s9, 4
	s_wait_xcnt 0x0
	s_add_nc_u64 s[6:7], s[6:7], 48
	s_cmp_lg_u32 s0, s9
	s_add_nc_u64 s[4:5], s[4:5], 32
	s_wait_kmcnt 0x0
	v_mul_hi_u32 v10, s13, v9
	s_delay_alu instid0(VALU_DEP_1) | instskip(NEXT) | instid1(VALU_DEP_1)
	v_add_nc_u32_e32 v10, v9, v10
	v_lshrrev_b32_e32 v10, s14, v10
	s_delay_alu instid0(VALU_DEP_1) | instskip(NEXT) | instid1(VALU_DEP_1)
	v_mul_hi_u32 v11, s16, v10
	v_add_nc_u32_e32 v11, v10, v11
	s_delay_alu instid0(VALU_DEP_1) | instskip(NEXT) | instid1(VALU_DEP_1)
	v_lshrrev_b32_e32 v11, s17, v11
	v_mul_hi_u32 v12, s19, v11
	s_delay_alu instid0(VALU_DEP_1) | instskip(SKIP_1) | instid1(VALU_DEP_1)
	v_add_nc_u32_e32 v12, v11, v12
	v_mul_lo_u32 v13, v10, s12
	v_sub_nc_u32_e32 v9, v9, v13
	v_mul_lo_u32 v13, v11, s15
	s_delay_alu instid0(VALU_DEP_4) | instskip(NEXT) | instid1(VALU_DEP_3)
	v_lshrrev_b32_e32 v12, s36, v12
	v_mad_u32 v1, v9, s21, v1
	v_mad_u32 v0, v9, s20, v0
	s_delay_alu instid0(VALU_DEP_4) | instskip(NEXT) | instid1(VALU_DEP_4)
	v_sub_nc_u32_e32 v9, v10, v13
	v_mul_hi_u32 v14, s38, v12
	v_mul_lo_u32 v10, v12, s18
	s_delay_alu instid0(VALU_DEP_3) | instskip(SKIP_1) | instid1(VALU_DEP_4)
	v_mad_u32 v1, v9, s23, v1
	v_mad_u32 v0, v9, s22, v0
	v_add_nc_u32_e32 v13, v12, v14
	s_delay_alu instid0(VALU_DEP_1) | instskip(NEXT) | instid1(VALU_DEP_1)
	v_dual_sub_nc_u32 v10, v11, v10 :: v_dual_lshrrev_b32 v9, s39, v13
	v_mad_u32 v1, v10, s25, v1
	s_delay_alu instid0(VALU_DEP_4) | instskip(NEXT) | instid1(VALU_DEP_3)
	v_mad_u32 v0, v10, s24, v0
	v_mul_lo_u32 v11, v9, s37
	s_delay_alu instid0(VALU_DEP_1) | instskip(NEXT) | instid1(VALU_DEP_1)
	v_sub_nc_u32_e32 v10, v12, v11
	v_mad_u32 v1, v10, s27, v1
	s_delay_alu instid0(VALU_DEP_4)
	v_mad_u32 v0, v10, s26, v0
	s_cbranch_scc1 .LBB17_48
; %bb.49:
	s_and_b32 s6, s1, 3
	s_mov_b32 s1, 0
	s_cmp_eq_u32 s6, 0
	s_cbranch_scc0 .LBB17_53
	s_branch .LBB17_55
.LBB17_50:
	s_mov_b32 s8, -1
                                        ; implicit-def: $vgpr1
	s_branch .LBB17_55
.LBB17_51:
	v_dual_mov_b32 v1, 0 :: v_dual_mov_b32 v0, 0
	s_branch .LBB17_55
.LBB17_52:
	v_mov_b64_e32 v[0:1], 0
	v_mov_b32_e32 v9, v7
	s_mov_b32 s0, 0
	s_and_b32 s6, s1, 3
	s_mov_b32 s1, 0
	s_cmp_eq_u32 s6, 0
	s_cbranch_scc1 .LBB17_55
.LBB17_53:
	s_lshl_b32 s4, s0, 3
	s_mov_b32 s5, s1
	s_mul_u64 s[10:11], s[0:1], 12
	s_add_nc_u64 s[4:5], s[2:3], s[4:5]
	s_delay_alu instid0(SALU_CYCLE_1)
	s_add_nc_u64 s[0:1], s[4:5], 0xc4
	s_add_nc_u64 s[4:5], s[2:3], s[10:11]
.LBB17_54:                              ; =>This Inner Loop Header: Depth=1
	s_load_b96 s[12:14], s[4:5], 0x4
	s_load_b64 s[10:11], s[0:1], 0x0
	s_add_co_i32 s6, s6, -1
	s_wait_xcnt 0x0
	s_add_nc_u64 s[4:5], s[4:5], 12
	s_cmp_lg_u32 s6, 0
	s_add_nc_u64 s[0:1], s[0:1], 8
	s_wait_kmcnt 0x0
	v_mul_hi_u32 v10, s13, v9
	s_delay_alu instid0(VALU_DEP_1) | instskip(NEXT) | instid1(VALU_DEP_1)
	v_add_nc_u32_e32 v10, v9, v10
	v_lshrrev_b32_e32 v10, s14, v10
	s_delay_alu instid0(VALU_DEP_1) | instskip(NEXT) | instid1(VALU_DEP_1)
	v_mul_lo_u32 v11, v10, s12
	v_sub_nc_u32_e32 v9, v9, v11
	s_delay_alu instid0(VALU_DEP_1)
	v_mad_u32 v1, v9, s11, v1
	v_mad_u32 v0, v9, s10, v0
	v_mov_b32_e32 v9, v10
	s_cbranch_scc1 .LBB17_54
.LBB17_55:
	s_and_not1_b32 vcc_lo, exec_lo, s8
	s_cbranch_vccnz .LBB17_58
; %bb.56:
	s_clause 0x1
	s_load_b96 s[4:6], s[2:3], 0x4
	s_load_b64 s[0:1], s[2:3], 0xc4
	s_cmp_lt_u32 s28, 2
	s_wait_kmcnt 0x0
	v_mul_hi_u32 v0, s5, v7
	s_delay_alu instid0(VALU_DEP_1) | instskip(NEXT) | instid1(VALU_DEP_1)
	v_add_nc_u32_e32 v0, v7, v0
	v_lshrrev_b32_e32 v9, s6, v0
	s_delay_alu instid0(VALU_DEP_1) | instskip(NEXT) | instid1(VALU_DEP_1)
	v_mul_lo_u32 v0, v9, s4
	v_sub_nc_u32_e32 v0, v7, v0
	s_delay_alu instid0(VALU_DEP_1)
	v_mul_lo_u32 v1, v0, s1
	v_mul_lo_u32 v0, v0, s0
	s_cbranch_scc1 .LBB17_58
; %bb.57:
	s_clause 0x1
	s_load_b96 s[4:6], s[2:3], 0x10
	s_load_b64 s[0:1], s[2:3], 0xcc
	s_wait_kmcnt 0x0
	v_mul_hi_u32 v7, s5, v9
	s_delay_alu instid0(VALU_DEP_1) | instskip(NEXT) | instid1(VALU_DEP_1)
	v_add_nc_u32_e32 v7, v9, v7
	v_lshrrev_b32_e32 v7, s6, v7
	s_delay_alu instid0(VALU_DEP_1) | instskip(NEXT) | instid1(VALU_DEP_1)
	v_mul_lo_u32 v7, v7, s4
	v_sub_nc_u32_e32 v7, v9, v7
	s_delay_alu instid0(VALU_DEP_1)
	v_mad_u32 v0, v7, s0, v0
	v_mad_u32 v1, v7, s1, v1
.LBB17_58:
	v_cmp_ne_u32_e32 vcc_lo, 1, v6
	s_cbranch_vccnz .LBB17_64
; %bb.59:
	s_cmp_lg_u32 s28, 0
	s_mov_b32 s8, 0
	s_cbranch_scc0 .LBB17_65
; %bb.60:
	s_min_u32 s1, s29, 15
	s_delay_alu instid0(SALU_CYCLE_1)
	s_add_co_i32 s1, s1, 1
	s_cmp_eq_u32 s29, 2
	s_cbranch_scc1 .LBB17_66
; %bb.61:
	v_dual_mov_b32 v6, 0 :: v_dual_mov_b32 v7, 0
	v_mov_b32_e32 v9, v8
	s_and_b32 s0, s1, 28
	s_add_nc_u64 s[4:5], s[2:3], 0xc4
	s_mov_b32 s9, 0
	s_mov_b64 s[6:7], s[2:3]
.LBB17_62:                              ; =>This Inner Loop Header: Depth=1
	s_clause 0x1
	s_load_b256 s[12:19], s[6:7], 0x4
	s_load_b128 s[36:39], s[6:7], 0x24
	s_load_b256 s[20:27], s[4:5], 0x0
	s_add_co_i32 s9, s9, 4
	s_wait_xcnt 0x0
	s_add_nc_u64 s[6:7], s[6:7], 48
	s_cmp_lg_u32 s0, s9
	s_add_nc_u64 s[4:5], s[4:5], 32
	s_wait_kmcnt 0x0
	v_mul_hi_u32 v10, s13, v9
	s_delay_alu instid0(VALU_DEP_1) | instskip(NEXT) | instid1(VALU_DEP_1)
	v_add_nc_u32_e32 v10, v9, v10
	v_lshrrev_b32_e32 v10, s14, v10
	s_delay_alu instid0(VALU_DEP_1) | instskip(NEXT) | instid1(VALU_DEP_1)
	v_mul_hi_u32 v11, s16, v10
	v_add_nc_u32_e32 v11, v10, v11
	s_delay_alu instid0(VALU_DEP_1) | instskip(NEXT) | instid1(VALU_DEP_1)
	v_lshrrev_b32_e32 v11, s17, v11
	v_mul_hi_u32 v12, s19, v11
	s_delay_alu instid0(VALU_DEP_1) | instskip(SKIP_1) | instid1(VALU_DEP_1)
	v_add_nc_u32_e32 v12, v11, v12
	v_mul_lo_u32 v13, v10, s12
	v_sub_nc_u32_e32 v9, v9, v13
	v_mul_lo_u32 v13, v11, s15
	s_delay_alu instid0(VALU_DEP_4) | instskip(NEXT) | instid1(VALU_DEP_3)
	v_lshrrev_b32_e32 v12, s36, v12
	v_mad_u32 v7, v9, s21, v7
	v_mad_u32 v6, v9, s20, v6
	s_delay_alu instid0(VALU_DEP_4) | instskip(NEXT) | instid1(VALU_DEP_4)
	v_sub_nc_u32_e32 v9, v10, v13
	v_mul_hi_u32 v14, s38, v12
	v_mul_lo_u32 v10, v12, s18
	s_delay_alu instid0(VALU_DEP_3) | instskip(SKIP_1) | instid1(VALU_DEP_4)
	v_mad_u32 v7, v9, s23, v7
	v_mad_u32 v6, v9, s22, v6
	v_add_nc_u32_e32 v13, v12, v14
	s_delay_alu instid0(VALU_DEP_1) | instskip(NEXT) | instid1(VALU_DEP_1)
	v_dual_sub_nc_u32 v10, v11, v10 :: v_dual_lshrrev_b32 v9, s39, v13
	v_mad_u32 v7, v10, s25, v7
	s_delay_alu instid0(VALU_DEP_4) | instskip(NEXT) | instid1(VALU_DEP_3)
	v_mad_u32 v6, v10, s24, v6
	v_mul_lo_u32 v11, v9, s37
	s_delay_alu instid0(VALU_DEP_1) | instskip(NEXT) | instid1(VALU_DEP_1)
	v_sub_nc_u32_e32 v10, v12, v11
	v_mad_u32 v7, v10, s27, v7
	s_delay_alu instid0(VALU_DEP_4)
	v_mad_u32 v6, v10, s26, v6
	s_cbranch_scc1 .LBB17_62
; %bb.63:
	s_and_b32 s6, s1, 3
	s_mov_b32 s1, 0
	s_cmp_eq_u32 s6, 0
	s_cbranch_scc0 .LBB17_67
	s_branch .LBB17_69
.LBB17_64:
	s_mov_b32 s8, -1
                                        ; implicit-def: $vgpr7
	s_branch .LBB17_69
.LBB17_65:
	v_dual_mov_b32 v7, 0 :: v_dual_mov_b32 v6, 0
	s_branch .LBB17_69
.LBB17_66:
	v_mov_b64_e32 v[6:7], 0
	v_mov_b32_e32 v9, v8
	s_mov_b32 s0, 0
	s_and_b32 s6, s1, 3
	s_mov_b32 s1, 0
	s_cmp_eq_u32 s6, 0
	s_cbranch_scc1 .LBB17_69
.LBB17_67:
	s_lshl_b32 s4, s0, 3
	s_mov_b32 s5, s1
	s_mul_u64 s[10:11], s[0:1], 12
	s_add_nc_u64 s[4:5], s[2:3], s[4:5]
	s_delay_alu instid0(SALU_CYCLE_1)
	s_add_nc_u64 s[0:1], s[4:5], 0xc4
	s_add_nc_u64 s[4:5], s[2:3], s[10:11]
.LBB17_68:                              ; =>This Inner Loop Header: Depth=1
	s_load_b96 s[12:14], s[4:5], 0x4
	s_load_b64 s[10:11], s[0:1], 0x0
	s_add_co_i32 s6, s6, -1
	s_wait_xcnt 0x0
	s_add_nc_u64 s[4:5], s[4:5], 12
	s_cmp_lg_u32 s6, 0
	s_add_nc_u64 s[0:1], s[0:1], 8
	s_wait_kmcnt 0x0
	v_mul_hi_u32 v10, s13, v9
	s_delay_alu instid0(VALU_DEP_1) | instskip(NEXT) | instid1(VALU_DEP_1)
	v_add_nc_u32_e32 v10, v9, v10
	v_lshrrev_b32_e32 v10, s14, v10
	s_delay_alu instid0(VALU_DEP_1) | instskip(NEXT) | instid1(VALU_DEP_1)
	v_mul_lo_u32 v11, v10, s12
	v_sub_nc_u32_e32 v9, v9, v11
	s_delay_alu instid0(VALU_DEP_1)
	v_mad_u32 v7, v9, s11, v7
	v_mad_u32 v6, v9, s10, v6
	v_mov_b32_e32 v9, v10
	s_cbranch_scc1 .LBB17_68
.LBB17_69:
	s_and_not1_b32 vcc_lo, exec_lo, s8
	s_cbranch_vccnz .LBB17_72
; %bb.70:
	s_clause 0x1
	s_load_b96 s[4:6], s[2:3], 0x4
	s_load_b64 s[0:1], s[2:3], 0xc4
	s_cmp_lt_u32 s28, 2
	s_wait_kmcnt 0x0
	v_mul_hi_u32 v6, s5, v8
	s_delay_alu instid0(VALU_DEP_1) | instskip(NEXT) | instid1(VALU_DEP_1)
	v_add_nc_u32_e32 v6, v8, v6
	v_lshrrev_b32_e32 v9, s6, v6
	s_delay_alu instid0(VALU_DEP_1) | instskip(NEXT) | instid1(VALU_DEP_1)
	v_mul_lo_u32 v6, v9, s4
	v_sub_nc_u32_e32 v6, v8, v6
	s_delay_alu instid0(VALU_DEP_1)
	v_mul_lo_u32 v7, v6, s1
	v_mul_lo_u32 v6, v6, s0
	s_cbranch_scc1 .LBB17_72
; %bb.71:
	s_clause 0x1
	s_load_b96 s[4:6], s[2:3], 0x10
	s_load_b64 s[0:1], s[2:3], 0xcc
	s_wait_kmcnt 0x0
	v_mul_hi_u32 v8, s5, v9
	s_delay_alu instid0(VALU_DEP_1) | instskip(NEXT) | instid1(VALU_DEP_1)
	v_add_nc_u32_e32 v8, v9, v8
	v_lshrrev_b32_e32 v8, s6, v8
	s_delay_alu instid0(VALU_DEP_1) | instskip(NEXT) | instid1(VALU_DEP_1)
	v_mul_lo_u32 v8, v8, s4
	v_sub_nc_u32_e32 v8, v9, v8
	s_delay_alu instid0(VALU_DEP_1)
	v_mad_u32 v6, v8, s0, v6
	v_mad_u32 v7, v8, s1, v7
.LBB17_72:
	s_load_b128 s[4:7], s[2:3], 0x148
	s_mov_b32 s1, exec_lo
	v_mov_b32_e32 v10, 0x7f800000
	s_wait_kmcnt 0x0
	global_load_b32 v8, v3, s[6:7]
	s_wait_xcnt 0x0
	v_mov_b32_e32 v3, 0x7f800000
	s_wait_loadcnt 0x0
	v_cmpx_neq_f32_e32 0, v8
	s_cbranch_execz .LBB17_80
; %bb.73:
	v_mov_b32_e32 v10, 0x7fc00000
	s_mov_b32 s2, exec_lo
	v_cmpx_ngt_f32_e32 0, v8
	s_cbranch_execz .LBB17_79
; %bb.74:
                                        ; implicit-def: $vgpr10
	s_mov_b32 s0, exec_lo
	v_cmpx_ge_f32_e32 2.0, v8
	s_xor_b32 s3, exec_lo, s0
	s_cbranch_execz .LBB17_76
; %bb.75:
	s_mov_b32 s0, 0xa2a2e5b9
	v_mov_b32_e32 v9, 0.5
	v_mov_b64_e32 v[14:15], 0x3ad6e3ac293fd856
	v_mov_b64_e32 v[18:19], 0xbb8db2f12d3612e2
	;; [unrolled: 1-line block ×3, first 2 shown]
	s_delay_alu instid0(VALU_DEP_4) | instskip(NEXT) | instid1(VALU_DEP_1)
	v_pk_fma_f32 v[10:11], v[8:9], v[8:9], -2.0 op_sel_hi:[0,1,0]
	v_fmaak_f32 v12, s0, v11, 0x24199b15
	s_delay_alu instid0(VALU_DEP_2) | instskip(SKIP_2) | instid1(VALU_DEP_3)
	v_mul_f32_e32 v16, 0x251e770f, v10
	s_mov_b32 s0, 0xa51e770f
	v_pk_mul_f32 v[20:21], v[8:9], v[8:9] op_sel_hi:[0,1]
	v_fmaak_f32 v13, v11, v12, 0x22a2e5b9
	s_delay_alu instid0(VALU_DEP_2) | instskip(NEXT) | instid1(VALU_DEP_2)
	v_cmp_gt_f32_e32 vcc_lo, 0x800000, v21
	v_add_f32_e32 v13, 0xa58c275c, v13
	s_delay_alu instid0(VALU_DEP_1) | instskip(NEXT) | instid1(VALU_DEP_1)
	v_fma_f32 v12, v11, v13, -v12
	v_add_f32_e32 v12, 0x26f736c5, v12
	s_delay_alu instid0(VALU_DEP_1) | instskip(NEXT) | instid1(VALU_DEP_1)
	v_fma_f32 v13, v11, v12, -v13
	;; [unrolled: 3-line block ×18, first 2 shown]
	v_add_f32_e32 v13, 0xba1717e9, v13
	s_delay_alu instid0(VALU_DEP_1) | instskip(SKIP_1) | instid1(VALU_DEP_2)
	v_fma_f32 v17, v11, v13, -v12
	v_mov_b32_e32 v12, 0xa51e770f
	v_pk_add_f32 v[14:15], v[16:17], v[14:15]
	v_mov_b64_e32 v[16:17], s[0:1]
	v_cmp_ngt_f32_e64 s0, 0xc2ce8ed0, v8
	s_delay_alu instid0(VALU_DEP_3) | instskip(NEXT) | instid1(VALU_DEP_3)
	v_pk_fma_f32 v[12:13], v[10:11], v[14:15], v[12:13] neg_lo:[0,0,1] neg_hi:[0,0,1]
	v_pk_fma_f32 v[16:17], v[10:11], v[14:15], v[16:17]
	s_delay_alu instid0(VALU_DEP_2) | instskip(NEXT) | instid1(VALU_DEP_1)
	v_mov_b32_e32 v17, v13
	v_pk_add_f32 v[12:13], v[16:17], v[18:19]
	v_mov_b64_e32 v[16:17], 0x3c2ccb103102e09b
	v_mov_b64_e32 v[18:19], 0xc000000037bfc808
	s_delay_alu instid0(VALU_DEP_3) | instskip(NEXT) | instid1(VALU_DEP_1)
	v_pk_fma_f32 v[14:15], v[10:11], v[12:13], v[14:15] neg_lo:[0,0,1] neg_hi:[0,0,1]
	v_pk_add_f32 v[14:15], v[14:15], v[16:17]
	v_mov_b64_e32 v[16:17], 0xbcc274f8348815e7
	s_delay_alu instid0(VALU_DEP_2) | instskip(NEXT) | instid1(VALU_DEP_1)
	v_pk_fma_f32 v[12:13], v[10:11], v[14:15], v[12:13] neg_lo:[0,0,1] neg_hi:[0,0,1]
	v_pk_add_f32 v[12:13], v[12:13], v[16:17]
	v_mov_b64_e32 v[16:17], 0x3d49f45637bfc808
	s_delay_alu instid0(VALU_DEP_2) | instskip(NEXT) | instid1(VALU_DEP_1)
	v_pk_fma_f32 v[14:15], v[10:11], v[12:13], v[14:15] neg_lo:[0,0,1] neg_hi:[0,0,1]
	v_mov_b32_e32 v20, v14
	s_delay_alu instid0(VALU_DEP_2) | instskip(SKIP_1) | instid1(VALU_DEP_3)
	v_pk_add_f32 v[14:15], v[14:15], v[16:17]
	v_mov_b32_e32 v16, v10
	v_pk_add_f32 v[18:19], v[20:21], v[18:19]
	s_delay_alu instid0(VALU_DEP_3) | instskip(NEXT) | instid1(VALU_DEP_1)
	v_mov_b32_e32 v17, v15
	v_pk_fma_f32 v[12:13], v[18:19], v[16:17], v[12:13] neg_lo:[0,0,1] neg_hi:[0,0,1]
	v_mul_f32_e32 v18, 0x3fb8aa3b, v8
	v_mov_b64_e32 v[16:17], 0x3e2fbd643d135fb3
	s_delay_alu instid0(VALU_DEP_3) | instskip(NEXT) | instid1(VALU_DEP_3)
	v_pk_add_f32 v[12:13], v[12:13], v[22:23]
	v_rndne_f32_e32 v19, v18
	v_fma_f32 v20, 0x3fb8aa3b, v8, -v18
	v_cndmask_b32_e64 v22, 0, 32, vcc_lo
	s_delay_alu instid0(VALU_DEP_4) | instskip(NEXT) | instid1(VALU_DEP_4)
	v_pk_fma_f32 v[14:15], v[10:11], v[12:13], v[14:15] neg_lo:[0,0,1] neg_hi:[0,0,1]
	v_sub_f32_e32 v18, v18, v19
	s_delay_alu instid0(VALU_DEP_4) | instskip(NEXT) | instid1(VALU_DEP_3)
	v_fmamk_f32 v20, v8, 0x32a5705f, v20
	v_pk_add_f32 v[14:15], v[14:15], v[16:17]
	v_ldexp_f32 v16, v21, v22
	s_delay_alu instid0(VALU_DEP_3) | instskip(NEXT) | instid1(VALU_DEP_3)
	v_add_f32_e32 v17, v18, v20
	v_pk_fma_f32 v[12:13], v[10:11], v[14:15], v[12:13] neg_lo:[0,0,1] neg_hi:[0,0,1]
	s_delay_alu instid0(VALU_DEP_3) | instskip(NEXT) | instid1(VALU_DEP_2)
	v_log_f32_e32 v20, v16
	v_exp_f32_e32 v16, v17
	v_nop
	v_cvt_i32_f32_e32 v17, v19
	v_add_f32_e32 v13, 0xbe9bff5e, v13
	v_add_f32_e32 v12, 0x3eb046c4, v12
	s_delay_alu instid0(TRANS32_DEP_2) | instskip(NEXT) | instid1(VALU_DEP_3)
	v_mul_f32_e32 v18, 0x3f317217, v20
	v_fma_f32 v11, v11, v13, -v15
	v_ldexp_f32 v13, v16, v17
	s_delay_alu instid0(VALU_DEP_4) | instskip(NEXT) | instid1(VALU_DEP_4)
	v_mul_f32_e32 v10, v10, v12
	v_fma_f32 v16, 0x3f317217, v20, -v18
	v_mov_b32_e32 v12, 0xbf090b37
	v_add_f32_e32 v11, 0x3f2d4275, v11
	v_cndmask_b32_e64 v13, 0, v13, s0
	v_cmp_nlt_f32_e64 s0, 0x42b17218, v8
	v_dual_fmamk_f32 v21, v20, 0x3377d1cf, v16 :: v_dual_mov_b32 v16, v14
	s_delay_alu instid0(VALU_DEP_4) | instskip(NEXT) | instid1(VALU_DEP_3)
	v_pk_add_f32 v[10:11], v[10:11], v[14:15] neg_lo:[0,1] neg_hi:[0,1]
	v_cndmask_b32_e64 v17, 0x7f800000, v13, s0
	s_delay_alu instid0(VALU_DEP_3) | instskip(NEXT) | instid1(VALU_DEP_3)
	v_fmac_f32_e32 v21, 0x3f317217, v20
	v_pk_mul_f32 v[18:19], v[10:11], v[8:9]
	v_cndmask_b32_e64 v8, 0, 0x41b17218, vcc_lo
	v_cmp_gt_f32_e64 vcc_lo, 0x7f800000, |v20|
	v_pk_add_f32 v[10:11], v[10:11], v[12:13]
	s_delay_alu instid0(VALU_DEP_4) | instskip(NEXT) | instid1(VALU_DEP_3)
	v_pk_mul_f32 v[12:13], v[18:19], v[16:17]
	v_dual_mov_b32 v18, v9 :: v_dual_cndmask_b32 v20, v20, v21, vcc_lo
	s_delay_alu instid0(VALU_DEP_3) | instskip(NEXT) | instid1(VALU_DEP_2)
	v_pk_add_f32 v[10:11], v[10:11], v[14:15] neg_lo:[0,1] neg_hi:[0,1]
	v_dual_mov_b32 v11, v13 :: v_dual_sub_f32 v19, v20, v8
	s_delay_alu instid0(VALU_DEP_1) | instskip(NEXT) | instid1(VALU_DEP_1)
	v_pk_mul_f32 v[8:9], v[18:19], v[10:11]
	v_sub_f32_e32 v8, v8, v9
	s_delay_alu instid0(VALU_DEP_1)
	v_mul_f32_e32 v10, v17, v8
                                        ; implicit-def: $vgpr8
.LBB17_76:
	s_and_not1_saveexec_b32 s3, s3
	s_cbranch_execz .LBB17_78
; %bb.77:
	v_div_scale_f32 v9, null, v8, v8, 0x41000000
	v_div_scale_f32 v12, vcc_lo, 0x41000000, v8, 0x41000000
	s_mov_b32 s0, 0x22c38d2e
	v_rcp_f32_e32 v10, v9
	v_nop
	s_delay_alu instid0(TRANS32_DEP_1) | instskip(NEXT) | instid1(VALU_DEP_1)
	v_fma_f32 v11, -v9, v10, 1.0
	v_fmac_f32_e32 v10, v11, v10
	s_delay_alu instid0(VALU_DEP_1) | instskip(NEXT) | instid1(VALU_DEP_1)
	v_mul_f32_e32 v11, v12, v10
	v_fma_f32 v13, -v9, v11, v12
	s_delay_alu instid0(VALU_DEP_1) | instskip(NEXT) | instid1(VALU_DEP_1)
	v_fmac_f32_e32 v11, v13, v10
	v_fma_f32 v9, -v9, v11, v12
	v_mul_f32_e32 v12, 0x4f800000, v8
	s_delay_alu instid0(VALU_DEP_2) | instskip(SKIP_1) | instid1(VALU_DEP_2)
	v_div_fmas_f32 v9, v9, v10, v11
	v_cmp_gt_f32_e32 vcc_lo, 0xf800000, v8
	v_div_fixup_f32 v9, v9, v8, 0x41000000
	s_delay_alu instid0(VALU_DEP_1) | instskip(NEXT) | instid1(VALU_DEP_1)
	v_dual_cndmask_b32 v8, v8, v12 :: v_dual_add_f32 v9, -2.0, v9
	v_sqrt_f32_e32 v12, v8
	v_nop
	s_delay_alu instid0(TRANS32_DEP_1) | instskip(NEXT) | instid1(VALU_DEP_1)
	v_dual_fmaak_f32 v10, s0, v9, 0xa397f665 :: v_dual_add_nc_u32 v13, -1, v12
	v_dual_fmaak_f32 v11, v9, v10, 0xa2c38d2e :: v_dual_add_nc_u32 v14, 1, v12
	s_delay_alu instid0(VALU_DEP_1) | instskip(NEXT) | instid1(VALU_DEP_1)
	v_dual_fma_f32 v15, -v13, v12, v8 :: v_dual_fma_f32 v16, -v14, v12, v8
	v_cmp_ge_f32_e64 s0, 0, v15
	s_delay_alu instid0(VALU_DEP_1) | instskip(NEXT) | instid1(VALU_DEP_3)
	v_cndmask_b32_e64 v12, v12, v13, s0
	v_cmp_lt_f32_e64 s0, 0, v16
	s_delay_alu instid0(VALU_DEP_1) | instskip(SKIP_1) | instid1(VALU_DEP_1)
	v_cndmask_b32_e64 v12, v12, v14, s0
	v_add_f32_e32 v11, 0x24704972, v11
	v_fma_f32 v10, v9, v11, -v10
	s_delay_alu instid0(VALU_DEP_1) | instskip(NEXT) | instid1(VALU_DEP_1)
	v_add_f32_e32 v10, 0xa5417ca4, v10
	v_fma_f32 v11, v9, v10, -v11
	s_delay_alu instid0(VALU_DEP_1) | instskip(NEXT) | instid1(VALU_DEP_1)
	;; [unrolled: 3-line block ×21, first 2 shown]
	v_add_f32_e32 v10, 0xbd00cfb9, v10
	v_fma_f32 v9, v9, v10, -v11
	v_mul_f32_e32 v10, 0x37800000, v12
	s_delay_alu instid0(VALU_DEP_1) | instskip(SKIP_1) | instid1(VALU_DEP_2)
	v_dual_add_f32 v9, 0x401c2ded, v9 :: v_dual_cndmask_b32 v10, v12, v10
	v_cmp_class_f32_e64 vcc_lo, v8, 0x260
	v_dual_sub_f32 v9, v9, v11 :: v_dual_cndmask_b32 v8, v10, v8
	s_delay_alu instid0(VALU_DEP_1) | instskip(NEXT) | instid1(VALU_DEP_1)
	v_mul_f32_e32 v9, 0.5, v9
	v_div_scale_f32 v10, null, v8, v8, v9
	s_delay_alu instid0(VALU_DEP_1) | instskip(SKIP_1) | instid1(TRANS32_DEP_1)
	v_rcp_f32_e32 v11, v10
	v_nop
	v_fma_f32 v12, -v10, v11, 1.0
	s_delay_alu instid0(VALU_DEP_1) | instskip(SKIP_1) | instid1(VALU_DEP_1)
	v_fmac_f32_e32 v11, v12, v11
	v_div_scale_f32 v12, vcc_lo, v9, v8, v9
	v_mul_f32_e32 v13, v12, v11
	s_delay_alu instid0(VALU_DEP_1) | instskip(NEXT) | instid1(VALU_DEP_1)
	v_fma_f32 v14, -v10, v13, v12
	v_fmac_f32_e32 v13, v14, v11
	s_delay_alu instid0(VALU_DEP_1) | instskip(NEXT) | instid1(VALU_DEP_1)
	v_fma_f32 v10, -v10, v13, v12
	v_div_fmas_f32 v10, v10, v11, v13
	s_delay_alu instid0(VALU_DEP_1)
	v_div_fixup_f32 v10, v10, v8, v9
.LBB17_78:
	s_or_b32 exec_lo, exec_lo, s3
.LBB17_79:
	s_delay_alu instid0(SALU_CYCLE_1)
	s_or_b32 exec_lo, exec_lo, s2
.LBB17_80:
	s_delay_alu instid0(SALU_CYCLE_1)
	s_or_b32 exec_lo, exec_lo, s1
	global_load_b32 v8, v5, s[6:7]
	s_mov_b32 s1, exec_lo
	s_wait_loadcnt 0x0
	v_cmpx_neq_f32_e32 0, v8
	s_cbranch_execz .LBB17_88
; %bb.81:
	v_mov_b32_e32 v3, 0x7fc00000
	s_mov_b32 s2, exec_lo
	v_cmpx_ngt_f32_e32 0, v8
	s_cbranch_execz .LBB17_87
; %bb.82:
                                        ; implicit-def: $vgpr3
	s_mov_b32 s0, exec_lo
	v_cmpx_ge_f32_e32 2.0, v8
	s_xor_b32 s3, exec_lo, s0
	s_cbranch_execz .LBB17_84
; %bb.83:
	v_mov_b32_e32 v9, 0.5
	s_mov_b32 s0, 0xa2a2e5b9
	v_mov_b64_e32 v[16:17], 0x3ad6e3ac293fd856
	v_mov_b64_e32 v[20:21], 0xbb8db2f12d3612e2
	;; [unrolled: 1-line block ×3, first 2 shown]
	v_pk_fma_f32 v[12:13], v[8:9], v[8:9], -2.0 op_sel_hi:[0,1,0]
	s_delay_alu instid0(VALU_DEP_1) | instskip(NEXT) | instid1(VALU_DEP_2)
	v_fmaak_f32 v3, s0, v13, 0x24199b15
	v_mul_f32_e32 v18, 0x251e770f, v12
	s_mov_b32 s0, 0xa51e770f
	s_delay_alu instid0(VALU_DEP_2) | instskip(NEXT) | instid1(VALU_DEP_1)
	v_fmaak_f32 v5, v13, v3, 0x22a2e5b9
	v_add_f32_e32 v5, 0xa58c275c, v5
	s_delay_alu instid0(VALU_DEP_1) | instskip(SKIP_1) | instid1(VALU_DEP_2)
	v_fma_f32 v3, v13, v5, -v3
	v_pk_mul_f32 v[22:23], v[8:9], v[8:9] op_sel_hi:[0,1]
	v_add_f32_e32 v3, 0x26f736c5, v3
	s_delay_alu instid0(VALU_DEP_2) | instskip(NEXT) | instid1(VALU_DEP_2)
	v_cmp_gt_f32_e32 vcc_lo, 0x800000, v23
	v_fma_f32 v5, v13, v3, -v5
	s_delay_alu instid0(VALU_DEP_1) | instskip(NEXT) | instid1(VALU_DEP_1)
	v_add_f32_e32 v5, 0xa8528116, v5
	v_fma_f32 v3, v13, v5, -v3
	s_delay_alu instid0(VALU_DEP_1) | instskip(NEXT) | instid1(VALU_DEP_1)
	v_add_f32_e32 v3, 0x29acda32, v3
	;; [unrolled: 3-line block ×17, first 2 shown]
	v_fma_f32 v19, v13, v15, -v3
	v_mul_f32_e32 v3, 0x3fb8aa3b, v8
	s_delay_alu instid0(VALU_DEP_1) | instskip(SKIP_1) | instid1(VALU_DEP_2)
	v_rndne_f32_e32 v5, v3
	v_fma_f32 v11, 0x3fb8aa3b, v8, -v3
	v_sub_f32_e32 v3, v3, v5
	v_pk_add_f32 v[16:17], v[18:19], v[16:17]
	s_delay_alu instid0(VALU_DEP_3)
	v_fmamk_f32 v11, v8, 0x32a5705f, v11
	v_mov_b32_e32 v14, 0xa51e770f
	v_mov_b64_e32 v[18:19], s[0:1]
	v_cvt_i32_f32_e32 v5, v5
	v_cmp_ngt_f32_e64 s0, 0xc2ce8ed0, v8
	v_add_f32_e32 v3, v3, v11
	v_pk_fma_f32 v[14:15], v[12:13], v[16:17], v[14:15] neg_lo:[0,0,1] neg_hi:[0,0,1]
	v_pk_fma_f32 v[18:19], v[12:13], v[16:17], v[18:19]
	s_delay_alu instid0(VALU_DEP_3) | instskip(NEXT) | instid1(VALU_DEP_2)
	v_exp_f32_e32 v3, v3
	v_mov_b32_e32 v19, v15
	s_delay_alu instid0(VALU_DEP_1) | instskip(SKIP_2) | instid1(TRANS32_DEP_1)
	v_pk_add_f32 v[14:15], v[18:19], v[20:21]
	v_mov_b64_e32 v[18:19], 0x3c2ccb103102e09b
	v_mov_b64_e32 v[20:21], 0xc000000037bfc808
	v_ldexp_f32 v3, v3, v5
	s_delay_alu instid0(VALU_DEP_4) | instskip(NEXT) | instid1(VALU_DEP_2)
	v_pk_fma_f32 v[16:17], v[12:13], v[14:15], v[16:17] neg_lo:[0,0,1] neg_hi:[0,0,1]
	v_cndmask_b32_e64 v3, 0, v3, s0
	v_cmp_nlt_f32_e64 s0, 0x42b17218, v8
	s_delay_alu instid0(VALU_DEP_3) | instskip(SKIP_1) | instid1(VALU_DEP_2)
	v_pk_add_f32 v[16:17], v[16:17], v[18:19]
	v_mov_b64_e32 v[18:19], 0xbcc274f8348815e7
	v_pk_fma_f32 v[14:15], v[12:13], v[16:17], v[14:15] neg_lo:[0,0,1] neg_hi:[0,0,1]
	s_delay_alu instid0(VALU_DEP_1) | instskip(SKIP_1) | instid1(VALU_DEP_2)
	v_pk_add_f32 v[14:15], v[14:15], v[18:19]
	v_mov_b64_e32 v[18:19], 0x3d49f45637bfc808
	v_pk_fma_f32 v[16:17], v[12:13], v[14:15], v[16:17] neg_lo:[0,0,1] neg_hi:[0,0,1]
	s_delay_alu instid0(VALU_DEP_1) | instskip(NEXT) | instid1(VALU_DEP_2)
	v_mov_b32_e32 v22, v16
	v_pk_add_f32 v[16:17], v[16:17], v[18:19]
	v_mov_b32_e32 v18, v12
	s_delay_alu instid0(VALU_DEP_3) | instskip(NEXT) | instid1(VALU_DEP_3)
	v_pk_add_f32 v[20:21], v[22:23], v[20:21]
	v_mov_b32_e32 v19, v17
	s_delay_alu instid0(VALU_DEP_1) | instskip(SKIP_2) | instid1(VALU_DEP_3)
	v_pk_fma_f32 v[14:15], v[20:21], v[18:19], v[14:15] neg_lo:[0,0,1] neg_hi:[0,0,1]
	v_mov_b64_e32 v[18:19], 0x3e2fbd643d135fb3
	v_cndmask_b32_e64 v20, 0, 32, vcc_lo
	v_pk_add_f32 v[14:15], v[14:15], v[24:25]
	s_delay_alu instid0(VALU_DEP_1) | instskip(NEXT) | instid1(VALU_DEP_1)
	v_pk_fma_f32 v[16:17], v[12:13], v[14:15], v[16:17] neg_lo:[0,0,1] neg_hi:[0,0,1]
	v_pk_add_f32 v[16:17], v[16:17], v[18:19]
	s_delay_alu instid0(VALU_DEP_4) | instskip(SKIP_2) | instid1(VALU_DEP_4)
	v_ldexp_f32 v18, v23, v20
	v_cndmask_b32_e64 v19, 0x7f800000, v3, s0
	v_cndmask_b32_e64 v3, 0, 0x41b17218, vcc_lo
	v_pk_fma_f32 v[14:15], v[12:13], v[16:17], v[14:15] neg_lo:[0,0,1] neg_hi:[0,0,1]
	s_delay_alu instid0(VALU_DEP_4) | instskip(NEXT) | instid1(VALU_DEP_1)
	v_log_f32_e32 v11, v18
	v_add_f32_e32 v15, 0xbe9bff5e, v15
	s_delay_alu instid0(TRANS32_DEP_1) | instskip(SKIP_1) | instid1(VALU_DEP_3)
	v_mul_f32_e32 v18, 0x3f317217, v11
	v_cmp_gt_f32_e64 vcc_lo, 0x7f800000, |v11|
	v_fma_f32 v13, v13, v15, -v17
	s_delay_alu instid0(VALU_DEP_3) | instskip(NEXT) | instid1(VALU_DEP_2)
	v_fma_f32 v5, 0x3f317217, v11, -v18
	v_dual_mov_b32 v18, v16 :: v_dual_add_f32 v13, 0x3f2d4275, v13
	s_delay_alu instid0(VALU_DEP_2) | instskip(NEXT) | instid1(VALU_DEP_1)
	v_fmamk_f32 v5, v11, 0x3377d1cf, v5
	v_fmac_f32_e32 v5, 0x3f317217, v11
	s_delay_alu instid0(VALU_DEP_1) | instskip(NEXT) | instid1(VALU_DEP_1)
	v_dual_cndmask_b32 v5, v11, v5 :: v_dual_add_f32 v14, 0x3eb046c4, v14
	v_mul_f32_e32 v12, v12, v14
	v_mov_b32_e32 v14, 0xbf090b37
	s_delay_alu instid0(VALU_DEP_2) | instskip(NEXT) | instid1(VALU_DEP_1)
	v_pk_add_f32 v[12:13], v[12:13], v[16:17] neg_lo:[0,1] neg_hi:[0,1]
	v_pk_mul_f32 v[20:21], v[12:13], v[8:9]
	s_delay_alu instid0(VALU_DEP_3) | instskip(NEXT) | instid1(VALU_DEP_2)
	v_pk_add_f32 v[12:13], v[12:13], v[14:15]
	v_pk_mul_f32 v[14:15], v[20:21], v[18:19]
	s_delay_alu instid0(VALU_DEP_2) | instskip(SKIP_1) | instid1(VALU_DEP_3)
	v_pk_add_f32 v[12:13], v[12:13], v[16:17] neg_lo:[0,1] neg_hi:[0,1]
	v_sub_f32_e32 v21, v5, v3
	v_dual_mov_b32 v20, v9 :: v_dual_mov_b32 v13, v15
	s_delay_alu instid0(VALU_DEP_1) | instskip(NEXT) | instid1(VALU_DEP_1)
	v_pk_mul_f32 v[8:9], v[20:21], v[12:13]
	v_sub_f32_e32 v3, v8, v9
                                        ; implicit-def: $vgpr8
	s_delay_alu instid0(VALU_DEP_1)
	v_mul_f32_e32 v3, v19, v3
.LBB17_84:
	s_and_not1_saveexec_b32 s3, s3
	s_cbranch_execz .LBB17_86
; %bb.85:
	v_div_scale_f32 v3, null, v8, v8, 0x41000000
	v_div_scale_f32 v11, vcc_lo, 0x41000000, v8, 0x41000000
	s_mov_b32 s0, 0x22c38d2e
	v_rcp_f32_e32 v5, v3
	v_nop
	s_delay_alu instid0(TRANS32_DEP_1) | instskip(NEXT) | instid1(VALU_DEP_1)
	v_fma_f32 v9, -v3, v5, 1.0
	v_fmac_f32_e32 v5, v9, v5
	s_delay_alu instid0(VALU_DEP_1) | instskip(NEXT) | instid1(VALU_DEP_1)
	v_mul_f32_e32 v9, v11, v5
	v_fma_f32 v12, -v3, v9, v11
	s_delay_alu instid0(VALU_DEP_1) | instskip(NEXT) | instid1(VALU_DEP_1)
	v_fmac_f32_e32 v9, v12, v5
	v_fma_f32 v3, -v3, v9, v11
	v_mul_f32_e32 v11, 0x4f800000, v8
	s_delay_alu instid0(VALU_DEP_2) | instskip(SKIP_1) | instid1(VALU_DEP_2)
	v_div_fmas_f32 v3, v3, v5, v9
	v_cmp_gt_f32_e32 vcc_lo, 0xf800000, v8
	v_div_fixup_f32 v3, v3, v8, 0x41000000
	s_delay_alu instid0(VALU_DEP_4) | instskip(NEXT) | instid1(VALU_DEP_2)
	v_cndmask_b32_e32 v8, v8, v11, vcc_lo
	v_add_f32_e32 v3, -2.0, v3
	s_delay_alu instid0(VALU_DEP_2) | instskip(NEXT) | instid1(VALU_DEP_1)
	v_sqrt_f32_e32 v11, v8
	v_fmaak_f32 v5, s0, v3, 0xa397f665
	s_delay_alu instid0(TRANS32_DEP_1) | instskip(NEXT) | instid1(VALU_DEP_2)
	v_dual_add_nc_u32 v12, -1, v11 :: v_dual_add_nc_u32 v13, 1, v11
	v_fmaak_f32 v9, v3, v5, 0xa2c38d2e
	s_delay_alu instid0(VALU_DEP_2) | instskip(NEXT) | instid1(VALU_DEP_2)
	v_dual_fma_f32 v14, -v12, v11, v8 :: v_dual_fma_f32 v15, -v13, v11, v8
	v_add_f32_e32 v9, 0x24704972, v9
	s_delay_alu instid0(VALU_DEP_2) | instskip(NEXT) | instid1(VALU_DEP_2)
	v_cmp_ge_f32_e64 s0, 0, v14
	v_fma_f32 v5, v3, v9, -v5
	s_delay_alu instid0(VALU_DEP_2) | instskip(SKIP_1) | instid1(VALU_DEP_3)
	v_cndmask_b32_e64 v11, v11, v12, s0
	v_cmp_lt_f32_e64 s0, 0, v15
	v_add_f32_e32 v5, 0xa5417ca4, v5
	s_delay_alu instid0(VALU_DEP_2) | instskip(NEXT) | instid1(VALU_DEP_2)
	v_cndmask_b32_e64 v11, v11, v13, s0
	v_fma_f32 v9, v3, v5, -v9
	s_delay_alu instid0(VALU_DEP_1) | instskip(NEXT) | instid1(VALU_DEP_1)
	v_add_f32_e32 v9, 0x261edfcb, v9
	v_fma_f32 v5, v3, v9, -v5
	s_delay_alu instid0(VALU_DEP_1) | instskip(NEXT) | instid1(VALU_DEP_1)
	v_add_f32_e32 v5, 0xa7053487, v5
	;; [unrolled: 3-line block ×20, first 2 shown]
	v_fma_f32 v3, v3, v5, -v9
	v_mul_f32_e32 v5, 0x37800000, v11
	s_delay_alu instid0(VALU_DEP_2) | instskip(NEXT) | instid1(VALU_DEP_2)
	v_add_f32_e32 v3, 0x401c2ded, v3
	v_cndmask_b32_e32 v5, v11, v5, vcc_lo
	v_cmp_class_f32_e64 vcc_lo, v8, 0x260
	s_delay_alu instid0(VALU_DEP_1) | instskip(NEXT) | instid1(VALU_DEP_1)
	v_dual_sub_f32 v3, v3, v9 :: v_dual_cndmask_b32 v5, v5, v8, vcc_lo
	v_mul_f32_e32 v3, 0.5, v3
	s_delay_alu instid0(VALU_DEP_1) | instskip(NEXT) | instid1(VALU_DEP_1)
	v_div_scale_f32 v8, null, v5, v5, v3
	v_rcp_f32_e32 v9, v8
	v_nop
	s_delay_alu instid0(TRANS32_DEP_1) | instskip(NEXT) | instid1(VALU_DEP_1)
	v_fma_f32 v11, -v8, v9, 1.0
	v_fmac_f32_e32 v9, v11, v9
	v_div_scale_f32 v11, vcc_lo, v3, v5, v3
	s_delay_alu instid0(VALU_DEP_1) | instskip(NEXT) | instid1(VALU_DEP_1)
	v_mul_f32_e32 v12, v11, v9
	v_fma_f32 v13, -v8, v12, v11
	s_delay_alu instid0(VALU_DEP_1) | instskip(NEXT) | instid1(VALU_DEP_1)
	v_fmac_f32_e32 v12, v13, v9
	v_fma_f32 v8, -v8, v12, v11
	s_delay_alu instid0(VALU_DEP_1) | instskip(NEXT) | instid1(VALU_DEP_1)
	v_div_fmas_f32 v8, v8, v9, v12
	v_div_fixup_f32 v3, v8, v5, v3
.LBB17_86:
	s_or_b32 exec_lo, exec_lo, s3
.LBB17_87:
	s_delay_alu instid0(SALU_CYCLE_1)
	s_or_b32 exec_lo, exec_lo, s2
.LBB17_88:
	s_delay_alu instid0(SALU_CYCLE_1)
	s_or_b32 exec_lo, exec_lo, s1
	global_load_b32 v8, v1, s[6:7]
	s_wait_xcnt 0x0
	v_mov_b32_e32 v1, 0x7f800000
	v_mov_b32_e32 v5, 0x7f800000
	s_mov_b32 s1, exec_lo
	s_wait_loadcnt 0x0
	v_cmpx_neq_f32_e32 0, v8
	s_cbranch_execz .LBB17_96
; %bb.89:
	v_mov_b32_e32 v5, 0x7fc00000
	s_mov_b32 s2, exec_lo
	v_cmpx_ngt_f32_e32 0, v8
	s_cbranch_execz .LBB17_95
; %bb.90:
                                        ; implicit-def: $vgpr5
	s_mov_b32 s0, exec_lo
	v_cmpx_ge_f32_e32 2.0, v8
	s_xor_b32 s3, exec_lo, s0
	s_cbranch_execz .LBB17_92
; %bb.91:
	v_mov_b32_e32 v9, 0.5
	s_mov_b32 s0, 0xa2a2e5b9
	v_mov_b64_e32 v[16:17], 0x3ad6e3ac293fd856
	v_mov_b64_e32 v[20:21], 0xbb8db2f12d3612e2
	;; [unrolled: 1-line block ×3, first 2 shown]
	v_pk_fma_f32 v[12:13], v[8:9], v[8:9], -2.0 op_sel_hi:[0,1,0]
	s_delay_alu instid0(VALU_DEP_1) | instskip(NEXT) | instid1(VALU_DEP_2)
	v_fmaak_f32 v5, s0, v13, 0x24199b15
	v_mul_f32_e32 v18, 0x251e770f, v12
	s_mov_b32 s0, 0xa51e770f
	s_delay_alu instid0(VALU_DEP_2) | instskip(NEXT) | instid1(VALU_DEP_1)
	v_fmaak_f32 v11, v13, v5, 0x22a2e5b9
	v_add_f32_e32 v11, 0xa58c275c, v11
	s_delay_alu instid0(VALU_DEP_1) | instskip(SKIP_1) | instid1(VALU_DEP_2)
	v_fma_f32 v5, v13, v11, -v5
	v_pk_mul_f32 v[22:23], v[8:9], v[8:9] op_sel_hi:[0,1]
	v_add_f32_e32 v5, 0x26f736c5, v5
	s_delay_alu instid0(VALU_DEP_2) | instskip(NEXT) | instid1(VALU_DEP_2)
	v_cmp_gt_f32_e32 vcc_lo, 0x800000, v23
	v_fma_f32 v11, v13, v5, -v11
	s_delay_alu instid0(VALU_DEP_1) | instskip(NEXT) | instid1(VALU_DEP_1)
	v_add_f32_e32 v11, 0xa8528116, v11
	v_fma_f32 v5, v13, v11, -v5
	s_delay_alu instid0(VALU_DEP_1) | instskip(NEXT) | instid1(VALU_DEP_1)
	v_add_f32_e32 v5, 0x29acda32, v5
	;; [unrolled: 3-line block ×17, first 2 shown]
	v_fma_f32 v19, v13, v15, -v5
	v_mul_f32_e32 v5, 0x3fb8aa3b, v8
	s_delay_alu instid0(VALU_DEP_2) | instskip(NEXT) | instid1(VALU_DEP_2)
	v_pk_add_f32 v[16:17], v[18:19], v[16:17]
	v_rndne_f32_e32 v11, v5
	v_mov_b32_e32 v14, 0xa51e770f
	v_mov_b64_e32 v[18:19], s[0:1]
	v_cmp_ngt_f32_e64 s0, 0xc2ce8ed0, v8
	s_delay_alu instid0(VALU_DEP_3) | instskip(NEXT) | instid1(VALU_DEP_3)
	v_pk_fma_f32 v[14:15], v[12:13], v[16:17], v[14:15] neg_lo:[0,0,1] neg_hi:[0,0,1]
	v_pk_fma_f32 v[18:19], v[12:13], v[16:17], v[18:19]
	s_delay_alu instid0(VALU_DEP_2) | instskip(NEXT) | instid1(VALU_DEP_1)
	v_mov_b32_e32 v19, v15
	v_pk_add_f32 v[14:15], v[18:19], v[20:21]
	v_mov_b64_e32 v[18:19], 0x3c2ccb103102e09b
	v_mov_b64_e32 v[20:21], 0xc000000037bfc808
	s_delay_alu instid0(VALU_DEP_3) | instskip(NEXT) | instid1(VALU_DEP_1)
	v_pk_fma_f32 v[16:17], v[12:13], v[14:15], v[16:17] neg_lo:[0,0,1] neg_hi:[0,0,1]
	v_pk_add_f32 v[16:17], v[16:17], v[18:19]
	v_mov_b64_e32 v[18:19], 0xbcc274f8348815e7
	s_delay_alu instid0(VALU_DEP_2) | instskip(NEXT) | instid1(VALU_DEP_1)
	v_pk_fma_f32 v[14:15], v[12:13], v[16:17], v[14:15] neg_lo:[0,0,1] neg_hi:[0,0,1]
	v_pk_add_f32 v[14:15], v[14:15], v[18:19]
	v_mov_b64_e32 v[18:19], 0x3d49f45637bfc808
	s_delay_alu instid0(VALU_DEP_2) | instskip(NEXT) | instid1(VALU_DEP_1)
	v_pk_fma_f32 v[16:17], v[12:13], v[14:15], v[16:17] neg_lo:[0,0,1] neg_hi:[0,0,1]
	v_mov_b32_e32 v22, v16
	s_delay_alu instid0(VALU_DEP_2) | instskip(SKIP_1) | instid1(VALU_DEP_3)
	v_pk_add_f32 v[16:17], v[16:17], v[18:19]
	v_mov_b32_e32 v18, v12
	v_pk_add_f32 v[20:21], v[22:23], v[20:21]
	s_delay_alu instid0(VALU_DEP_3) | instskip(NEXT) | instid1(VALU_DEP_1)
	v_mov_b32_e32 v19, v17
	v_pk_fma_f32 v[14:15], v[20:21], v[18:19], v[14:15] neg_lo:[0,0,1] neg_hi:[0,0,1]
	v_mov_b64_e32 v[18:19], 0x3e2fbd643d135fb3
	v_cndmask_b32_e64 v21, 0, 32, vcc_lo
	v_fma_f32 v20, 0x3fb8aa3b, v8, -v5
	v_sub_f32_e32 v5, v5, v11
	v_pk_add_f32 v[14:15], v[14:15], v[24:25]
	v_cvt_i32_f32_e32 v11, v11
	s_delay_alu instid0(VALU_DEP_4) | instskip(NEXT) | instid1(VALU_DEP_3)
	v_fmamk_f32 v20, v8, 0x32a5705f, v20
	v_pk_fma_f32 v[16:17], v[12:13], v[14:15], v[16:17] neg_lo:[0,0,1] neg_hi:[0,0,1]
	s_delay_alu instid0(VALU_DEP_1) | instskip(SKIP_1) | instid1(VALU_DEP_2)
	v_pk_add_f32 v[16:17], v[16:17], v[18:19]
	v_ldexp_f32 v18, v23, v21
	v_pk_fma_f32 v[14:15], v[12:13], v[16:17], v[14:15] neg_lo:[0,0,1] neg_hi:[0,0,1]
	s_delay_alu instid0(VALU_DEP_2) | instskip(SKIP_1) | instid1(VALU_DEP_2)
	v_log_f32_e32 v22, v18
	v_add_f32_e32 v5, v5, v20
	v_add_f32_e32 v15, 0xbe9bff5e, v15
	s_delay_alu instid0(VALU_DEP_3) | instskip(NEXT) | instid1(TRANS32_DEP_1)
	v_add_f32_e32 v14, 0x3eb046c4, v14
	v_mul_f32_e32 v18, 0x3f317217, v22
	s_delay_alu instid0(VALU_DEP_4) | instskip(NEXT) | instid1(VALU_DEP_2)
	v_exp_f32_e32 v5, v5
	v_dual_fma_f32 v13, v13, v15, -v17 :: v_dual_mul_f32 v12, v12, v14
	v_mov_b32_e32 v14, 0xbf090b37
	s_delay_alu instid0(VALU_DEP_2) | instskip(NEXT) | instid1(TRANS32_DEP_1)
	v_add_f32_e32 v13, 0x3f2d4275, v13
	v_ldexp_f32 v5, v5, v11
	v_fma_f32 v11, 0x3f317217, v22, -v18
	v_mov_b32_e32 v18, v16
	s_delay_alu instid0(VALU_DEP_4) | instskip(NEXT) | instid1(VALU_DEP_4)
	v_pk_add_f32 v[12:13], v[12:13], v[16:17] neg_lo:[0,1] neg_hi:[0,1]
	v_cndmask_b32_e64 v5, 0, v5, s0
	s_delay_alu instid0(VALU_DEP_4) | instskip(SKIP_1) | instid1(VALU_DEP_4)
	v_fmamk_f32 v11, v22, 0x3377d1cf, v11
	v_cmp_nlt_f32_e64 s0, 0x42b17218, v8
	v_pk_mul_f32 v[20:21], v[12:13], v[8:9]
	v_pk_add_f32 v[12:13], v[12:13], v[14:15]
	s_delay_alu instid0(VALU_DEP_4) | instskip(NEXT) | instid1(VALU_DEP_4)
	v_fmac_f32_e32 v11, 0x3f317217, v22
	v_cndmask_b32_e64 v19, 0x7f800000, v5, s0
	v_cndmask_b32_e64 v5, 0, 0x41b17218, vcc_lo
	v_cmp_gt_f32_e64 vcc_lo, 0x7f800000, |v22|
	v_pk_add_f32 v[12:13], v[12:13], v[16:17] neg_lo:[0,1] neg_hi:[0,1]
	s_delay_alu instid0(VALU_DEP_4) | instskip(NEXT) | instid1(VALU_DEP_3)
	v_pk_mul_f32 v[14:15], v[20:21], v[18:19]
	v_dual_mov_b32 v20, v9 :: v_dual_cndmask_b32 v8, v22, v11, vcc_lo
	s_delay_alu instid0(VALU_DEP_1) | instskip(NEXT) | instid1(VALU_DEP_1)
	v_dual_mov_b32 v13, v15 :: v_dual_sub_f32 v21, v8, v5
	v_pk_mul_f32 v[8:9], v[20:21], v[12:13]
	s_delay_alu instid0(VALU_DEP_1) | instskip(NEXT) | instid1(VALU_DEP_1)
	v_sub_f32_e32 v5, v8, v9
                                        ; implicit-def: $vgpr8
	v_mul_f32_e32 v5, v19, v5
.LBB17_92:
	s_and_not1_saveexec_b32 s3, s3
	s_cbranch_execz .LBB17_94
; %bb.93:
	v_div_scale_f32 v5, null, v8, v8, 0x41000000
	v_div_scale_f32 v12, vcc_lo, 0x41000000, v8, 0x41000000
	s_mov_b32 s0, 0x22c38d2e
	v_rcp_f32_e32 v9, v5
	v_nop
	s_delay_alu instid0(TRANS32_DEP_1) | instskip(NEXT) | instid1(VALU_DEP_1)
	v_fma_f32 v11, -v5, v9, 1.0
	v_fmac_f32_e32 v9, v11, v9
	s_delay_alu instid0(VALU_DEP_1) | instskip(NEXT) | instid1(VALU_DEP_1)
	v_mul_f32_e32 v11, v12, v9
	v_fma_f32 v13, -v5, v11, v12
	s_delay_alu instid0(VALU_DEP_1) | instskip(NEXT) | instid1(VALU_DEP_1)
	v_fmac_f32_e32 v11, v13, v9
	v_fma_f32 v5, -v5, v11, v12
	v_mul_f32_e32 v12, 0x4f800000, v8
	s_delay_alu instid0(VALU_DEP_2) | instskip(SKIP_1) | instid1(VALU_DEP_2)
	v_div_fmas_f32 v5, v5, v9, v11
	v_cmp_gt_f32_e32 vcc_lo, 0xf800000, v8
	v_div_fixup_f32 v5, v5, v8, 0x41000000
	s_delay_alu instid0(VALU_DEP_4) | instskip(NEXT) | instid1(VALU_DEP_1)
	v_cndmask_b32_e32 v8, v8, v12, vcc_lo
	v_sqrt_f32_e32 v12, v8
	v_nop
	s_delay_alu instid0(TRANS32_DEP_1) | instskip(NEXT) | instid1(VALU_DEP_1)
	v_dual_add_f32 v5, -2.0, v5 :: v_dual_add_nc_u32 v14, 1, v12
	v_fmaak_f32 v9, s0, v5, 0xa397f665
	s_delay_alu instid0(VALU_DEP_2) | instskip(NEXT) | instid1(VALU_DEP_2)
	v_dual_add_nc_u32 v13, -1, v12 :: v_dual_fma_f32 v16, -v14, v12, v8
	v_fmaak_f32 v11, v5, v9, 0xa2c38d2e
	s_delay_alu instid0(VALU_DEP_2) | instskip(NEXT) | instid1(VALU_DEP_2)
	v_fma_f32 v15, -v13, v12, v8
	v_add_f32_e32 v11, 0x24704972, v11
	s_delay_alu instid0(VALU_DEP_2) | instskip(NEXT) | instid1(VALU_DEP_1)
	v_cmp_ge_f32_e64 s0, 0, v15
	v_dual_fma_f32 v9, v5, v11, -v9 :: v_dual_cndmask_b32 v12, v12, v13, s0
	v_cmp_lt_f32_e64 s0, 0, v16
	s_delay_alu instid0(VALU_DEP_2) | instskip(NEXT) | instid1(VALU_DEP_1)
	v_add_f32_e32 v9, 0xa5417ca4, v9
	v_dual_cndmask_b32 v12, v12, v14, s0 :: v_dual_fma_f32 v11, v5, v9, -v11
	s_delay_alu instid0(VALU_DEP_1) | instskip(NEXT) | instid1(VALU_DEP_1)
	v_add_f32_e32 v11, 0x261edfcb, v11
	v_fma_f32 v9, v5, v11, -v9
	s_delay_alu instid0(VALU_DEP_1) | instskip(NEXT) | instid1(VALU_DEP_1)
	v_add_f32_e32 v9, 0xa7053487, v9
	v_fma_f32 v11, v5, v9, -v11
	;; [unrolled: 3-line block ×20, first 2 shown]
	v_mul_f32_e32 v9, 0x37800000, v12
	s_delay_alu instid0(VALU_DEP_2) | instskip(NEXT) | instid1(VALU_DEP_2)
	v_add_f32_e32 v5, 0x401c2ded, v5
	v_cndmask_b32_e32 v9, v12, v9, vcc_lo
	v_cmp_class_f32_e64 vcc_lo, v8, 0x260
	s_delay_alu instid0(VALU_DEP_3) | instskip(NEXT) | instid1(VALU_DEP_1)
	v_sub_f32_e32 v5, v5, v11
	v_dual_cndmask_b32 v8, v9, v8 :: v_dual_mul_f32 v5, 0.5, v5
	s_delay_alu instid0(VALU_DEP_1) | instskip(NEXT) | instid1(VALU_DEP_1)
	v_div_scale_f32 v9, null, v8, v8, v5
	v_rcp_f32_e32 v11, v9
	v_nop
	s_delay_alu instid0(TRANS32_DEP_1) | instskip(NEXT) | instid1(VALU_DEP_1)
	v_fma_f32 v12, -v9, v11, 1.0
	v_fmac_f32_e32 v11, v12, v11
	v_div_scale_f32 v12, vcc_lo, v5, v8, v5
	s_delay_alu instid0(VALU_DEP_1) | instskip(NEXT) | instid1(VALU_DEP_1)
	v_mul_f32_e32 v13, v12, v11
	v_fma_f32 v14, -v9, v13, v12
	s_delay_alu instid0(VALU_DEP_1) | instskip(NEXT) | instid1(VALU_DEP_1)
	v_fmac_f32_e32 v13, v14, v11
	v_fma_f32 v9, -v9, v13, v12
	s_delay_alu instid0(VALU_DEP_1) | instskip(NEXT) | instid1(VALU_DEP_1)
	v_div_fmas_f32 v9, v9, v11, v13
	v_div_fixup_f32 v5, v9, v8, v5
.LBB17_94:
	s_or_b32 exec_lo, exec_lo, s3
.LBB17_95:
	s_delay_alu instid0(SALU_CYCLE_1)
	s_or_b32 exec_lo, exec_lo, s2
.LBB17_96:
	s_delay_alu instid0(SALU_CYCLE_1)
	s_or_b32 exec_lo, exec_lo, s1
	global_load_b32 v8, v7, s[6:7]
	s_mov_b32 s1, exec_lo
	s_wait_loadcnt 0x0
	v_cmpx_neq_f32_e32 0, v8
	s_cbranch_execz .LBB17_104
; %bb.97:
	v_mov_b32_e32 v1, 0x7fc00000
	s_mov_b32 s2, exec_lo
	v_cmpx_ngt_f32_e32 0, v8
	s_cbranch_execz .LBB17_103
; %bb.98:
                                        ; implicit-def: $vgpr1
	s_mov_b32 s0, exec_lo
	v_cmpx_ge_f32_e32 2.0, v8
	s_xor_b32 s3, exec_lo, s0
	s_cbranch_execz .LBB17_100
; %bb.99:
	v_mov_b32_e32 v9, 0.5
	s_mov_b32 s0, 0xa2a2e5b9
	v_mov_b64_e32 v[16:17], 0x3ad6e3ac293fd856
	v_mov_b64_e32 v[20:21], 0xbb8db2f12d3612e2
	;; [unrolled: 1-line block ×3, first 2 shown]
	v_pk_fma_f32 v[12:13], v[8:9], v[8:9], -2.0 op_sel_hi:[0,1,0]
	s_delay_alu instid0(VALU_DEP_1) | instskip(NEXT) | instid1(VALU_DEP_2)
	v_fmaak_f32 v1, s0, v13, 0x24199b15
	v_mul_f32_e32 v18, 0x251e770f, v12
	s_mov_b32 s0, 0xa51e770f
	s_delay_alu instid0(VALU_DEP_2) | instskip(NEXT) | instid1(VALU_DEP_1)
	v_fmaak_f32 v7, v13, v1, 0x22a2e5b9
	v_add_f32_e32 v7, 0xa58c275c, v7
	s_delay_alu instid0(VALU_DEP_1) | instskip(SKIP_1) | instid1(VALU_DEP_2)
	v_fma_f32 v1, v13, v7, -v1
	v_pk_mul_f32 v[22:23], v[8:9], v[8:9] op_sel_hi:[0,1]
	v_add_f32_e32 v1, 0x26f736c5, v1
	s_delay_alu instid0(VALU_DEP_2) | instskip(NEXT) | instid1(VALU_DEP_2)
	v_cmp_gt_f32_e32 vcc_lo, 0x800000, v23
	v_fma_f32 v7, v13, v1, -v7
	s_delay_alu instid0(VALU_DEP_1) | instskip(NEXT) | instid1(VALU_DEP_1)
	v_add_f32_e32 v7, 0xa8528116, v7
	v_fma_f32 v1, v13, v7, -v1
	s_delay_alu instid0(VALU_DEP_1) | instskip(NEXT) | instid1(VALU_DEP_1)
	v_add_f32_e32 v1, 0x29acda32, v1
	;; [unrolled: 3-line block ×17, first 2 shown]
	v_fma_f32 v19, v13, v15, -v1
	v_mul_f32_e32 v1, 0x3fb8aa3b, v8
	s_delay_alu instid0(VALU_DEP_2) | instskip(NEXT) | instid1(VALU_DEP_2)
	v_pk_add_f32 v[16:17], v[18:19], v[16:17]
	v_rndne_f32_e32 v7, v1
	v_mov_b32_e32 v14, 0xa51e770f
	v_mov_b64_e32 v[18:19], s[0:1]
	v_fma_f32 v11, 0x3fb8aa3b, v8, -v1
	v_cmp_ngt_f32_e64 s0, 0xc2ce8ed0, v8
	v_sub_f32_e32 v1, v1, v7
	v_pk_fma_f32 v[14:15], v[12:13], v[16:17], v[14:15] neg_lo:[0,0,1] neg_hi:[0,0,1]
	v_cvt_i32_f32_e32 v7, v7
	v_fmamk_f32 v11, v8, 0x32a5705f, v11
	v_pk_fma_f32 v[18:19], v[12:13], v[16:17], v[18:19]
	s_delay_alu instid0(VALU_DEP_2) | instskip(NEXT) | instid1(VALU_DEP_1)
	v_dual_mov_b32 v19, v15 :: v_dual_add_f32 v1, v1, v11
	v_pk_add_f32 v[14:15], v[18:19], v[20:21]
	v_mov_b64_e32 v[18:19], 0x3c2ccb103102e09b
	v_mov_b64_e32 v[20:21], 0xc000000037bfc808
	s_delay_alu instid0(VALU_DEP_3) | instskip(NEXT) | instid1(VALU_DEP_1)
	v_pk_fma_f32 v[16:17], v[12:13], v[14:15], v[16:17] neg_lo:[0,0,1] neg_hi:[0,0,1]
	v_pk_add_f32 v[16:17], v[16:17], v[18:19]
	v_mov_b64_e32 v[18:19], 0xbcc274f8348815e7
	s_delay_alu instid0(VALU_DEP_2) | instskip(NEXT) | instid1(VALU_DEP_1)
	v_pk_fma_f32 v[14:15], v[12:13], v[16:17], v[14:15] neg_lo:[0,0,1] neg_hi:[0,0,1]
	v_pk_add_f32 v[14:15], v[14:15], v[18:19]
	v_mov_b64_e32 v[18:19], 0x3d49f45637bfc808
	s_delay_alu instid0(VALU_DEP_2) | instskip(NEXT) | instid1(VALU_DEP_1)
	v_pk_fma_f32 v[16:17], v[12:13], v[14:15], v[16:17] neg_lo:[0,0,1] neg_hi:[0,0,1]
	v_mov_b32_e32 v22, v16
	s_delay_alu instid0(VALU_DEP_2) | instskip(SKIP_1) | instid1(VALU_DEP_3)
	v_pk_add_f32 v[16:17], v[16:17], v[18:19]
	v_mov_b32_e32 v18, v12
	v_pk_add_f32 v[20:21], v[22:23], v[20:21]
	s_delay_alu instid0(VALU_DEP_3) | instskip(NEXT) | instid1(VALU_DEP_1)
	v_mov_b32_e32 v19, v17
	v_pk_fma_f32 v[14:15], v[20:21], v[18:19], v[14:15] neg_lo:[0,0,1] neg_hi:[0,0,1]
	v_mov_b64_e32 v[18:19], 0x3e2fbd643d135fb3
	v_cndmask_b32_e64 v20, 0, 32, vcc_lo
	s_delay_alu instid0(VALU_DEP_3) | instskip(NEXT) | instid1(VALU_DEP_1)
	v_pk_add_f32 v[14:15], v[14:15], v[24:25]
	v_pk_fma_f32 v[16:17], v[12:13], v[14:15], v[16:17] neg_lo:[0,0,1] neg_hi:[0,0,1]
	s_delay_alu instid0(VALU_DEP_1) | instskip(NEXT) | instid1(VALU_DEP_4)
	v_pk_add_f32 v[16:17], v[16:17], v[18:19]
	v_ldexp_f32 v18, v23, v20
	s_delay_alu instid0(VALU_DEP_2) | instskip(NEXT) | instid1(VALU_DEP_2)
	v_pk_fma_f32 v[14:15], v[12:13], v[16:17], v[14:15] neg_lo:[0,0,1] neg_hi:[0,0,1]
	v_log_f32_e32 v11, v18
	s_delay_alu instid0(VALU_DEP_1) | instskip(NEXT) | instid1(TRANS32_DEP_1)
	v_add_f32_e32 v15, 0xbe9bff5e, v15
	v_mul_f32_e32 v18, 0x3f317217, v11
	v_exp_f32_e32 v1, v1
	s_delay_alu instid0(VALU_DEP_2) | instskip(NEXT) | instid1(VALU_DEP_1)
	v_fma_f32 v13, v13, v15, -v17
	v_add_f32_e32 v13, 0x3f2d4275, v13
	s_delay_alu instid0(TRANS32_DEP_1) | instskip(SKIP_1) | instid1(VALU_DEP_2)
	v_ldexp_f32 v1, v1, v7
	v_fma_f32 v7, 0x3f317217, v11, -v18
	v_dual_mov_b32 v18, v16 :: v_dual_cndmask_b32 v1, 0, v1, s0
	s_delay_alu instid0(VALU_DEP_2) | instskip(SKIP_1) | instid1(VALU_DEP_2)
	v_fmamk_f32 v7, v11, 0x3377d1cf, v7
	v_cmp_nlt_f32_e64 s0, 0x42b17218, v8
	v_fmac_f32_e32 v7, 0x3f317217, v11
	s_delay_alu instid0(VALU_DEP_2) | instskip(SKIP_2) | instid1(VALU_DEP_4)
	v_cndmask_b32_e64 v19, 0x7f800000, v1, s0
	v_cndmask_b32_e64 v1, 0, 0x41b17218, vcc_lo
	v_cmp_gt_f32_e64 vcc_lo, 0x7f800000, |v11|
	v_dual_cndmask_b32 v7, v11, v7 :: v_dual_add_f32 v14, 0x3eb046c4, v14
	s_delay_alu instid0(VALU_DEP_1) | instskip(SKIP_1) | instid1(VALU_DEP_2)
	v_mul_f32_e32 v12, v12, v14
	v_mov_b32_e32 v14, 0xbf090b37
	v_pk_add_f32 v[12:13], v[12:13], v[16:17] neg_lo:[0,1] neg_hi:[0,1]
	s_delay_alu instid0(VALU_DEP_1) | instskip(NEXT) | instid1(VALU_DEP_3)
	v_pk_mul_f32 v[20:21], v[12:13], v[8:9]
	v_pk_add_f32 v[12:13], v[12:13], v[14:15]
	s_delay_alu instid0(VALU_DEP_2) | instskip(NEXT) | instid1(VALU_DEP_2)
	v_pk_mul_f32 v[14:15], v[20:21], v[18:19]
	v_pk_add_f32 v[12:13], v[12:13], v[16:17] neg_lo:[0,1] neg_hi:[0,1]
	v_dual_sub_f32 v21, v7, v1 :: v_dual_mov_b32 v20, v9
	s_delay_alu instid0(VALU_DEP_3) | instskip(NEXT) | instid1(VALU_DEP_1)
	v_mov_b32_e32 v13, v15
	v_pk_mul_f32 v[8:9], v[20:21], v[12:13]
	s_delay_alu instid0(VALU_DEP_1) | instskip(NEXT) | instid1(VALU_DEP_1)
	v_sub_f32_e32 v1, v8, v9
                                        ; implicit-def: $vgpr8
	v_mul_f32_e32 v1, v19, v1
.LBB17_100:
	s_and_not1_saveexec_b32 s3, s3
	s_cbranch_execz .LBB17_102
; %bb.101:
	v_div_scale_f32 v1, null, v8, v8, 0x41000000
	v_div_scale_f32 v11, vcc_lo, 0x41000000, v8, 0x41000000
	s_mov_b32 s0, 0x22c38d2e
	v_rcp_f32_e32 v7, v1
	v_nop
	s_delay_alu instid0(TRANS32_DEP_1) | instskip(NEXT) | instid1(VALU_DEP_1)
	v_fma_f32 v9, -v1, v7, 1.0
	v_fmac_f32_e32 v7, v9, v7
	s_delay_alu instid0(VALU_DEP_1) | instskip(NEXT) | instid1(VALU_DEP_1)
	v_mul_f32_e32 v9, v11, v7
	v_fma_f32 v12, -v1, v9, v11
	s_delay_alu instid0(VALU_DEP_1) | instskip(NEXT) | instid1(VALU_DEP_1)
	v_fmac_f32_e32 v9, v12, v7
	v_fma_f32 v1, -v1, v9, v11
	v_mul_f32_e32 v11, 0x4f800000, v8
	s_delay_alu instid0(VALU_DEP_2) | instskip(SKIP_1) | instid1(VALU_DEP_2)
	v_div_fmas_f32 v1, v1, v7, v9
	v_cmp_gt_f32_e32 vcc_lo, 0xf800000, v8
	v_div_fixup_f32 v1, v1, v8, 0x41000000
	s_delay_alu instid0(VALU_DEP_1) | instskip(NEXT) | instid1(VALU_DEP_1)
	v_dual_cndmask_b32 v8, v8, v11 :: v_dual_add_f32 v1, -2.0, v1
	v_sqrt_f32_e32 v11, v8
	v_nop
	s_delay_alu instid0(TRANS32_DEP_1) | instskip(SKIP_1) | instid1(VALU_DEP_2)
	v_dual_fmaak_f32 v7, s0, v1, 0xa397f665 :: v_dual_add_nc_u32 v12, -1, v11
	v_add_nc_u32_e32 v13, 1, v11
	v_fmaak_f32 v9, v1, v7, 0xa2c38d2e
	s_delay_alu instid0(VALU_DEP_2) | instskip(NEXT) | instid1(VALU_DEP_2)
	v_dual_fma_f32 v14, -v12, v11, v8 :: v_dual_fma_f32 v15, -v13, v11, v8
	v_add_f32_e32 v9, 0x24704972, v9
	s_delay_alu instid0(VALU_DEP_2) | instskip(NEXT) | instid1(VALU_DEP_1)
	v_cmp_ge_f32_e64 s0, 0, v14
	v_dual_fma_f32 v7, v1, v9, -v7 :: v_dual_cndmask_b32 v11, v11, v12, s0
	s_delay_alu instid0(VALU_DEP_4) | instskip(NEXT) | instid1(VALU_DEP_2)
	v_cmp_lt_f32_e64 s0, 0, v15
	v_add_f32_e32 v7, 0xa5417ca4, v7
	s_delay_alu instid0(VALU_DEP_1) | instskip(NEXT) | instid1(VALU_DEP_1)
	v_dual_cndmask_b32 v11, v11, v13, s0 :: v_dual_fma_f32 v9, v1, v7, -v9
	v_add_f32_e32 v9, 0x261edfcb, v9
	s_delay_alu instid0(VALU_DEP_1) | instskip(NEXT) | instid1(VALU_DEP_1)
	v_fma_f32 v7, v1, v9, -v7
	v_add_f32_e32 v7, 0xa7053487, v7
	s_delay_alu instid0(VALU_DEP_1) | instskip(NEXT) | instid1(VALU_DEP_1)
	v_fma_f32 v9, v1, v7, -v9
	;; [unrolled: 3-line block ×19, first 2 shown]
	v_add_f32_e32 v7, 0xbd00cfb9, v7
	s_delay_alu instid0(VALU_DEP_1) | instskip(SKIP_1) | instid1(VALU_DEP_2)
	v_fma_f32 v1, v1, v7, -v9
	v_mul_f32_e32 v7, 0x37800000, v11
	v_add_f32_e32 v1, 0x401c2ded, v1
	s_delay_alu instid0(VALU_DEP_2) | instskip(SKIP_1) | instid1(VALU_DEP_1)
	v_cndmask_b32_e32 v7, v11, v7, vcc_lo
	v_cmp_class_f32_e64 vcc_lo, v8, 0x260
	v_dual_sub_f32 v1, v1, v9 :: v_dual_cndmask_b32 v7, v7, v8, vcc_lo
	s_delay_alu instid0(VALU_DEP_1) | instskip(NEXT) | instid1(VALU_DEP_1)
	v_mul_f32_e32 v1, 0.5, v1
	v_div_scale_f32 v8, null, v7, v7, v1
	s_delay_alu instid0(VALU_DEP_1) | instskip(SKIP_1) | instid1(TRANS32_DEP_1)
	v_rcp_f32_e32 v9, v8
	v_nop
	v_fma_f32 v11, -v8, v9, 1.0
	s_delay_alu instid0(VALU_DEP_1) | instskip(SKIP_1) | instid1(VALU_DEP_1)
	v_fmac_f32_e32 v9, v11, v9
	v_div_scale_f32 v11, vcc_lo, v1, v7, v1
	v_mul_f32_e32 v12, v11, v9
	s_delay_alu instid0(VALU_DEP_1) | instskip(NEXT) | instid1(VALU_DEP_1)
	v_fma_f32 v13, -v8, v12, v11
	v_fmac_f32_e32 v12, v13, v9
	s_delay_alu instid0(VALU_DEP_1) | instskip(NEXT) | instid1(VALU_DEP_1)
	v_fma_f32 v8, -v8, v12, v11
	v_div_fmas_f32 v8, v8, v9, v12
	s_delay_alu instid0(VALU_DEP_1)
	v_div_fixup_f32 v1, v8, v7, v1
.LBB17_102:
	s_or_b32 exec_lo, exec_lo, s3
.LBB17_103:
	s_delay_alu instid0(SALU_CYCLE_1)
	s_or_b32 exec_lo, exec_lo, s2
.LBB17_104:
	s_delay_alu instid0(SALU_CYCLE_1)
	s_or_b32 exec_lo, exec_lo, s1
	s_clause 0x3
	global_store_b32 v2, v10, s[4:5]
	global_store_b32 v4, v3, s[4:5]
	;; [unrolled: 1-line block ×4, first 2 shown]
	s_endpgm
.LBB17_105:
	v_dual_mov_b32 v3, 0 :: v_dual_mov_b32 v2, 0
	s_branch .LBB17_111
.LBB17_106:
	v_dual_mov_b32 v3, 0 :: v_dual_mov_b32 v2, 0
	s_branch .LBB17_135
.LBB17_107:
	v_mov_b64_e32 v[2:3], 0
	v_mov_b32_e32 v1, v0
	s_mov_b32 s22, 0
.LBB17_108:
	s_and_b32 s0, s0, 3
	s_mov_b32 s23, 0
	s_cmp_eq_u32 s0, 0
	s_cbranch_scc1 .LBB17_111
; %bb.109:
	s_lshl_b32 s24, s22, 3
	s_mov_b32 s25, s23
	s_mul_u64 s[26:27], s[22:23], 12
	s_add_nc_u64 s[24:25], s[2:3], s[24:25]
	s_delay_alu instid0(SALU_CYCLE_1)
	s_add_nc_u64 s[22:23], s[24:25], 0xc4
	s_add_nc_u64 s[24:25], s[2:3], s[26:27]
.LBB17_110:                             ; =>This Inner Loop Header: Depth=1
	s_load_b96 s[40:42], s[24:25], 0x4
	s_load_b64 s[26:27], s[22:23], 0x0
	s_add_co_i32 s0, s0, -1
	s_wait_xcnt 0x0
	s_add_nc_u64 s[24:25], s[24:25], 12
	s_cmp_lg_u32 s0, 0
	s_add_nc_u64 s[22:23], s[22:23], 8
	s_wait_kmcnt 0x0
	v_mul_hi_u32 v4, s41, v1
	s_delay_alu instid0(VALU_DEP_1) | instskip(NEXT) | instid1(VALU_DEP_1)
	v_add_nc_u32_e32 v4, v1, v4
	v_lshrrev_b32_e32 v4, s42, v4
	s_delay_alu instid0(VALU_DEP_1) | instskip(NEXT) | instid1(VALU_DEP_1)
	v_mul_lo_u32 v5, v4, s40
	v_sub_nc_u32_e32 v1, v1, v5
	s_delay_alu instid0(VALU_DEP_1)
	v_mad_u32 v3, v1, s27, v3
	v_mad_u32 v2, v1, s26, v2
	v_mov_b32_e32 v1, v4
	s_cbranch_scc1 .LBB17_110
.LBB17_111:
	s_cbranch_execnz .LBB17_114
.LBB17_112:
	v_mov_b32_e32 v1, 0
	s_and_not1_b32 vcc_lo, exec_lo, s33
	s_delay_alu instid0(VALU_DEP_1) | instskip(NEXT) | instid1(VALU_DEP_1)
	v_mul_u64_e32 v[2:3], s[16:17], v[0:1]
	v_add_nc_u32_e32 v2, v0, v3
	s_delay_alu instid0(VALU_DEP_1) | instskip(NEXT) | instid1(VALU_DEP_1)
	v_lshrrev_b32_e32 v4, s10, v2
	v_mul_lo_u32 v2, v4, s8
	s_delay_alu instid0(VALU_DEP_1) | instskip(NEXT) | instid1(VALU_DEP_1)
	v_sub_nc_u32_e32 v2, v0, v2
	v_mul_lo_u32 v3, v2, s13
	v_mul_lo_u32 v2, v2, s12
	s_cbranch_vccnz .LBB17_114
; %bb.113:
	v_mov_b32_e32 v5, v1
	s_delay_alu instid0(VALU_DEP_1) | instskip(NEXT) | instid1(VALU_DEP_1)
	v_mul_u64_e32 v[6:7], s[18:19], v[4:5]
	v_add_nc_u32_e32 v1, v4, v7
	s_delay_alu instid0(VALU_DEP_1) | instskip(NEXT) | instid1(VALU_DEP_1)
	v_lshrrev_b32_e32 v1, s1, v1
	v_mul_lo_u32 v1, v1, s11
	s_delay_alu instid0(VALU_DEP_1) | instskip(NEXT) | instid1(VALU_DEP_1)
	v_sub_nc_u32_e32 v1, v4, v1
	v_mad_u32 v2, v1, s14, v2
	v_mad_u32 v3, v1, s15, v3
.LBB17_114:
	global_load_b32 v4, v3, s[6:7]
	v_mov_b32_e32 v1, 0x7f800000
	s_mov_b32 s22, exec_lo
	s_wait_loadcnt 0x0
	v_cmpx_neq_f32_e32 0, v4
	s_cbranch_execz .LBB17_122
; %bb.115:
	v_mov_b32_e32 v1, 0x7fc00000
	s_mov_b32 s23, exec_lo
	v_cmpx_ngt_f32_e32 0, v4
	s_cbranch_execz .LBB17_121
; %bb.116:
                                        ; implicit-def: $vgpr1
	s_mov_b32 s0, exec_lo
	v_cmpx_ge_f32_e32 2.0, v4
	s_xor_b32 s24, exec_lo, s0
	s_cbranch_execz .LBB17_118
; %bb.117:
	v_mov_b32_e32 v5, 0.5
	s_mov_b32 s0, 0xa2a2e5b9
	v_mov_b64_e32 v[10:11], 0x3ad6e3ac293fd856
	v_mov_b32_e32 v8, 0xa51e770f
	v_mov_b64_e32 v[14:15], 0xbb8db2f12d3612e2
	v_pk_fma_f32 v[6:7], v[4:5], v[4:5], -2.0 op_sel_hi:[0,1,0]
	v_mov_b64_e32 v[18:19], 0xbdc25b823aa5c174
	s_delay_alu instid0(VALU_DEP_2) | instskip(NEXT) | instid1(VALU_DEP_3)
	v_fmaak_f32 v1, s0, v7, 0x24199b15
	v_mul_f32_e32 v12, 0x251e770f, v6
	s_mov_b32 s0, 0xa51e770f
	s_delay_alu instid0(VALU_DEP_2) | instskip(NEXT) | instid1(VALU_DEP_1)
	v_fmaak_f32 v3, v7, v1, 0x22a2e5b9
	v_add_f32_e32 v3, 0xa58c275c, v3
	s_delay_alu instid0(VALU_DEP_1) | instskip(SKIP_1) | instid1(VALU_DEP_2)
	v_fma_f32 v1, v7, v3, -v1
	v_pk_mul_f32 v[16:17], v[4:5], v[4:5] op_sel_hi:[0,1]
	v_add_f32_e32 v1, 0x26f736c5, v1
	s_delay_alu instid0(VALU_DEP_2) | instskip(NEXT) | instid1(VALU_DEP_2)
	v_cmp_gt_f32_e32 vcc_lo, 0x800000, v17
	v_fma_f32 v3, v7, v1, -v3
	s_delay_alu instid0(VALU_DEP_1) | instskip(NEXT) | instid1(VALU_DEP_1)
	v_add_f32_e32 v3, 0xa8528116, v3
	v_fma_f32 v1, v7, v3, -v1
	s_delay_alu instid0(VALU_DEP_1) | instskip(NEXT) | instid1(VALU_DEP_1)
	v_add_f32_e32 v1, 0x29acda32, v1
	;; [unrolled: 3-line block ×17, first 2 shown]
	v_fma_f32 v13, v7, v9, -v1
	v_mul_f32_e32 v1, 0x3fb8aa3b, v4
	s_delay_alu instid0(VALU_DEP_2) | instskip(SKIP_1) | instid1(VALU_DEP_3)
	v_pk_add_f32 v[10:11], v[12:13], v[10:11]
	v_mov_b64_e32 v[12:13], s[0:1]
	v_rndne_f32_e32 v3, v1
	v_cmp_ngt_f32_e64 s0, 0xc2ce8ed0, v4
	s_delay_alu instid0(VALU_DEP_4) | instskip(NEXT) | instid1(VALU_DEP_4)
	v_pk_fma_f32 v[8:9], v[6:7], v[10:11], v[8:9] neg_lo:[0,0,1] neg_hi:[0,0,1]
	v_pk_fma_f32 v[12:13], v[6:7], v[10:11], v[12:13]
	s_delay_alu instid0(VALU_DEP_2) | instskip(NEXT) | instid1(VALU_DEP_1)
	v_mov_b32_e32 v13, v9
	v_pk_add_f32 v[8:9], v[12:13], v[14:15]
	v_mov_b64_e32 v[12:13], 0x3c2ccb103102e09b
	v_mov_b64_e32 v[14:15], 0xc000000037bfc808
	s_delay_alu instid0(VALU_DEP_3) | instskip(NEXT) | instid1(VALU_DEP_1)
	v_pk_fma_f32 v[10:11], v[6:7], v[8:9], v[10:11] neg_lo:[0,0,1] neg_hi:[0,0,1]
	v_pk_add_f32 v[10:11], v[10:11], v[12:13]
	v_mov_b64_e32 v[12:13], 0xbcc274f8348815e7
	s_delay_alu instid0(VALU_DEP_2) | instskip(NEXT) | instid1(VALU_DEP_1)
	v_pk_fma_f32 v[8:9], v[6:7], v[10:11], v[8:9] neg_lo:[0,0,1] neg_hi:[0,0,1]
	v_pk_add_f32 v[8:9], v[8:9], v[12:13]
	v_mov_b64_e32 v[12:13], 0x3d49f45637bfc808
	s_delay_alu instid0(VALU_DEP_2) | instskip(NEXT) | instid1(VALU_DEP_1)
	v_pk_fma_f32 v[10:11], v[6:7], v[8:9], v[10:11] neg_lo:[0,0,1] neg_hi:[0,0,1]
	v_mov_b32_e32 v16, v10
	s_delay_alu instid0(VALU_DEP_2) | instskip(SKIP_1) | instid1(VALU_DEP_3)
	v_pk_add_f32 v[10:11], v[10:11], v[12:13]
	v_mov_b32_e32 v12, v6
	v_pk_add_f32 v[14:15], v[16:17], v[14:15]
	s_delay_alu instid0(VALU_DEP_3) | instskip(NEXT) | instid1(VALU_DEP_1)
	v_mov_b32_e32 v13, v11
	v_pk_fma_f32 v[8:9], v[14:15], v[12:13], v[8:9] neg_lo:[0,0,1] neg_hi:[0,0,1]
	v_mov_b64_e32 v[12:13], 0x3e2fbd643d135fb3
	v_fma_f32 v14, 0x3fb8aa3b, v4, -v1
	v_cndmask_b32_e64 v15, 0, 32, vcc_lo
	v_sub_f32_e32 v1, v1, v3
	v_pk_add_f32 v[8:9], v[8:9], v[18:19]
	v_cvt_i32_f32_e32 v3, v3
	v_fmamk_f32 v14, v4, 0x32a5705f, v14
	s_delay_alu instid0(VALU_DEP_3) | instskip(NEXT) | instid1(VALU_DEP_2)
	v_pk_fma_f32 v[10:11], v[6:7], v[8:9], v[10:11] neg_lo:[0,0,1] neg_hi:[0,0,1]
	v_add_f32_e32 v1, v1, v14
	s_delay_alu instid0(VALU_DEP_2) | instskip(SKIP_1) | instid1(VALU_DEP_3)
	v_pk_add_f32 v[10:11], v[10:11], v[12:13]
	v_ldexp_f32 v12, v17, v15
	v_exp_f32_e32 v1, v1
	s_delay_alu instid0(VALU_DEP_2) | instskip(NEXT) | instid1(VALU_DEP_2)
	v_pk_fma_f32 v[8:9], v[6:7], v[10:11], v[8:9] neg_lo:[0,0,1] neg_hi:[0,0,1]
	v_log_f32_e32 v16, v12
	s_delay_alu instid0(TRANS32_DEP_2) | instskip(NEXT) | instid1(VALU_DEP_2)
	v_ldexp_f32 v1, v1, v3
	v_add_f32_e32 v9, 0xbe9bff5e, v9
	s_delay_alu instid0(VALU_DEP_3) | instskip(NEXT) | instid1(TRANS32_DEP_1)
	v_add_f32_e32 v8, 0x3eb046c4, v8
	v_mul_f32_e32 v12, 0x3f317217, v16
	s_delay_alu instid0(VALU_DEP_4) | instskip(NEXT) | instid1(VALU_DEP_3)
	v_cndmask_b32_e64 v1, 0, v1, s0
	v_dual_fma_f32 v7, v7, v9, -v11 :: v_dual_mul_f32 v6, v6, v8
	v_cmp_nlt_f32_e64 s0, 0x42b17218, v4
	s_delay_alu instid0(VALU_DEP_4) | instskip(SKIP_1) | instid1(VALU_DEP_4)
	v_fma_f32 v3, 0x3f317217, v16, -v12
	v_mov_b32_e32 v8, 0xbf090b37
	v_dual_add_f32 v7, 0x3f2d4275, v7 :: v_dual_mov_b32 v12, v10
	s_delay_alu instid0(VALU_DEP_4) | instskip(NEXT) | instid1(VALU_DEP_4)
	v_cndmask_b32_e64 v13, 0x7f800000, v1, s0
	v_fmamk_f32 v3, v16, 0x3377d1cf, v3
	v_cndmask_b32_e64 v1, 0, 0x41b17218, vcc_lo
	s_delay_alu instid0(VALU_DEP_4) | instskip(SKIP_1) | instid1(VALU_DEP_4)
	v_pk_add_f32 v[6:7], v[6:7], v[10:11] neg_lo:[0,1] neg_hi:[0,1]
	v_cmp_gt_f32_e64 vcc_lo, 0x7f800000, |v16|
	v_fmac_f32_e32 v3, 0x3f317217, v16
	s_delay_alu instid0(VALU_DEP_3) | instskip(SKIP_1) | instid1(VALU_DEP_3)
	v_pk_mul_f32 v[14:15], v[6:7], v[4:5]
	v_pk_add_f32 v[6:7], v[6:7], v[8:9]
	v_cndmask_b32_e32 v3, v16, v3, vcc_lo
	s_delay_alu instid0(VALU_DEP_3) | instskip(NEXT) | instid1(VALU_DEP_3)
	v_pk_mul_f32 v[8:9], v[14:15], v[12:13]
	v_pk_add_f32 v[6:7], v[6:7], v[10:11] neg_lo:[0,1] neg_hi:[0,1]
	s_delay_alu instid0(VALU_DEP_3) | instskip(NEXT) | instid1(VALU_DEP_3)
	v_dual_mov_b32 v14, v5 :: v_dual_sub_f32 v15, v3, v1
	v_mov_b32_e32 v7, v9
	s_delay_alu instid0(VALU_DEP_1) | instskip(NEXT) | instid1(VALU_DEP_1)
	v_pk_mul_f32 v[4:5], v[14:15], v[6:7]
	v_sub_f32_e32 v1, v4, v5
                                        ; implicit-def: $vgpr4
	s_delay_alu instid0(VALU_DEP_1)
	v_mul_f32_e32 v1, v13, v1
.LBB17_118:
	s_and_not1_saveexec_b32 s24, s24
	s_cbranch_execz .LBB17_120
; %bb.119:
	v_div_scale_f32 v1, null, v4, v4, 0x41000000
	v_div_scale_f32 v6, vcc_lo, 0x41000000, v4, 0x41000000
	s_mov_b32 s0, 0x22c38d2e
	v_rcp_f32_e32 v3, v1
	v_nop
	s_delay_alu instid0(TRANS32_DEP_1) | instskip(NEXT) | instid1(VALU_DEP_1)
	v_fma_f32 v5, -v1, v3, 1.0
	v_fmac_f32_e32 v3, v5, v3
	s_delay_alu instid0(VALU_DEP_1) | instskip(NEXT) | instid1(VALU_DEP_1)
	v_mul_f32_e32 v5, v6, v3
	v_fma_f32 v7, -v1, v5, v6
	s_delay_alu instid0(VALU_DEP_1) | instskip(NEXT) | instid1(VALU_DEP_1)
	v_fmac_f32_e32 v5, v7, v3
	v_fma_f32 v1, -v1, v5, v6
	v_mul_f32_e32 v6, 0x4f800000, v4
	s_delay_alu instid0(VALU_DEP_2) | instskip(SKIP_1) | instid1(VALU_DEP_2)
	v_div_fmas_f32 v1, v1, v3, v5
	v_cmp_gt_f32_e32 vcc_lo, 0xf800000, v4
	v_div_fixup_f32 v1, v1, v4, 0x41000000
	s_delay_alu instid0(VALU_DEP_1) | instskip(NEXT) | instid1(VALU_DEP_1)
	v_dual_cndmask_b32 v4, v4, v6 :: v_dual_add_f32 v1, -2.0, v1
	v_sqrt_f32_e32 v6, v4
	v_nop
	s_delay_alu instid0(TRANS32_DEP_1) | instskip(SKIP_1) | instid1(VALU_DEP_2)
	v_dual_fmaak_f32 v3, s0, v1, 0xa397f665 :: v_dual_add_nc_u32 v8, 1, v6
	v_add_nc_u32_e32 v7, -1, v6
	v_fmaak_f32 v5, v1, v3, 0xa2c38d2e
	s_delay_alu instid0(VALU_DEP_2) | instskip(NEXT) | instid1(VALU_DEP_2)
	v_dual_fma_f32 v10, -v8, v6, v4 :: v_dual_fma_f32 v9, -v7, v6, v4
	v_add_f32_e32 v5, 0x24704972, v5
	s_delay_alu instid0(VALU_DEP_2) | instskip(NEXT) | instid1(VALU_DEP_1)
	v_cmp_ge_f32_e64 s0, 0, v9
	v_dual_fma_f32 v3, v1, v5, -v3 :: v_dual_cndmask_b32 v6, v6, v7, s0
	s_delay_alu instid0(VALU_DEP_1) | instskip(SKIP_1) | instid1(VALU_DEP_1)
	v_add_f32_e32 v3, 0xa5417ca4, v3
	v_cmp_lt_f32_e64 s0, 0, v10
	v_dual_fma_f32 v5, v1, v3, -v5 :: v_dual_cndmask_b32 v6, v6, v8, s0
	s_delay_alu instid0(VALU_DEP_1) | instskip(NEXT) | instid1(VALU_DEP_1)
	v_add_f32_e32 v5, 0x261edfcb, v5
	v_fma_f32 v3, v1, v5, -v3
	s_delay_alu instid0(VALU_DEP_1) | instskip(NEXT) | instid1(VALU_DEP_1)
	v_add_f32_e32 v3, 0xa7053487, v3
	v_fma_f32 v5, v1, v3, -v5
	;; [unrolled: 3-line block ×20, first 2 shown]
	v_mul_f32_e32 v3, 0x37800000, v6
	s_delay_alu instid0(VALU_DEP_2) | instskip(NEXT) | instid1(VALU_DEP_2)
	v_add_f32_e32 v1, 0x401c2ded, v1
	v_cndmask_b32_e32 v3, v6, v3, vcc_lo
	v_cmp_class_f32_e64 vcc_lo, v4, 0x260
	s_delay_alu instid0(VALU_DEP_1) | instskip(NEXT) | instid1(VALU_DEP_1)
	v_dual_sub_f32 v1, v1, v5 :: v_dual_cndmask_b32 v3, v3, v4, vcc_lo
	v_mul_f32_e32 v1, 0.5, v1
	s_delay_alu instid0(VALU_DEP_1) | instskip(NEXT) | instid1(VALU_DEP_1)
	v_div_scale_f32 v4, null, v3, v3, v1
	v_rcp_f32_e32 v5, v4
	v_nop
	s_delay_alu instid0(TRANS32_DEP_1) | instskip(NEXT) | instid1(VALU_DEP_1)
	v_fma_f32 v6, -v4, v5, 1.0
	v_fmac_f32_e32 v5, v6, v5
	v_div_scale_f32 v6, vcc_lo, v1, v3, v1
	s_delay_alu instid0(VALU_DEP_1) | instskip(NEXT) | instid1(VALU_DEP_1)
	v_mul_f32_e32 v7, v6, v5
	v_fma_f32 v8, -v4, v7, v6
	s_delay_alu instid0(VALU_DEP_1) | instskip(NEXT) | instid1(VALU_DEP_1)
	v_fmac_f32_e32 v7, v8, v5
	v_fma_f32 v4, -v4, v7, v6
	s_delay_alu instid0(VALU_DEP_1) | instskip(NEXT) | instid1(VALU_DEP_1)
	v_div_fmas_f32 v4, v4, v5, v7
	v_div_fixup_f32 v1, v4, v3, v1
.LBB17_120:
	s_or_b32 exec_lo, exec_lo, s24
.LBB17_121:
	s_delay_alu instid0(SALU_CYCLE_1)
	s_or_b32 exec_lo, exec_lo, s23
.LBB17_122:
	s_delay_alu instid0(SALU_CYCLE_1) | instskip(SKIP_4) | instid1(SALU_CYCLE_1)
	s_or_b32 exec_lo, exec_lo, s22
	v_add_nc_u32_e32 v0, 0x80, v0
	global_store_b32 v2, v1, s[4:5]
	s_wait_xcnt 0x0
	s_or_b32 exec_lo, exec_lo, s9
	s_mov_b32 s9, exec_lo
	v_cmpx_gt_i32_e64 s34, v0
	s_cbranch_execnz .LBB17_15
.LBB17_123:
	s_or_b32 exec_lo, exec_lo, s9
	s_delay_alu instid0(SALU_CYCLE_1)
	s_mov_b32 s9, exec_lo
	v_cmpx_gt_i32_e64 s34, v0
	s_cbranch_execz .LBB17_147
.LBB17_124:
	s_and_not1_b32 vcc_lo, exec_lo, s30
	s_cbranch_vccnz .LBB17_129
; %bb.125:
	s_and_not1_b32 vcc_lo, exec_lo, s36
	s_cbranch_vccnz .LBB17_130
; %bb.126:
	s_add_co_i32 s0, s35, 1
	s_cmp_eq_u32 s29, 2
	s_cbranch_scc1 .LBB17_150
; %bb.127:
	v_dual_mov_b32 v2, 0 :: v_dual_mov_b32 v3, 0
	v_mov_b32_e32 v1, v0
	s_and_b32 s22, s0, 28
	s_mov_b32 s23, 0
	s_mov_b64 s[24:25], s[2:3]
	s_mov_b64 s[26:27], s[20:21]
.LBB17_128:                             ; =>This Inner Loop Header: Depth=1
	s_clause 0x1
	s_load_b256 s[40:47], s[24:25], 0x4
	s_load_b128 s[56:59], s[24:25], 0x24
	s_load_b256 s[48:55], s[26:27], 0x0
	s_add_co_i32 s23, s23, 4
	s_wait_xcnt 0x0
	s_add_nc_u64 s[24:25], s[24:25], 48
	s_cmp_eq_u32 s22, s23
	s_add_nc_u64 s[26:27], s[26:27], 32
	s_wait_kmcnt 0x0
	v_mul_hi_u32 v4, s41, v1
	s_delay_alu instid0(VALU_DEP_1) | instskip(NEXT) | instid1(VALU_DEP_1)
	v_add_nc_u32_e32 v4, v1, v4
	v_lshrrev_b32_e32 v4, s42, v4
	s_delay_alu instid0(VALU_DEP_1) | instskip(NEXT) | instid1(VALU_DEP_1)
	v_mul_hi_u32 v5, s44, v4
	v_add_nc_u32_e32 v5, v4, v5
	s_delay_alu instid0(VALU_DEP_1) | instskip(NEXT) | instid1(VALU_DEP_1)
	v_lshrrev_b32_e32 v5, s45, v5
	v_mul_hi_u32 v6, s47, v5
	s_delay_alu instid0(VALU_DEP_1) | instskip(SKIP_1) | instid1(VALU_DEP_1)
	v_add_nc_u32_e32 v6, v5, v6
	v_mul_lo_u32 v7, v4, s40
	v_sub_nc_u32_e32 v1, v1, v7
	v_mul_lo_u32 v7, v5, s43
	s_delay_alu instid0(VALU_DEP_4) | instskip(NEXT) | instid1(VALU_DEP_3)
	v_lshrrev_b32_e32 v6, s56, v6
	v_mad_u32 v3, v1, s49, v3
	v_mad_u32 v1, v1, s48, v2
	s_delay_alu instid0(VALU_DEP_4) | instskip(NEXT) | instid1(VALU_DEP_4)
	v_sub_nc_u32_e32 v2, v4, v7
	v_mul_hi_u32 v8, s58, v6
	v_mul_lo_u32 v4, v6, s46
	s_delay_alu instid0(VALU_DEP_3) | instskip(SKIP_1) | instid1(VALU_DEP_4)
	v_mad_u32 v3, v2, s51, v3
	v_mad_u32 v2, v2, s50, v1
	v_add_nc_u32_e32 v7, v6, v8
	s_delay_alu instid0(VALU_DEP_1) | instskip(NEXT) | instid1(VALU_DEP_1)
	v_dual_sub_nc_u32 v4, v5, v4 :: v_dual_lshrrev_b32 v1, s59, v7
	v_mad_u32 v3, v4, s53, v3
	s_delay_alu instid0(VALU_DEP_4) | instskip(NEXT) | instid1(VALU_DEP_3)
	v_mad_u32 v2, v4, s52, v2
	v_mul_lo_u32 v5, v1, s57
	s_delay_alu instid0(VALU_DEP_1) | instskip(NEXT) | instid1(VALU_DEP_1)
	v_sub_nc_u32_e32 v4, v6, v5
	v_mad_u32 v3, v4, s55, v3
	s_delay_alu instid0(VALU_DEP_4)
	v_mad_u32 v2, v4, s54, v2
	s_cbranch_scc0 .LBB17_128
	s_branch .LBB17_151
.LBB17_129:
                                        ; implicit-def: $vgpr3
	s_branch .LBB17_155
.LBB17_130:
	v_dual_mov_b32 v3, 0 :: v_dual_mov_b32 v2, 0
	s_branch .LBB17_154
.LBB17_131:
	v_mov_b64_e32 v[2:3], 0
	v_mov_b32_e32 v1, v0
	s_mov_b32 s22, 0
.LBB17_132:
	s_and_b32 s0, s0, 3
	s_mov_b32 s23, 0
	s_cmp_eq_u32 s0, 0
	s_cbranch_scc1 .LBB17_135
; %bb.133:
	s_lshl_b32 s24, s22, 3
	s_mov_b32 s25, s23
	s_mul_u64 s[26:27], s[22:23], 12
	s_add_nc_u64 s[24:25], s[2:3], s[24:25]
	s_delay_alu instid0(SALU_CYCLE_1)
	s_add_nc_u64 s[22:23], s[24:25], 0xc4
	s_add_nc_u64 s[24:25], s[2:3], s[26:27]
.LBB17_134:                             ; =>This Inner Loop Header: Depth=1
	s_load_b96 s[40:42], s[24:25], 0x4
	s_load_b64 s[26:27], s[22:23], 0x0
	s_add_co_i32 s0, s0, -1
	s_wait_xcnt 0x0
	s_add_nc_u64 s[24:25], s[24:25], 12
	s_cmp_lg_u32 s0, 0
	s_add_nc_u64 s[22:23], s[22:23], 8
	s_wait_kmcnt 0x0
	v_mul_hi_u32 v4, s41, v1
	s_delay_alu instid0(VALU_DEP_1) | instskip(NEXT) | instid1(VALU_DEP_1)
	v_add_nc_u32_e32 v4, v1, v4
	v_lshrrev_b32_e32 v4, s42, v4
	s_delay_alu instid0(VALU_DEP_1) | instskip(NEXT) | instid1(VALU_DEP_1)
	v_mul_lo_u32 v5, v4, s40
	v_sub_nc_u32_e32 v1, v1, v5
	s_delay_alu instid0(VALU_DEP_1)
	v_mad_u32 v3, v1, s27, v3
	v_mad_u32 v2, v1, s26, v2
	v_mov_b32_e32 v1, v4
	s_cbranch_scc1 .LBB17_134
.LBB17_135:
	s_cbranch_execnz .LBB17_138
.LBB17_136:
	v_mov_b32_e32 v1, 0
	s_and_not1_b32 vcc_lo, exec_lo, s33
	s_delay_alu instid0(VALU_DEP_1) | instskip(NEXT) | instid1(VALU_DEP_1)
	v_mul_u64_e32 v[2:3], s[16:17], v[0:1]
	v_add_nc_u32_e32 v2, v0, v3
	s_delay_alu instid0(VALU_DEP_1) | instskip(NEXT) | instid1(VALU_DEP_1)
	v_lshrrev_b32_e32 v4, s10, v2
	v_mul_lo_u32 v2, v4, s8
	s_delay_alu instid0(VALU_DEP_1) | instskip(NEXT) | instid1(VALU_DEP_1)
	v_sub_nc_u32_e32 v2, v0, v2
	v_mul_lo_u32 v3, v2, s13
	v_mul_lo_u32 v2, v2, s12
	s_cbranch_vccnz .LBB17_138
; %bb.137:
	v_mov_b32_e32 v5, v1
	s_delay_alu instid0(VALU_DEP_1) | instskip(NEXT) | instid1(VALU_DEP_1)
	v_mul_u64_e32 v[6:7], s[18:19], v[4:5]
	v_add_nc_u32_e32 v1, v4, v7
	s_delay_alu instid0(VALU_DEP_1) | instskip(NEXT) | instid1(VALU_DEP_1)
	v_lshrrev_b32_e32 v1, s1, v1
	v_mul_lo_u32 v1, v1, s11
	s_delay_alu instid0(VALU_DEP_1) | instskip(NEXT) | instid1(VALU_DEP_1)
	v_sub_nc_u32_e32 v1, v4, v1
	v_mad_u32 v2, v1, s14, v2
	v_mad_u32 v3, v1, s15, v3
.LBB17_138:
	global_load_b32 v4, v3, s[6:7]
	v_mov_b32_e32 v1, 0x7f800000
	s_mov_b32 s22, exec_lo
	s_wait_loadcnt 0x0
	v_cmpx_neq_f32_e32 0, v4
	s_cbranch_execz .LBB17_146
; %bb.139:
	v_mov_b32_e32 v1, 0x7fc00000
	s_mov_b32 s23, exec_lo
	v_cmpx_ngt_f32_e32 0, v4
	s_cbranch_execz .LBB17_145
; %bb.140:
                                        ; implicit-def: $vgpr1
	s_mov_b32 s0, exec_lo
	v_cmpx_ge_f32_e32 2.0, v4
	s_xor_b32 s24, exec_lo, s0
	s_cbranch_execz .LBB17_142
; %bb.141:
	v_mov_b32_e32 v5, 0.5
	s_mov_b32 s0, 0xa2a2e5b9
	v_mov_b64_e32 v[10:11], 0x3ad6e3ac293fd856
	v_mov_b32_e32 v8, 0xa51e770f
	v_mov_b64_e32 v[14:15], 0xbb8db2f12d3612e2
	v_pk_fma_f32 v[6:7], v[4:5], v[4:5], -2.0 op_sel_hi:[0,1,0]
	v_mov_b64_e32 v[18:19], 0xbdc25b823aa5c174
	s_delay_alu instid0(VALU_DEP_2) | instskip(NEXT) | instid1(VALU_DEP_3)
	v_fmaak_f32 v1, s0, v7, 0x24199b15
	v_mul_f32_e32 v12, 0x251e770f, v6
	s_mov_b32 s0, 0xa51e770f
	s_delay_alu instid0(VALU_DEP_2) | instskip(NEXT) | instid1(VALU_DEP_1)
	v_fmaak_f32 v3, v7, v1, 0x22a2e5b9
	v_add_f32_e32 v3, 0xa58c275c, v3
	s_delay_alu instid0(VALU_DEP_1) | instskip(SKIP_1) | instid1(VALU_DEP_2)
	v_fma_f32 v1, v7, v3, -v1
	v_pk_mul_f32 v[16:17], v[4:5], v[4:5] op_sel_hi:[0,1]
	v_add_f32_e32 v1, 0x26f736c5, v1
	s_delay_alu instid0(VALU_DEP_2) | instskip(NEXT) | instid1(VALU_DEP_2)
	v_cmp_gt_f32_e32 vcc_lo, 0x800000, v17
	v_fma_f32 v3, v7, v1, -v3
	s_delay_alu instid0(VALU_DEP_1) | instskip(NEXT) | instid1(VALU_DEP_1)
	v_add_f32_e32 v3, 0xa8528116, v3
	v_fma_f32 v1, v7, v3, -v1
	s_delay_alu instid0(VALU_DEP_1) | instskip(NEXT) | instid1(VALU_DEP_1)
	v_add_f32_e32 v1, 0x29acda32, v1
	;; [unrolled: 3-line block ×17, first 2 shown]
	v_fma_f32 v13, v7, v9, -v1
	v_mul_f32_e32 v1, 0x3fb8aa3b, v4
	s_delay_alu instid0(VALU_DEP_2) | instskip(SKIP_1) | instid1(VALU_DEP_3)
	v_pk_add_f32 v[10:11], v[12:13], v[10:11]
	v_mov_b64_e32 v[12:13], s[0:1]
	v_rndne_f32_e32 v3, v1
	v_cmp_ngt_f32_e64 s0, 0xc2ce8ed0, v4
	s_delay_alu instid0(VALU_DEP_4) | instskip(NEXT) | instid1(VALU_DEP_4)
	v_pk_fma_f32 v[8:9], v[6:7], v[10:11], v[8:9] neg_lo:[0,0,1] neg_hi:[0,0,1]
	v_pk_fma_f32 v[12:13], v[6:7], v[10:11], v[12:13]
	s_delay_alu instid0(VALU_DEP_2) | instskip(NEXT) | instid1(VALU_DEP_1)
	v_mov_b32_e32 v13, v9
	v_pk_add_f32 v[8:9], v[12:13], v[14:15]
	v_mov_b64_e32 v[12:13], 0x3c2ccb103102e09b
	v_mov_b64_e32 v[14:15], 0xc000000037bfc808
	s_delay_alu instid0(VALU_DEP_3) | instskip(NEXT) | instid1(VALU_DEP_1)
	v_pk_fma_f32 v[10:11], v[6:7], v[8:9], v[10:11] neg_lo:[0,0,1] neg_hi:[0,0,1]
	v_pk_add_f32 v[10:11], v[10:11], v[12:13]
	v_mov_b64_e32 v[12:13], 0xbcc274f8348815e7
	s_delay_alu instid0(VALU_DEP_2) | instskip(NEXT) | instid1(VALU_DEP_1)
	v_pk_fma_f32 v[8:9], v[6:7], v[10:11], v[8:9] neg_lo:[0,0,1] neg_hi:[0,0,1]
	v_pk_add_f32 v[8:9], v[8:9], v[12:13]
	v_mov_b64_e32 v[12:13], 0x3d49f45637bfc808
	s_delay_alu instid0(VALU_DEP_2) | instskip(NEXT) | instid1(VALU_DEP_1)
	v_pk_fma_f32 v[10:11], v[6:7], v[8:9], v[10:11] neg_lo:[0,0,1] neg_hi:[0,0,1]
	v_mov_b32_e32 v16, v10
	s_delay_alu instid0(VALU_DEP_2) | instskip(SKIP_1) | instid1(VALU_DEP_3)
	v_pk_add_f32 v[10:11], v[10:11], v[12:13]
	v_mov_b32_e32 v12, v6
	v_pk_add_f32 v[14:15], v[16:17], v[14:15]
	s_delay_alu instid0(VALU_DEP_3) | instskip(NEXT) | instid1(VALU_DEP_1)
	v_mov_b32_e32 v13, v11
	v_pk_fma_f32 v[8:9], v[14:15], v[12:13], v[8:9] neg_lo:[0,0,1] neg_hi:[0,0,1]
	v_mov_b64_e32 v[12:13], 0x3e2fbd643d135fb3
	v_fma_f32 v14, 0x3fb8aa3b, v4, -v1
	v_cndmask_b32_e64 v15, 0, 32, vcc_lo
	v_sub_f32_e32 v1, v1, v3
	v_pk_add_f32 v[8:9], v[8:9], v[18:19]
	v_cvt_i32_f32_e32 v3, v3
	v_fmamk_f32 v14, v4, 0x32a5705f, v14
	s_delay_alu instid0(VALU_DEP_3) | instskip(NEXT) | instid1(VALU_DEP_2)
	v_pk_fma_f32 v[10:11], v[6:7], v[8:9], v[10:11] neg_lo:[0,0,1] neg_hi:[0,0,1]
	v_add_f32_e32 v1, v1, v14
	s_delay_alu instid0(VALU_DEP_2) | instskip(SKIP_1) | instid1(VALU_DEP_3)
	v_pk_add_f32 v[10:11], v[10:11], v[12:13]
	v_ldexp_f32 v12, v17, v15
	v_exp_f32_e32 v1, v1
	s_delay_alu instid0(VALU_DEP_2) | instskip(NEXT) | instid1(VALU_DEP_2)
	v_pk_fma_f32 v[8:9], v[6:7], v[10:11], v[8:9] neg_lo:[0,0,1] neg_hi:[0,0,1]
	v_log_f32_e32 v16, v12
	s_delay_alu instid0(TRANS32_DEP_2) | instskip(NEXT) | instid1(VALU_DEP_2)
	v_ldexp_f32 v1, v1, v3
	v_add_f32_e32 v9, 0xbe9bff5e, v9
	s_delay_alu instid0(VALU_DEP_3) | instskip(NEXT) | instid1(TRANS32_DEP_1)
	v_add_f32_e32 v8, 0x3eb046c4, v8
	v_mul_f32_e32 v12, 0x3f317217, v16
	s_delay_alu instid0(VALU_DEP_4) | instskip(NEXT) | instid1(VALU_DEP_3)
	v_cndmask_b32_e64 v1, 0, v1, s0
	v_dual_fma_f32 v7, v7, v9, -v11 :: v_dual_mul_f32 v6, v6, v8
	v_cmp_nlt_f32_e64 s0, 0x42b17218, v4
	s_delay_alu instid0(VALU_DEP_4) | instskip(SKIP_1) | instid1(VALU_DEP_4)
	v_fma_f32 v3, 0x3f317217, v16, -v12
	v_mov_b32_e32 v8, 0xbf090b37
	v_dual_add_f32 v7, 0x3f2d4275, v7 :: v_dual_mov_b32 v12, v10
	s_delay_alu instid0(VALU_DEP_4) | instskip(NEXT) | instid1(VALU_DEP_4)
	v_cndmask_b32_e64 v13, 0x7f800000, v1, s0
	v_fmamk_f32 v3, v16, 0x3377d1cf, v3
	v_cndmask_b32_e64 v1, 0, 0x41b17218, vcc_lo
	s_delay_alu instid0(VALU_DEP_4) | instskip(SKIP_1) | instid1(VALU_DEP_4)
	v_pk_add_f32 v[6:7], v[6:7], v[10:11] neg_lo:[0,1] neg_hi:[0,1]
	v_cmp_gt_f32_e64 vcc_lo, 0x7f800000, |v16|
	v_fmac_f32_e32 v3, 0x3f317217, v16
	s_delay_alu instid0(VALU_DEP_3) | instskip(SKIP_1) | instid1(VALU_DEP_3)
	v_pk_mul_f32 v[14:15], v[6:7], v[4:5]
	v_pk_add_f32 v[6:7], v[6:7], v[8:9]
	v_cndmask_b32_e32 v3, v16, v3, vcc_lo
	s_delay_alu instid0(VALU_DEP_3) | instskip(NEXT) | instid1(VALU_DEP_3)
	v_pk_mul_f32 v[8:9], v[14:15], v[12:13]
	v_pk_add_f32 v[6:7], v[6:7], v[10:11] neg_lo:[0,1] neg_hi:[0,1]
	s_delay_alu instid0(VALU_DEP_3) | instskip(NEXT) | instid1(VALU_DEP_3)
	v_dual_mov_b32 v14, v5 :: v_dual_sub_f32 v15, v3, v1
	v_mov_b32_e32 v7, v9
	s_delay_alu instid0(VALU_DEP_1) | instskip(NEXT) | instid1(VALU_DEP_1)
	v_pk_mul_f32 v[4:5], v[14:15], v[6:7]
	v_sub_f32_e32 v1, v4, v5
                                        ; implicit-def: $vgpr4
	s_delay_alu instid0(VALU_DEP_1)
	v_mul_f32_e32 v1, v13, v1
.LBB17_142:
	s_and_not1_saveexec_b32 s24, s24
	s_cbranch_execz .LBB17_144
; %bb.143:
	v_div_scale_f32 v1, null, v4, v4, 0x41000000
	v_div_scale_f32 v6, vcc_lo, 0x41000000, v4, 0x41000000
	s_mov_b32 s0, 0x22c38d2e
	v_rcp_f32_e32 v3, v1
	v_nop
	s_delay_alu instid0(TRANS32_DEP_1) | instskip(NEXT) | instid1(VALU_DEP_1)
	v_fma_f32 v5, -v1, v3, 1.0
	v_fmac_f32_e32 v3, v5, v3
	s_delay_alu instid0(VALU_DEP_1) | instskip(NEXT) | instid1(VALU_DEP_1)
	v_mul_f32_e32 v5, v6, v3
	v_fma_f32 v7, -v1, v5, v6
	s_delay_alu instid0(VALU_DEP_1) | instskip(NEXT) | instid1(VALU_DEP_1)
	v_fmac_f32_e32 v5, v7, v3
	v_fma_f32 v1, -v1, v5, v6
	v_mul_f32_e32 v6, 0x4f800000, v4
	s_delay_alu instid0(VALU_DEP_2) | instskip(SKIP_1) | instid1(VALU_DEP_2)
	v_div_fmas_f32 v1, v1, v3, v5
	v_cmp_gt_f32_e32 vcc_lo, 0xf800000, v4
	v_div_fixup_f32 v1, v1, v4, 0x41000000
	s_delay_alu instid0(VALU_DEP_1) | instskip(NEXT) | instid1(VALU_DEP_1)
	v_dual_cndmask_b32 v4, v4, v6 :: v_dual_add_f32 v1, -2.0, v1
	v_sqrt_f32_e32 v6, v4
	v_nop
	s_delay_alu instid0(TRANS32_DEP_1) | instskip(SKIP_1) | instid1(VALU_DEP_2)
	v_dual_fmaak_f32 v3, s0, v1, 0xa397f665 :: v_dual_add_nc_u32 v8, 1, v6
	v_add_nc_u32_e32 v7, -1, v6
	v_fmaak_f32 v5, v1, v3, 0xa2c38d2e
	s_delay_alu instid0(VALU_DEP_2) | instskip(NEXT) | instid1(VALU_DEP_2)
	v_dual_fma_f32 v10, -v8, v6, v4 :: v_dual_fma_f32 v9, -v7, v6, v4
	v_add_f32_e32 v5, 0x24704972, v5
	s_delay_alu instid0(VALU_DEP_2) | instskip(NEXT) | instid1(VALU_DEP_1)
	v_cmp_ge_f32_e64 s0, 0, v9
	v_dual_fma_f32 v3, v1, v5, -v3 :: v_dual_cndmask_b32 v6, v6, v7, s0
	s_delay_alu instid0(VALU_DEP_1) | instskip(SKIP_1) | instid1(VALU_DEP_1)
	v_add_f32_e32 v3, 0xa5417ca4, v3
	v_cmp_lt_f32_e64 s0, 0, v10
	v_dual_fma_f32 v5, v1, v3, -v5 :: v_dual_cndmask_b32 v6, v6, v8, s0
	s_delay_alu instid0(VALU_DEP_1) | instskip(NEXT) | instid1(VALU_DEP_1)
	v_add_f32_e32 v5, 0x261edfcb, v5
	v_fma_f32 v3, v1, v5, -v3
	s_delay_alu instid0(VALU_DEP_1) | instskip(NEXT) | instid1(VALU_DEP_1)
	v_add_f32_e32 v3, 0xa7053487, v3
	v_fma_f32 v5, v1, v3, -v5
	;; [unrolled: 3-line block ×20, first 2 shown]
	v_mul_f32_e32 v3, 0x37800000, v6
	s_delay_alu instid0(VALU_DEP_2) | instskip(NEXT) | instid1(VALU_DEP_2)
	v_add_f32_e32 v1, 0x401c2ded, v1
	v_cndmask_b32_e32 v3, v6, v3, vcc_lo
	v_cmp_class_f32_e64 vcc_lo, v4, 0x260
	s_delay_alu instid0(VALU_DEP_1) | instskip(NEXT) | instid1(VALU_DEP_1)
	v_dual_sub_f32 v1, v1, v5 :: v_dual_cndmask_b32 v3, v3, v4, vcc_lo
	v_mul_f32_e32 v1, 0.5, v1
	s_delay_alu instid0(VALU_DEP_1) | instskip(NEXT) | instid1(VALU_DEP_1)
	v_div_scale_f32 v4, null, v3, v3, v1
	v_rcp_f32_e32 v5, v4
	v_nop
	s_delay_alu instid0(TRANS32_DEP_1) | instskip(NEXT) | instid1(VALU_DEP_1)
	v_fma_f32 v6, -v4, v5, 1.0
	v_fmac_f32_e32 v5, v6, v5
	v_div_scale_f32 v6, vcc_lo, v1, v3, v1
	s_delay_alu instid0(VALU_DEP_1) | instskip(NEXT) | instid1(VALU_DEP_1)
	v_mul_f32_e32 v7, v6, v5
	v_fma_f32 v8, -v4, v7, v6
	s_delay_alu instid0(VALU_DEP_1) | instskip(NEXT) | instid1(VALU_DEP_1)
	v_fmac_f32_e32 v7, v8, v5
	v_fma_f32 v4, -v4, v7, v6
	s_delay_alu instid0(VALU_DEP_1) | instskip(NEXT) | instid1(VALU_DEP_1)
	v_div_fmas_f32 v4, v4, v5, v7
	v_div_fixup_f32 v1, v4, v3, v1
.LBB17_144:
	s_or_b32 exec_lo, exec_lo, s24
.LBB17_145:
	s_delay_alu instid0(SALU_CYCLE_1)
	s_or_b32 exec_lo, exec_lo, s23
.LBB17_146:
	s_delay_alu instid0(SALU_CYCLE_1) | instskip(SKIP_4) | instid1(SALU_CYCLE_1)
	s_or_b32 exec_lo, exec_lo, s22
	v_add_nc_u32_e32 v0, 0x80, v0
	global_store_b32 v2, v1, s[4:5]
	s_wait_xcnt 0x0
	s_or_b32 exec_lo, exec_lo, s9
	s_mov_b32 s9, exec_lo
	v_cmpx_gt_i32_e64 s34, v0
	s_cbranch_execnz .LBB17_124
.LBB17_147:
	s_or_b32 exec_lo, exec_lo, s9
	s_delay_alu instid0(SALU_CYCLE_1)
	s_mov_b32 s9, exec_lo
	v_cmpx_gt_i32_e64 s34, v0
	s_cbranch_execnz .LBB17_166
.LBB17_148:
	s_or_b32 exec_lo, exec_lo, s9
                                        ; implicit-def: $vgpr8
                                        ; implicit-def: $vgpr0
	s_and_not1_saveexec_b32 s0, s31
	s_cbranch_execnz .LBB17_8
.LBB17_149:
	s_endpgm
.LBB17_150:
	v_mov_b64_e32 v[2:3], 0
	v_mov_b32_e32 v1, v0
	s_mov_b32 s22, 0
.LBB17_151:
	s_and_b32 s0, s0, 3
	s_mov_b32 s23, 0
	s_cmp_eq_u32 s0, 0
	s_cbranch_scc1 .LBB17_154
; %bb.152:
	s_lshl_b32 s24, s22, 3
	s_mov_b32 s25, s23
	s_mul_u64 s[26:27], s[22:23], 12
	s_add_nc_u64 s[24:25], s[2:3], s[24:25]
	s_delay_alu instid0(SALU_CYCLE_1)
	s_add_nc_u64 s[22:23], s[24:25], 0xc4
	s_add_nc_u64 s[24:25], s[2:3], s[26:27]
.LBB17_153:                             ; =>This Inner Loop Header: Depth=1
	s_load_b96 s[40:42], s[24:25], 0x4
	s_load_b64 s[26:27], s[22:23], 0x0
	s_add_co_i32 s0, s0, -1
	s_wait_xcnt 0x0
	s_add_nc_u64 s[24:25], s[24:25], 12
	s_cmp_lg_u32 s0, 0
	s_add_nc_u64 s[22:23], s[22:23], 8
	s_wait_kmcnt 0x0
	v_mul_hi_u32 v4, s41, v1
	s_delay_alu instid0(VALU_DEP_1) | instskip(NEXT) | instid1(VALU_DEP_1)
	v_add_nc_u32_e32 v4, v1, v4
	v_lshrrev_b32_e32 v4, s42, v4
	s_delay_alu instid0(VALU_DEP_1) | instskip(NEXT) | instid1(VALU_DEP_1)
	v_mul_lo_u32 v5, v4, s40
	v_sub_nc_u32_e32 v1, v1, v5
	s_delay_alu instid0(VALU_DEP_1)
	v_mad_u32 v3, v1, s27, v3
	v_mad_u32 v2, v1, s26, v2
	v_mov_b32_e32 v1, v4
	s_cbranch_scc1 .LBB17_153
.LBB17_154:
	s_cbranch_execnz .LBB17_157
.LBB17_155:
	v_mov_b32_e32 v1, 0
	s_and_not1_b32 vcc_lo, exec_lo, s33
	s_delay_alu instid0(VALU_DEP_1) | instskip(NEXT) | instid1(VALU_DEP_1)
	v_mul_u64_e32 v[2:3], s[16:17], v[0:1]
	v_add_nc_u32_e32 v2, v0, v3
	s_delay_alu instid0(VALU_DEP_1) | instskip(NEXT) | instid1(VALU_DEP_1)
	v_lshrrev_b32_e32 v4, s10, v2
	v_mul_lo_u32 v2, v4, s8
	s_delay_alu instid0(VALU_DEP_1) | instskip(NEXT) | instid1(VALU_DEP_1)
	v_sub_nc_u32_e32 v2, v0, v2
	v_mul_lo_u32 v3, v2, s13
	v_mul_lo_u32 v2, v2, s12
	s_cbranch_vccnz .LBB17_157
; %bb.156:
	v_mov_b32_e32 v5, v1
	s_delay_alu instid0(VALU_DEP_1) | instskip(NEXT) | instid1(VALU_DEP_1)
	v_mul_u64_e32 v[6:7], s[18:19], v[4:5]
	v_add_nc_u32_e32 v1, v4, v7
	s_delay_alu instid0(VALU_DEP_1) | instskip(NEXT) | instid1(VALU_DEP_1)
	v_lshrrev_b32_e32 v1, s1, v1
	v_mul_lo_u32 v1, v1, s11
	s_delay_alu instid0(VALU_DEP_1) | instskip(NEXT) | instid1(VALU_DEP_1)
	v_sub_nc_u32_e32 v1, v4, v1
	v_mad_u32 v2, v1, s14, v2
	v_mad_u32 v3, v1, s15, v3
.LBB17_157:
	global_load_b32 v4, v3, s[6:7]
	v_mov_b32_e32 v1, 0x7f800000
	s_mov_b32 s22, exec_lo
	s_wait_loadcnt 0x0
	v_cmpx_neq_f32_e32 0, v4
	s_cbranch_execz .LBB17_165
; %bb.158:
	v_mov_b32_e32 v1, 0x7fc00000
	s_mov_b32 s23, exec_lo
	v_cmpx_ngt_f32_e32 0, v4
	s_cbranch_execz .LBB17_164
; %bb.159:
                                        ; implicit-def: $vgpr1
	s_mov_b32 s0, exec_lo
	v_cmpx_ge_f32_e32 2.0, v4
	s_xor_b32 s24, exec_lo, s0
	s_cbranch_execz .LBB17_161
; %bb.160:
	v_mov_b32_e32 v5, 0.5
	s_mov_b32 s0, 0xa2a2e5b9
	v_mov_b64_e32 v[10:11], 0x3ad6e3ac293fd856
	v_mov_b32_e32 v8, 0xa51e770f
	v_mov_b64_e32 v[14:15], 0xbb8db2f12d3612e2
	v_pk_fma_f32 v[6:7], v[4:5], v[4:5], -2.0 op_sel_hi:[0,1,0]
	v_mov_b64_e32 v[18:19], 0xbdc25b823aa5c174
	s_delay_alu instid0(VALU_DEP_2) | instskip(NEXT) | instid1(VALU_DEP_3)
	v_fmaak_f32 v1, s0, v7, 0x24199b15
	v_mul_f32_e32 v12, 0x251e770f, v6
	s_mov_b32 s0, 0xa51e770f
	s_delay_alu instid0(VALU_DEP_2) | instskip(NEXT) | instid1(VALU_DEP_1)
	v_fmaak_f32 v3, v7, v1, 0x22a2e5b9
	v_add_f32_e32 v3, 0xa58c275c, v3
	s_delay_alu instid0(VALU_DEP_1) | instskip(SKIP_1) | instid1(VALU_DEP_2)
	v_fma_f32 v1, v7, v3, -v1
	v_pk_mul_f32 v[16:17], v[4:5], v[4:5] op_sel_hi:[0,1]
	v_add_f32_e32 v1, 0x26f736c5, v1
	s_delay_alu instid0(VALU_DEP_2) | instskip(NEXT) | instid1(VALU_DEP_2)
	v_cmp_gt_f32_e32 vcc_lo, 0x800000, v17
	v_fma_f32 v3, v7, v1, -v3
	s_delay_alu instid0(VALU_DEP_1) | instskip(NEXT) | instid1(VALU_DEP_1)
	v_add_f32_e32 v3, 0xa8528116, v3
	v_fma_f32 v1, v7, v3, -v1
	s_delay_alu instid0(VALU_DEP_1) | instskip(NEXT) | instid1(VALU_DEP_1)
	v_add_f32_e32 v1, 0x29acda32, v1
	;; [unrolled: 3-line block ×17, first 2 shown]
	v_fma_f32 v13, v7, v9, -v1
	v_mul_f32_e32 v1, 0x3fb8aa3b, v4
	s_delay_alu instid0(VALU_DEP_2) | instskip(SKIP_1) | instid1(VALU_DEP_3)
	v_pk_add_f32 v[10:11], v[12:13], v[10:11]
	v_mov_b64_e32 v[12:13], s[0:1]
	v_rndne_f32_e32 v3, v1
	v_cmp_ngt_f32_e64 s0, 0xc2ce8ed0, v4
	s_delay_alu instid0(VALU_DEP_4) | instskip(NEXT) | instid1(VALU_DEP_4)
	v_pk_fma_f32 v[8:9], v[6:7], v[10:11], v[8:9] neg_lo:[0,0,1] neg_hi:[0,0,1]
	v_pk_fma_f32 v[12:13], v[6:7], v[10:11], v[12:13]
	s_delay_alu instid0(VALU_DEP_2) | instskip(NEXT) | instid1(VALU_DEP_1)
	v_mov_b32_e32 v13, v9
	v_pk_add_f32 v[8:9], v[12:13], v[14:15]
	v_mov_b64_e32 v[12:13], 0x3c2ccb103102e09b
	v_mov_b64_e32 v[14:15], 0xc000000037bfc808
	s_delay_alu instid0(VALU_DEP_3) | instskip(NEXT) | instid1(VALU_DEP_1)
	v_pk_fma_f32 v[10:11], v[6:7], v[8:9], v[10:11] neg_lo:[0,0,1] neg_hi:[0,0,1]
	v_pk_add_f32 v[10:11], v[10:11], v[12:13]
	v_mov_b64_e32 v[12:13], 0xbcc274f8348815e7
	s_delay_alu instid0(VALU_DEP_2) | instskip(NEXT) | instid1(VALU_DEP_1)
	v_pk_fma_f32 v[8:9], v[6:7], v[10:11], v[8:9] neg_lo:[0,0,1] neg_hi:[0,0,1]
	v_pk_add_f32 v[8:9], v[8:9], v[12:13]
	v_mov_b64_e32 v[12:13], 0x3d49f45637bfc808
	s_delay_alu instid0(VALU_DEP_2) | instskip(NEXT) | instid1(VALU_DEP_1)
	v_pk_fma_f32 v[10:11], v[6:7], v[8:9], v[10:11] neg_lo:[0,0,1] neg_hi:[0,0,1]
	v_mov_b32_e32 v16, v10
	s_delay_alu instid0(VALU_DEP_2) | instskip(SKIP_1) | instid1(VALU_DEP_3)
	v_pk_add_f32 v[10:11], v[10:11], v[12:13]
	v_mov_b32_e32 v12, v6
	v_pk_add_f32 v[14:15], v[16:17], v[14:15]
	s_delay_alu instid0(VALU_DEP_3) | instskip(NEXT) | instid1(VALU_DEP_1)
	v_mov_b32_e32 v13, v11
	v_pk_fma_f32 v[8:9], v[14:15], v[12:13], v[8:9] neg_lo:[0,0,1] neg_hi:[0,0,1]
	v_mov_b64_e32 v[12:13], 0x3e2fbd643d135fb3
	v_fma_f32 v14, 0x3fb8aa3b, v4, -v1
	v_cndmask_b32_e64 v15, 0, 32, vcc_lo
	v_sub_f32_e32 v1, v1, v3
	v_pk_add_f32 v[8:9], v[8:9], v[18:19]
	v_cvt_i32_f32_e32 v3, v3
	v_fmamk_f32 v14, v4, 0x32a5705f, v14
	s_delay_alu instid0(VALU_DEP_3) | instskip(NEXT) | instid1(VALU_DEP_2)
	v_pk_fma_f32 v[10:11], v[6:7], v[8:9], v[10:11] neg_lo:[0,0,1] neg_hi:[0,0,1]
	v_add_f32_e32 v1, v1, v14
	s_delay_alu instid0(VALU_DEP_2) | instskip(SKIP_1) | instid1(VALU_DEP_3)
	v_pk_add_f32 v[10:11], v[10:11], v[12:13]
	v_ldexp_f32 v12, v17, v15
	v_exp_f32_e32 v1, v1
	s_delay_alu instid0(VALU_DEP_2) | instskip(NEXT) | instid1(VALU_DEP_2)
	v_pk_fma_f32 v[8:9], v[6:7], v[10:11], v[8:9] neg_lo:[0,0,1] neg_hi:[0,0,1]
	v_log_f32_e32 v16, v12
	s_delay_alu instid0(TRANS32_DEP_2) | instskip(NEXT) | instid1(VALU_DEP_2)
	v_ldexp_f32 v1, v1, v3
	v_add_f32_e32 v9, 0xbe9bff5e, v9
	s_delay_alu instid0(VALU_DEP_3) | instskip(NEXT) | instid1(TRANS32_DEP_1)
	v_add_f32_e32 v8, 0x3eb046c4, v8
	v_mul_f32_e32 v12, 0x3f317217, v16
	s_delay_alu instid0(VALU_DEP_4) | instskip(NEXT) | instid1(VALU_DEP_3)
	v_cndmask_b32_e64 v1, 0, v1, s0
	v_dual_fma_f32 v7, v7, v9, -v11 :: v_dual_mul_f32 v6, v6, v8
	v_cmp_nlt_f32_e64 s0, 0x42b17218, v4
	s_delay_alu instid0(VALU_DEP_4) | instskip(SKIP_1) | instid1(VALU_DEP_4)
	v_fma_f32 v3, 0x3f317217, v16, -v12
	v_mov_b32_e32 v8, 0xbf090b37
	v_dual_add_f32 v7, 0x3f2d4275, v7 :: v_dual_mov_b32 v12, v10
	s_delay_alu instid0(VALU_DEP_4) | instskip(NEXT) | instid1(VALU_DEP_4)
	v_cndmask_b32_e64 v13, 0x7f800000, v1, s0
	v_fmamk_f32 v3, v16, 0x3377d1cf, v3
	v_cndmask_b32_e64 v1, 0, 0x41b17218, vcc_lo
	s_delay_alu instid0(VALU_DEP_4) | instskip(SKIP_1) | instid1(VALU_DEP_4)
	v_pk_add_f32 v[6:7], v[6:7], v[10:11] neg_lo:[0,1] neg_hi:[0,1]
	v_cmp_gt_f32_e64 vcc_lo, 0x7f800000, |v16|
	v_fmac_f32_e32 v3, 0x3f317217, v16
	s_delay_alu instid0(VALU_DEP_3) | instskip(SKIP_1) | instid1(VALU_DEP_3)
	v_pk_mul_f32 v[14:15], v[6:7], v[4:5]
	v_pk_add_f32 v[6:7], v[6:7], v[8:9]
	v_cndmask_b32_e32 v3, v16, v3, vcc_lo
	s_delay_alu instid0(VALU_DEP_3) | instskip(NEXT) | instid1(VALU_DEP_3)
	v_pk_mul_f32 v[8:9], v[14:15], v[12:13]
	v_pk_add_f32 v[6:7], v[6:7], v[10:11] neg_lo:[0,1] neg_hi:[0,1]
	s_delay_alu instid0(VALU_DEP_3) | instskip(NEXT) | instid1(VALU_DEP_3)
	v_dual_mov_b32 v14, v5 :: v_dual_sub_f32 v15, v3, v1
	v_mov_b32_e32 v7, v9
	s_delay_alu instid0(VALU_DEP_1) | instskip(NEXT) | instid1(VALU_DEP_1)
	v_pk_mul_f32 v[4:5], v[14:15], v[6:7]
	v_sub_f32_e32 v1, v4, v5
                                        ; implicit-def: $vgpr4
	s_delay_alu instid0(VALU_DEP_1)
	v_mul_f32_e32 v1, v13, v1
.LBB17_161:
	s_and_not1_saveexec_b32 s24, s24
	s_cbranch_execz .LBB17_163
; %bb.162:
	v_div_scale_f32 v1, null, v4, v4, 0x41000000
	v_div_scale_f32 v6, vcc_lo, 0x41000000, v4, 0x41000000
	s_mov_b32 s0, 0x22c38d2e
	v_rcp_f32_e32 v3, v1
	v_nop
	s_delay_alu instid0(TRANS32_DEP_1) | instskip(NEXT) | instid1(VALU_DEP_1)
	v_fma_f32 v5, -v1, v3, 1.0
	v_fmac_f32_e32 v3, v5, v3
	s_delay_alu instid0(VALU_DEP_1) | instskip(NEXT) | instid1(VALU_DEP_1)
	v_mul_f32_e32 v5, v6, v3
	v_fma_f32 v7, -v1, v5, v6
	s_delay_alu instid0(VALU_DEP_1) | instskip(NEXT) | instid1(VALU_DEP_1)
	v_fmac_f32_e32 v5, v7, v3
	v_fma_f32 v1, -v1, v5, v6
	v_mul_f32_e32 v6, 0x4f800000, v4
	s_delay_alu instid0(VALU_DEP_2) | instskip(SKIP_1) | instid1(VALU_DEP_2)
	v_div_fmas_f32 v1, v1, v3, v5
	v_cmp_gt_f32_e32 vcc_lo, 0xf800000, v4
	v_div_fixup_f32 v1, v1, v4, 0x41000000
	s_delay_alu instid0(VALU_DEP_1) | instskip(NEXT) | instid1(VALU_DEP_1)
	v_dual_cndmask_b32 v4, v4, v6 :: v_dual_add_f32 v1, -2.0, v1
	v_sqrt_f32_e32 v6, v4
	v_nop
	s_delay_alu instid0(TRANS32_DEP_1) | instskip(SKIP_1) | instid1(VALU_DEP_2)
	v_dual_fmaak_f32 v3, s0, v1, 0xa397f665 :: v_dual_add_nc_u32 v8, 1, v6
	v_add_nc_u32_e32 v7, -1, v6
	v_fmaak_f32 v5, v1, v3, 0xa2c38d2e
	s_delay_alu instid0(VALU_DEP_2) | instskip(NEXT) | instid1(VALU_DEP_2)
	v_dual_fma_f32 v10, -v8, v6, v4 :: v_dual_fma_f32 v9, -v7, v6, v4
	v_add_f32_e32 v5, 0x24704972, v5
	s_delay_alu instid0(VALU_DEP_2) | instskip(NEXT) | instid1(VALU_DEP_1)
	v_cmp_ge_f32_e64 s0, 0, v9
	v_dual_fma_f32 v3, v1, v5, -v3 :: v_dual_cndmask_b32 v6, v6, v7, s0
	s_delay_alu instid0(VALU_DEP_1) | instskip(SKIP_1) | instid1(VALU_DEP_1)
	v_add_f32_e32 v3, 0xa5417ca4, v3
	v_cmp_lt_f32_e64 s0, 0, v10
	v_dual_fma_f32 v5, v1, v3, -v5 :: v_dual_cndmask_b32 v6, v6, v8, s0
	s_delay_alu instid0(VALU_DEP_1) | instskip(NEXT) | instid1(VALU_DEP_1)
	v_add_f32_e32 v5, 0x261edfcb, v5
	v_fma_f32 v3, v1, v5, -v3
	s_delay_alu instid0(VALU_DEP_1) | instskip(NEXT) | instid1(VALU_DEP_1)
	v_add_f32_e32 v3, 0xa7053487, v3
	v_fma_f32 v5, v1, v3, -v5
	;; [unrolled: 3-line block ×20, first 2 shown]
	v_mul_f32_e32 v3, 0x37800000, v6
	s_delay_alu instid0(VALU_DEP_2) | instskip(NEXT) | instid1(VALU_DEP_2)
	v_add_f32_e32 v1, 0x401c2ded, v1
	v_cndmask_b32_e32 v3, v6, v3, vcc_lo
	v_cmp_class_f32_e64 vcc_lo, v4, 0x260
	s_delay_alu instid0(VALU_DEP_1) | instskip(NEXT) | instid1(VALU_DEP_1)
	v_dual_sub_f32 v1, v1, v5 :: v_dual_cndmask_b32 v3, v3, v4, vcc_lo
	v_mul_f32_e32 v1, 0.5, v1
	s_delay_alu instid0(VALU_DEP_1) | instskip(NEXT) | instid1(VALU_DEP_1)
	v_div_scale_f32 v4, null, v3, v3, v1
	v_rcp_f32_e32 v5, v4
	v_nop
	s_delay_alu instid0(TRANS32_DEP_1) | instskip(NEXT) | instid1(VALU_DEP_1)
	v_fma_f32 v6, -v4, v5, 1.0
	v_fmac_f32_e32 v5, v6, v5
	v_div_scale_f32 v6, vcc_lo, v1, v3, v1
	s_delay_alu instid0(VALU_DEP_1) | instskip(NEXT) | instid1(VALU_DEP_1)
	v_mul_f32_e32 v7, v6, v5
	v_fma_f32 v8, -v4, v7, v6
	s_delay_alu instid0(VALU_DEP_1) | instskip(NEXT) | instid1(VALU_DEP_1)
	v_fmac_f32_e32 v7, v8, v5
	v_fma_f32 v4, -v4, v7, v6
	s_delay_alu instid0(VALU_DEP_1) | instskip(NEXT) | instid1(VALU_DEP_1)
	v_div_fmas_f32 v4, v4, v5, v7
	v_div_fixup_f32 v1, v4, v3, v1
.LBB17_163:
	s_or_b32 exec_lo, exec_lo, s24
.LBB17_164:
	s_delay_alu instid0(SALU_CYCLE_1)
	s_or_b32 exec_lo, exec_lo, s23
.LBB17_165:
	s_delay_alu instid0(SALU_CYCLE_1) | instskip(SKIP_4) | instid1(SALU_CYCLE_1)
	s_or_b32 exec_lo, exec_lo, s22
	v_add_nc_u32_e32 v0, 0x80, v0
	global_store_b32 v2, v1, s[4:5]
	s_wait_xcnt 0x0
	s_or_b32 exec_lo, exec_lo, s9
	s_mov_b32 s9, exec_lo
	v_cmpx_gt_i32_e64 s34, v0
	s_cbranch_execz .LBB17_148
.LBB17_166:
	s_and_not1_b32 vcc_lo, exec_lo, s30
	s_cbranch_vccnz .LBB17_171
; %bb.167:
	s_and_not1_b32 vcc_lo, exec_lo, s36
	s_cbranch_vccnz .LBB17_172
; %bb.168:
	s_add_co_i32 s35, s35, 1
	s_cmp_eq_u32 s29, 2
	s_cbranch_scc1 .LBB17_173
; %bb.169:
	v_dual_mov_b32 v2, 0 :: v_dual_mov_b32 v3, 0
	v_mov_b32_e32 v1, v0
	s_and_b32 s22, s35, 28
	s_mov_b32 s0, 0
	s_mov_b64 s[24:25], s[2:3]
.LBB17_170:                             ; =>This Inner Loop Header: Depth=1
	s_clause 0x1
	s_load_b256 s[36:43], s[24:25], 0x4
	s_load_b128 s[52:55], s[24:25], 0x24
	s_load_b256 s[44:51], s[20:21], 0x0
	s_add_co_i32 s0, s0, 4
	s_wait_xcnt 0x0
	s_add_nc_u64 s[24:25], s[24:25], 48
	s_cmp_eq_u32 s22, s0
	s_add_nc_u64 s[20:21], s[20:21], 32
	s_wait_kmcnt 0x0
	v_mul_hi_u32 v4, s37, v1
	s_delay_alu instid0(VALU_DEP_1) | instskip(NEXT) | instid1(VALU_DEP_1)
	v_add_nc_u32_e32 v4, v1, v4
	v_lshrrev_b32_e32 v4, s38, v4
	s_delay_alu instid0(VALU_DEP_1) | instskip(NEXT) | instid1(VALU_DEP_1)
	v_mul_hi_u32 v5, s40, v4
	v_add_nc_u32_e32 v5, v4, v5
	s_delay_alu instid0(VALU_DEP_1) | instskip(NEXT) | instid1(VALU_DEP_1)
	v_lshrrev_b32_e32 v5, s41, v5
	v_mul_hi_u32 v6, s43, v5
	s_delay_alu instid0(VALU_DEP_1) | instskip(SKIP_1) | instid1(VALU_DEP_1)
	v_add_nc_u32_e32 v6, v5, v6
	v_mul_lo_u32 v7, v4, s36
	v_sub_nc_u32_e32 v1, v1, v7
	v_mul_lo_u32 v7, v5, s39
	s_delay_alu instid0(VALU_DEP_4) | instskip(NEXT) | instid1(VALU_DEP_3)
	v_lshrrev_b32_e32 v6, s52, v6
	v_mad_u32 v3, v1, s45, v3
	v_mad_u32 v1, v1, s44, v2
	s_delay_alu instid0(VALU_DEP_4) | instskip(NEXT) | instid1(VALU_DEP_4)
	v_sub_nc_u32_e32 v2, v4, v7
	v_mul_hi_u32 v8, s54, v6
	v_mul_lo_u32 v4, v6, s42
	s_delay_alu instid0(VALU_DEP_3) | instskip(SKIP_1) | instid1(VALU_DEP_4)
	v_mad_u32 v3, v2, s47, v3
	v_mad_u32 v2, v2, s46, v1
	v_add_nc_u32_e32 v7, v6, v8
	s_delay_alu instid0(VALU_DEP_1) | instskip(NEXT) | instid1(VALU_DEP_1)
	v_dual_sub_nc_u32 v4, v5, v4 :: v_dual_lshrrev_b32 v1, s55, v7
	v_mad_u32 v3, v4, s49, v3
	s_delay_alu instid0(VALU_DEP_4) | instskip(NEXT) | instid1(VALU_DEP_3)
	v_mad_u32 v2, v4, s48, v2
	v_mul_lo_u32 v5, v1, s53
	s_delay_alu instid0(VALU_DEP_1) | instskip(NEXT) | instid1(VALU_DEP_1)
	v_sub_nc_u32_e32 v4, v6, v5
	v_mad_u32 v3, v4, s51, v3
	s_delay_alu instid0(VALU_DEP_4)
	v_mad_u32 v2, v4, s50, v2
	s_cbranch_scc0 .LBB17_170
	s_branch .LBB17_174
.LBB17_171:
                                        ; implicit-def: $vgpr3
	s_branch .LBB17_178
.LBB17_172:
	v_dual_mov_b32 v3, 0 :: v_dual_mov_b32 v2, 0
	s_branch .LBB17_177
.LBB17_173:
	v_mov_b64_e32 v[2:3], 0
	v_mov_b32_e32 v1, v0
	s_mov_b32 s22, 0
.LBB17_174:
	s_and_b32 s0, s35, 3
	s_mov_b32 s23, 0
	s_cmp_eq_u32 s0, 0
	s_cbranch_scc1 .LBB17_177
; %bb.175:
	s_lshl_b32 s20, s22, 3
	s_mov_b32 s21, s23
	s_mul_u64 s[22:23], s[22:23], 12
	s_add_nc_u64 s[20:21], s[2:3], s[20:21]
	s_add_nc_u64 s[22:23], s[2:3], s[22:23]
	;; [unrolled: 1-line block ×3, first 2 shown]
.LBB17_176:                             ; =>This Inner Loop Header: Depth=1
	s_load_b96 s[24:26], s[22:23], 0x4
	s_add_co_i32 s0, s0, -1
	s_wait_xcnt 0x0
	s_add_nc_u64 s[22:23], s[22:23], 12
	s_cmp_lg_u32 s0, 0
	s_wait_kmcnt 0x0
	v_mul_hi_u32 v4, s25, v1
	s_delay_alu instid0(VALU_DEP_1) | instskip(NEXT) | instid1(VALU_DEP_1)
	v_add_nc_u32_e32 v4, v1, v4
	v_lshrrev_b32_e32 v4, s26, v4
	s_load_b64 s[26:27], s[20:21], 0x0
	s_wait_xcnt 0x0
	s_add_nc_u64 s[20:21], s[20:21], 8
	s_delay_alu instid0(VALU_DEP_1) | instskip(NEXT) | instid1(VALU_DEP_1)
	v_mul_lo_u32 v5, v4, s24
	v_sub_nc_u32_e32 v1, v1, v5
	s_wait_kmcnt 0x0
	s_delay_alu instid0(VALU_DEP_1)
	v_mad_u32 v3, v1, s27, v3
	v_mad_u32 v2, v1, s26, v2
	v_mov_b32_e32 v1, v4
	s_cbranch_scc1 .LBB17_176
.LBB17_177:
	s_cbranch_execnz .LBB17_180
.LBB17_178:
	v_mov_b32_e32 v1, 0
	s_and_not1_b32 vcc_lo, exec_lo, s33
	s_delay_alu instid0(VALU_DEP_1) | instskip(NEXT) | instid1(VALU_DEP_1)
	v_mul_u64_e32 v[2:3], s[16:17], v[0:1]
	v_add_nc_u32_e32 v2, v0, v3
	s_delay_alu instid0(VALU_DEP_1) | instskip(NEXT) | instid1(VALU_DEP_1)
	v_lshrrev_b32_e32 v4, s10, v2
	v_mul_lo_u32 v2, v4, s8
	s_delay_alu instid0(VALU_DEP_1) | instskip(NEXT) | instid1(VALU_DEP_1)
	v_sub_nc_u32_e32 v0, v0, v2
	v_mul_lo_u32 v3, v0, s13
	v_mul_lo_u32 v2, v0, s12
	s_cbranch_vccnz .LBB17_180
; %bb.179:
	v_mov_b32_e32 v5, v1
	s_delay_alu instid0(VALU_DEP_1) | instskip(NEXT) | instid1(VALU_DEP_1)
	v_mul_u64_e32 v[0:1], s[18:19], v[4:5]
	v_add_nc_u32_e32 v0, v4, v1
	s_delay_alu instid0(VALU_DEP_1) | instskip(NEXT) | instid1(VALU_DEP_1)
	v_lshrrev_b32_e32 v0, s1, v0
	v_mul_lo_u32 v0, v0, s11
	s_delay_alu instid0(VALU_DEP_1) | instskip(NEXT) | instid1(VALU_DEP_1)
	v_sub_nc_u32_e32 v0, v4, v0
	v_mad_u32 v2, v0, s14, v2
	v_mad_u32 v3, v0, s15, v3
.LBB17_180:
	global_load_b32 v0, v3, s[6:7]
	v_mov_b32_e32 v1, 0x7f800000
	s_mov_b32 s1, exec_lo
	s_wait_loadcnt 0x0
	v_cmpx_neq_f32_e32 0, v0
	s_cbranch_execz .LBB17_188
; %bb.181:
	v_mov_b32_e32 v1, 0x7fc00000
	s_mov_b32 s6, exec_lo
	v_cmpx_ngt_f32_e32 0, v0
	s_cbranch_execz .LBB17_187
; %bb.182:
                                        ; implicit-def: $vgpr1
	s_mov_b32 s0, exec_lo
	v_cmpx_ge_f32_e32 2.0, v0
	s_xor_b32 s7, exec_lo, s0
	s_cbranch_execz .LBB17_184
; %bb.183:
	v_mov_b32_e32 v1, 0.5
	s_mov_b32 s0, 0xa2a2e5b9
	v_mov_b64_e32 v[8:9], 0x3ad6e3ac293fd856
	v_mov_b64_e32 v[12:13], 0xbb8db2f12d3612e2
	v_mov_b64_e32 v[16:17], 0xbdc25b823aa5c174
	v_pk_fma_f32 v[4:5], v[0:1], v[0:1], -2.0 op_sel_hi:[0,1,0]
	s_delay_alu instid0(VALU_DEP_1) | instskip(NEXT) | instid1(VALU_DEP_2)
	v_fmaak_f32 v3, s0, v5, 0x24199b15
	v_mul_f32_e32 v10, 0x251e770f, v4
	s_mov_b32 s0, 0xa51e770f
	s_delay_alu instid0(VALU_DEP_2) | instskip(SKIP_1) | instid1(VALU_DEP_2)
	v_fmaak_f32 v6, v5, v3, 0x22a2e5b9
	v_pk_mul_f32 v[14:15], v[0:1], v[0:1] op_sel_hi:[0,1]
	v_add_f32_e32 v6, 0xa58c275c, v6
	s_delay_alu instid0(VALU_DEP_2) | instskip(NEXT) | instid1(VALU_DEP_2)
	v_cmp_gt_f32_e32 vcc_lo, 0x800000, v15
	v_fma_f32 v3, v5, v6, -v3
	s_delay_alu instid0(VALU_DEP_1) | instskip(NEXT) | instid1(VALU_DEP_1)
	v_add_f32_e32 v3, 0x26f736c5, v3
	v_fma_f32 v6, v5, v3, -v6
	s_delay_alu instid0(VALU_DEP_1) | instskip(NEXT) | instid1(VALU_DEP_1)
	v_add_f32_e32 v6, 0xa8528116, v6
	;; [unrolled: 3-line block ×17, first 2 shown]
	v_fma_f32 v6, v5, v3, -v6
	s_delay_alu instid0(VALU_DEP_1) | instskip(SKIP_1) | instid1(VALU_DEP_2)
	v_add_f32_e32 v7, 0xba1717e9, v6
	v_mov_b32_e32 v6, 0xa51e770f
	v_fma_f32 v11, v5, v7, -v3
	v_mul_f32_e32 v3, 0x3fb8aa3b, v0
	s_delay_alu instid0(VALU_DEP_2) | instskip(SKIP_2) | instid1(VALU_DEP_3)
	v_pk_add_f32 v[8:9], v[10:11], v[8:9]
	v_mov_b64_e32 v[10:11], s[0:1]
	v_cmp_ngt_f32_e64 s0, 0xc2ce8ed0, v0
	v_pk_fma_f32 v[6:7], v[4:5], v[8:9], v[6:7] neg_lo:[0,0,1] neg_hi:[0,0,1]
	s_delay_alu instid0(VALU_DEP_3) | instskip(NEXT) | instid1(VALU_DEP_2)
	v_pk_fma_f32 v[10:11], v[4:5], v[8:9], v[10:11]
	v_mov_b32_e32 v11, v7
	s_delay_alu instid0(VALU_DEP_1) | instskip(SKIP_2) | instid1(VALU_DEP_3)
	v_pk_add_f32 v[6:7], v[10:11], v[12:13]
	v_mov_b64_e32 v[10:11], 0x3c2ccb103102e09b
	v_mov_b64_e32 v[12:13], 0xc000000037bfc808
	v_pk_fma_f32 v[8:9], v[4:5], v[6:7], v[8:9] neg_lo:[0,0,1] neg_hi:[0,0,1]
	s_delay_alu instid0(VALU_DEP_1) | instskip(SKIP_1) | instid1(VALU_DEP_2)
	v_pk_add_f32 v[8:9], v[8:9], v[10:11]
	v_mov_b64_e32 v[10:11], 0xbcc274f8348815e7
	v_pk_fma_f32 v[6:7], v[4:5], v[8:9], v[6:7] neg_lo:[0,0,1] neg_hi:[0,0,1]
	s_delay_alu instid0(VALU_DEP_1) | instskip(SKIP_1) | instid1(VALU_DEP_2)
	v_pk_add_f32 v[6:7], v[6:7], v[10:11]
	v_mov_b64_e32 v[10:11], 0x3d49f45637bfc808
	v_pk_fma_f32 v[8:9], v[4:5], v[6:7], v[8:9] neg_lo:[0,0,1] neg_hi:[0,0,1]
	s_delay_alu instid0(VALU_DEP_1) | instskip(NEXT) | instid1(VALU_DEP_2)
	v_mov_b32_e32 v14, v8
	v_pk_add_f32 v[8:9], v[8:9], v[10:11]
	v_mov_b32_e32 v10, v4
	s_delay_alu instid0(VALU_DEP_3) | instskip(NEXT) | instid1(VALU_DEP_3)
	v_pk_add_f32 v[12:13], v[14:15], v[12:13]
	v_mov_b32_e32 v11, v9
	v_cndmask_b32_e64 v14, 0, 32, vcc_lo
	s_delay_alu instid0(VALU_DEP_2) | instskip(SKIP_3) | instid1(VALU_DEP_4)
	v_pk_fma_f32 v[6:7], v[12:13], v[10:11], v[6:7] neg_lo:[0,0,1] neg_hi:[0,0,1]
	v_mov_b64_e32 v[10:11], 0x3e2fbd643d135fb3
	v_rndne_f32_e32 v12, v3
	v_fma_f32 v13, 0x3fb8aa3b, v0, -v3
	v_pk_add_f32 v[6:7], v[6:7], v[16:17]
	s_delay_alu instid0(VALU_DEP_3) | instskip(NEXT) | instid1(VALU_DEP_3)
	v_sub_f32_e32 v3, v3, v12
	v_fmamk_f32 v13, v0, 0x32a5705f, v13
	s_delay_alu instid0(VALU_DEP_3) | instskip(NEXT) | instid1(VALU_DEP_2)
	v_pk_fma_f32 v[8:9], v[4:5], v[6:7], v[8:9] neg_lo:[0,0,1] neg_hi:[0,0,1]
	v_add_f32_e32 v3, v3, v13
	s_delay_alu instid0(VALU_DEP_2) | instskip(SKIP_1) | instid1(VALU_DEP_3)
	v_pk_add_f32 v[8:9], v[8:9], v[10:11]
	v_ldexp_f32 v10, v15, v14
	v_exp_f32_e32 v3, v3
	s_delay_alu instid0(VALU_DEP_2) | instskip(NEXT) | instid1(VALU_DEP_2)
	v_pk_fma_f32 v[6:7], v[4:5], v[8:9], v[6:7] neg_lo:[0,0,1] neg_hi:[0,0,1]
	v_log_f32_e32 v14, v10
	v_nop
	v_cvt_i32_f32_e32 v10, v12
	s_delay_alu instid0(VALU_DEP_3) | instskip(SKIP_1) | instid1(VALU_DEP_3)
	v_add_f32_e32 v7, 0xbe9bff5e, v7
	v_add_f32_e32 v6, 0x3eb046c4, v6
	v_ldexp_f32 v3, v3, v10
	s_delay_alu instid0(TRANS32_DEP_1) | instskip(NEXT) | instid1(VALU_DEP_3)
	v_dual_mul_f32 v11, 0x3f317217, v14 :: v_dual_mov_b32 v10, v8
	v_dual_fma_f32 v5, v5, v7, -v9 :: v_dual_mul_f32 v4, v4, v6
	s_delay_alu instid0(VALU_DEP_3) | instskip(NEXT) | instid1(VALU_DEP_3)
	v_cndmask_b32_e64 v3, 0, v3, s0
	v_fma_f32 v7, 0x3f317217, v14, -v11
	v_cmp_nlt_f32_e64 s0, 0x42b17218, v0
	s_delay_alu instid0(VALU_DEP_4) | instskip(SKIP_1) | instid1(VALU_DEP_4)
	v_add_f32_e32 v5, 0x3f2d4275, v5
	v_mov_b32_e32 v6, 0xbf090b37
	v_fmamk_f32 v7, v14, 0x3377d1cf, v7
	s_delay_alu instid0(VALU_DEP_4) | instskip(NEXT) | instid1(VALU_DEP_4)
	v_cndmask_b32_e64 v11, 0x7f800000, v3, s0
	v_pk_add_f32 v[4:5], v[4:5], v[8:9] neg_lo:[0,1] neg_hi:[0,1]
	s_delay_alu instid0(VALU_DEP_3) | instskip(NEXT) | instid1(VALU_DEP_2)
	v_fmac_f32_e32 v7, 0x3f317217, v14
	v_pk_mul_f32 v[12:13], v[4:5], v[0:1]
	v_cndmask_b32_e64 v0, 0, 0x41b17218, vcc_lo
	v_cmp_gt_f32_e64 vcc_lo, 0x7f800000, |v14|
	s_delay_alu instid0(VALU_DEP_4) | instskip(SKIP_2) | instid1(VALU_DEP_3)
	v_pk_add_f32 v[4:5], v[4:5], v[6:7]
	v_cndmask_b32_e32 v3, v14, v7, vcc_lo
	v_pk_mul_f32 v[6:7], v[12:13], v[10:11]
	v_pk_add_f32 v[4:5], v[4:5], v[8:9] neg_lo:[0,1] neg_hi:[0,1]
	s_delay_alu instid0(VALU_DEP_3) | instskip(NEXT) | instid1(VALU_DEP_3)
	v_dual_mov_b32 v12, v1 :: v_dual_sub_f32 v13, v3, v0
	v_mov_b32_e32 v5, v7
	s_delay_alu instid0(VALU_DEP_1) | instskip(NEXT) | instid1(VALU_DEP_1)
	v_pk_mul_f32 v[0:1], v[12:13], v[4:5]
	v_sub_f32_e32 v0, v0, v1
	s_delay_alu instid0(VALU_DEP_1)
	v_mul_f32_e32 v1, v11, v0
                                        ; implicit-def: $vgpr0
.LBB17_184:
	s_and_not1_saveexec_b32 s7, s7
	s_cbranch_execz .LBB17_186
; %bb.185:
	v_div_scale_f32 v1, null, v0, v0, 0x41000000
	v_div_scale_f32 v5, vcc_lo, 0x41000000, v0, 0x41000000
	s_mov_b32 s0, 0x22c38d2e
	v_rcp_f32_e32 v3, v1
	v_nop
	s_delay_alu instid0(TRANS32_DEP_1) | instskip(NEXT) | instid1(VALU_DEP_1)
	v_fma_f32 v4, -v1, v3, 1.0
	v_fmac_f32_e32 v3, v4, v3
	s_delay_alu instid0(VALU_DEP_1) | instskip(NEXT) | instid1(VALU_DEP_1)
	v_mul_f32_e32 v4, v5, v3
	v_fma_f32 v6, -v1, v4, v5
	s_delay_alu instid0(VALU_DEP_1) | instskip(NEXT) | instid1(VALU_DEP_1)
	v_fmac_f32_e32 v4, v6, v3
	v_fma_f32 v1, -v1, v4, v5
	v_mul_f32_e32 v5, 0x4f800000, v0
	s_delay_alu instid0(VALU_DEP_2) | instskip(SKIP_1) | instid1(VALU_DEP_2)
	v_div_fmas_f32 v1, v1, v3, v4
	v_cmp_gt_f32_e32 vcc_lo, 0xf800000, v0
	v_div_fixup_f32 v1, v1, v0, 0x41000000
	s_delay_alu instid0(VALU_DEP_4) | instskip(NEXT) | instid1(VALU_DEP_2)
	v_cndmask_b32_e32 v0, v0, v5, vcc_lo
	v_add_f32_e32 v1, -2.0, v1
	s_delay_alu instid0(VALU_DEP_2) | instskip(NEXT) | instid1(VALU_DEP_1)
	v_sqrt_f32_e32 v5, v0
	v_fmaak_f32 v3, s0, v1, 0xa397f665
	s_delay_alu instid0(TRANS32_DEP_1) | instskip(NEXT) | instid1(VALU_DEP_2)
	v_dual_add_nc_u32 v6, -1, v5 :: v_dual_add_nc_u32 v7, 1, v5
	v_fmaak_f32 v4, v1, v3, 0xa2c38d2e
	s_delay_alu instid0(VALU_DEP_2) | instskip(NEXT) | instid1(VALU_DEP_1)
	v_dual_fma_f32 v8, -v6, v5, v0 :: v_dual_fma_f32 v9, -v7, v5, v0
	v_cmp_ge_f32_e64 s0, 0, v8
	s_delay_alu instid0(VALU_DEP_1) | instskip(NEXT) | instid1(VALU_DEP_3)
	v_cndmask_b32_e64 v5, v5, v6, s0
	v_cmp_lt_f32_e64 s0, 0, v9
	s_delay_alu instid0(VALU_DEP_1) | instskip(SKIP_1) | instid1(VALU_DEP_1)
	v_cndmask_b32_e64 v5, v5, v7, s0
	v_add_f32_e32 v4, 0x24704972, v4
	v_fma_f32 v3, v1, v4, -v3
	s_delay_alu instid0(VALU_DEP_1) | instskip(NEXT) | instid1(VALU_DEP_1)
	v_add_f32_e32 v3, 0xa5417ca4, v3
	v_fma_f32 v4, v1, v3, -v4
	s_delay_alu instid0(VALU_DEP_1) | instskip(NEXT) | instid1(VALU_DEP_1)
	;; [unrolled: 3-line block ×21, first 2 shown]
	v_add_f32_e32 v3, 0xbd00cfb9, v3
	v_fma_f32 v1, v1, v3, -v4
	v_mul_f32_e32 v3, 0x37800000, v5
	s_delay_alu instid0(VALU_DEP_2) | instskip(NEXT) | instid1(VALU_DEP_2)
	v_add_f32_e32 v1, 0x401c2ded, v1
	v_cndmask_b32_e32 v3, v5, v3, vcc_lo
	v_cmp_class_f32_e64 vcc_lo, v0, 0x260
	s_delay_alu instid0(VALU_DEP_3) | instskip(NEXT) | instid1(VALU_DEP_1)
	v_sub_f32_e32 v1, v1, v4
	v_dual_cndmask_b32 v0, v3, v0 :: v_dual_mul_f32 v1, 0.5, v1
	s_delay_alu instid0(VALU_DEP_1) | instskip(NEXT) | instid1(VALU_DEP_1)
	v_div_scale_f32 v3, null, v0, v0, v1
	v_rcp_f32_e32 v4, v3
	v_nop
	s_delay_alu instid0(TRANS32_DEP_1) | instskip(NEXT) | instid1(VALU_DEP_1)
	v_fma_f32 v5, -v3, v4, 1.0
	v_fmac_f32_e32 v4, v5, v4
	v_div_scale_f32 v5, vcc_lo, v1, v0, v1
	s_delay_alu instid0(VALU_DEP_1) | instskip(NEXT) | instid1(VALU_DEP_1)
	v_mul_f32_e32 v6, v5, v4
	v_fma_f32 v7, -v3, v6, v5
	s_delay_alu instid0(VALU_DEP_1) | instskip(NEXT) | instid1(VALU_DEP_1)
	v_fmac_f32_e32 v6, v7, v4
	v_fma_f32 v3, -v3, v6, v5
	s_delay_alu instid0(VALU_DEP_1) | instskip(NEXT) | instid1(VALU_DEP_1)
	v_div_fmas_f32 v3, v3, v4, v6
	v_div_fixup_f32 v1, v3, v0, v1
.LBB17_186:
	s_or_b32 exec_lo, exec_lo, s7
.LBB17_187:
	s_delay_alu instid0(SALU_CYCLE_1)
	s_or_b32 exec_lo, exec_lo, s6
.LBB17_188:
	s_delay_alu instid0(SALU_CYCLE_1)
	s_or_b32 exec_lo, exec_lo, s1
	global_store_b32 v2, v1, s[4:5]
	s_wait_xcnt 0x0
	s_or_b32 exec_lo, exec_lo, s9
                                        ; implicit-def: $vgpr8
                                        ; implicit-def: $vgpr0
	s_and_not1_saveexec_b32 s0, s31
	s_cbranch_execz .LBB17_149
	s_branch .LBB17_8
	.section	.rodata,"a",@progbits
	.p2align	6, 0x0
	.amdhsa_kernel _ZN2at6native32elementwise_kernel_manual_unrollILi128ELi4EZNS0_22gpu_kernel_impl_nocastIZZZNS0_12_GLOBAL__N_137scaled_modified_bessel_k0_kernel_cudaERNS_18TensorIteratorBaseEENKUlvE_clEvENKUlvE0_clEvEUlfE_EEvS5_RKT_EUlibE_EEviT1_
		.amdhsa_group_segment_fixed_size 0
		.amdhsa_private_segment_fixed_size 0
		.amdhsa_kernarg_size 360
		.amdhsa_user_sgpr_count 2
		.amdhsa_user_sgpr_dispatch_ptr 0
		.amdhsa_user_sgpr_queue_ptr 0
		.amdhsa_user_sgpr_kernarg_segment_ptr 1
		.amdhsa_user_sgpr_dispatch_id 0
		.amdhsa_user_sgpr_kernarg_preload_length 0
		.amdhsa_user_sgpr_kernarg_preload_offset 0
		.amdhsa_user_sgpr_private_segment_size 0
		.amdhsa_wavefront_size32 1
		.amdhsa_uses_dynamic_stack 0
		.amdhsa_enable_private_segment 0
		.amdhsa_system_sgpr_workgroup_id_x 1
		.amdhsa_system_sgpr_workgroup_id_y 0
		.amdhsa_system_sgpr_workgroup_id_z 0
		.amdhsa_system_sgpr_workgroup_info 0
		.amdhsa_system_vgpr_workitem_id 0
		.amdhsa_next_free_vgpr 26
		.amdhsa_next_free_sgpr 60
		.amdhsa_named_barrier_count 0
		.amdhsa_reserve_vcc 1
		.amdhsa_float_round_mode_32 0
		.amdhsa_float_round_mode_16_64 0
		.amdhsa_float_denorm_mode_32 3
		.amdhsa_float_denorm_mode_16_64 3
		.amdhsa_fp16_overflow 0
		.amdhsa_memory_ordered 1
		.amdhsa_forward_progress 1
		.amdhsa_inst_pref_size 174
		.amdhsa_round_robin_scheduling 0
		.amdhsa_exception_fp_ieee_invalid_op 0
		.amdhsa_exception_fp_denorm_src 0
		.amdhsa_exception_fp_ieee_div_zero 0
		.amdhsa_exception_fp_ieee_overflow 0
		.amdhsa_exception_fp_ieee_underflow 0
		.amdhsa_exception_fp_ieee_inexact 0
		.amdhsa_exception_int_div_zero 0
	.end_amdhsa_kernel
	.section	.text._ZN2at6native32elementwise_kernel_manual_unrollILi128ELi4EZNS0_22gpu_kernel_impl_nocastIZZZNS0_12_GLOBAL__N_137scaled_modified_bessel_k0_kernel_cudaERNS_18TensorIteratorBaseEENKUlvE_clEvENKUlvE0_clEvEUlfE_EEvS5_RKT_EUlibE_EEviT1_,"axG",@progbits,_ZN2at6native32elementwise_kernel_manual_unrollILi128ELi4EZNS0_22gpu_kernel_impl_nocastIZZZNS0_12_GLOBAL__N_137scaled_modified_bessel_k0_kernel_cudaERNS_18TensorIteratorBaseEENKUlvE_clEvENKUlvE0_clEvEUlfE_EEvS5_RKT_EUlibE_EEviT1_,comdat
.Lfunc_end17:
	.size	_ZN2at6native32elementwise_kernel_manual_unrollILi128ELi4EZNS0_22gpu_kernel_impl_nocastIZZZNS0_12_GLOBAL__N_137scaled_modified_bessel_k0_kernel_cudaERNS_18TensorIteratorBaseEENKUlvE_clEvENKUlvE0_clEvEUlfE_EEvS5_RKT_EUlibE_EEviT1_, .Lfunc_end17-_ZN2at6native32elementwise_kernel_manual_unrollILi128ELi4EZNS0_22gpu_kernel_impl_nocastIZZZNS0_12_GLOBAL__N_137scaled_modified_bessel_k0_kernel_cudaERNS_18TensorIteratorBaseEENKUlvE_clEvENKUlvE0_clEvEUlfE_EEvS5_RKT_EUlibE_EEviT1_
                                        ; -- End function
	.set _ZN2at6native32elementwise_kernel_manual_unrollILi128ELi4EZNS0_22gpu_kernel_impl_nocastIZZZNS0_12_GLOBAL__N_137scaled_modified_bessel_k0_kernel_cudaERNS_18TensorIteratorBaseEENKUlvE_clEvENKUlvE0_clEvEUlfE_EEvS5_RKT_EUlibE_EEviT1_.num_vgpr, 26
	.set _ZN2at6native32elementwise_kernel_manual_unrollILi128ELi4EZNS0_22gpu_kernel_impl_nocastIZZZNS0_12_GLOBAL__N_137scaled_modified_bessel_k0_kernel_cudaERNS_18TensorIteratorBaseEENKUlvE_clEvENKUlvE0_clEvEUlfE_EEvS5_RKT_EUlibE_EEviT1_.num_agpr, 0
	.set _ZN2at6native32elementwise_kernel_manual_unrollILi128ELi4EZNS0_22gpu_kernel_impl_nocastIZZZNS0_12_GLOBAL__N_137scaled_modified_bessel_k0_kernel_cudaERNS_18TensorIteratorBaseEENKUlvE_clEvENKUlvE0_clEvEUlfE_EEvS5_RKT_EUlibE_EEviT1_.numbered_sgpr, 60
	.set _ZN2at6native32elementwise_kernel_manual_unrollILi128ELi4EZNS0_22gpu_kernel_impl_nocastIZZZNS0_12_GLOBAL__N_137scaled_modified_bessel_k0_kernel_cudaERNS_18TensorIteratorBaseEENKUlvE_clEvENKUlvE0_clEvEUlfE_EEvS5_RKT_EUlibE_EEviT1_.num_named_barrier, 0
	.set _ZN2at6native32elementwise_kernel_manual_unrollILi128ELi4EZNS0_22gpu_kernel_impl_nocastIZZZNS0_12_GLOBAL__N_137scaled_modified_bessel_k0_kernel_cudaERNS_18TensorIteratorBaseEENKUlvE_clEvENKUlvE0_clEvEUlfE_EEvS5_RKT_EUlibE_EEviT1_.private_seg_size, 0
	.set _ZN2at6native32elementwise_kernel_manual_unrollILi128ELi4EZNS0_22gpu_kernel_impl_nocastIZZZNS0_12_GLOBAL__N_137scaled_modified_bessel_k0_kernel_cudaERNS_18TensorIteratorBaseEENKUlvE_clEvENKUlvE0_clEvEUlfE_EEvS5_RKT_EUlibE_EEviT1_.uses_vcc, 1
	.set _ZN2at6native32elementwise_kernel_manual_unrollILi128ELi4EZNS0_22gpu_kernel_impl_nocastIZZZNS0_12_GLOBAL__N_137scaled_modified_bessel_k0_kernel_cudaERNS_18TensorIteratorBaseEENKUlvE_clEvENKUlvE0_clEvEUlfE_EEvS5_RKT_EUlibE_EEviT1_.uses_flat_scratch, 0
	.set _ZN2at6native32elementwise_kernel_manual_unrollILi128ELi4EZNS0_22gpu_kernel_impl_nocastIZZZNS0_12_GLOBAL__N_137scaled_modified_bessel_k0_kernel_cudaERNS_18TensorIteratorBaseEENKUlvE_clEvENKUlvE0_clEvEUlfE_EEvS5_RKT_EUlibE_EEviT1_.has_dyn_sized_stack, 0
	.set _ZN2at6native32elementwise_kernel_manual_unrollILi128ELi4EZNS0_22gpu_kernel_impl_nocastIZZZNS0_12_GLOBAL__N_137scaled_modified_bessel_k0_kernel_cudaERNS_18TensorIteratorBaseEENKUlvE_clEvENKUlvE0_clEvEUlfE_EEvS5_RKT_EUlibE_EEviT1_.has_recursion, 0
	.set _ZN2at6native32elementwise_kernel_manual_unrollILi128ELi4EZNS0_22gpu_kernel_impl_nocastIZZZNS0_12_GLOBAL__N_137scaled_modified_bessel_k0_kernel_cudaERNS_18TensorIteratorBaseEENKUlvE_clEvENKUlvE0_clEvEUlfE_EEvS5_RKT_EUlibE_EEviT1_.has_indirect_call, 0
	.section	.AMDGPU.csdata,"",@progbits
; Kernel info:
; codeLenInByte = 22168
; TotalNumSgprs: 62
; NumVgprs: 26
; ScratchSize: 0
; MemoryBound: 0
; FloatMode: 240
; IeeeMode: 1
; LDSByteSize: 0 bytes/workgroup (compile time only)
; SGPRBlocks: 0
; VGPRBlocks: 1
; NumSGPRsForWavesPerEU: 62
; NumVGPRsForWavesPerEU: 26
; NamedBarCnt: 0
; Occupancy: 16
; WaveLimiterHint : 1
; COMPUTE_PGM_RSRC2:SCRATCH_EN: 0
; COMPUTE_PGM_RSRC2:USER_SGPR: 2
; COMPUTE_PGM_RSRC2:TRAP_HANDLER: 0
; COMPUTE_PGM_RSRC2:TGID_X_EN: 1
; COMPUTE_PGM_RSRC2:TGID_Y_EN: 0
; COMPUTE_PGM_RSRC2:TGID_Z_EN: 0
; COMPUTE_PGM_RSRC2:TIDIG_COMP_CNT: 0
	.section	.text._ZN2at6native32elementwise_kernel_manual_unrollILi128ELi4EZNS0_15gpu_kernel_implIZZZNS0_12_GLOBAL__N_137scaled_modified_bessel_k0_kernel_cudaERNS_18TensorIteratorBaseEENKUlvE_clEvENKUlvE0_clEvEUlfE_EEvS5_RKT_EUlibE_EEviT1_,"axG",@progbits,_ZN2at6native32elementwise_kernel_manual_unrollILi128ELi4EZNS0_15gpu_kernel_implIZZZNS0_12_GLOBAL__N_137scaled_modified_bessel_k0_kernel_cudaERNS_18TensorIteratorBaseEENKUlvE_clEvENKUlvE0_clEvEUlfE_EEvS5_RKT_EUlibE_EEviT1_,comdat
	.globl	_ZN2at6native32elementwise_kernel_manual_unrollILi128ELi4EZNS0_15gpu_kernel_implIZZZNS0_12_GLOBAL__N_137scaled_modified_bessel_k0_kernel_cudaERNS_18TensorIteratorBaseEENKUlvE_clEvENKUlvE0_clEvEUlfE_EEvS5_RKT_EUlibE_EEviT1_ ; -- Begin function _ZN2at6native32elementwise_kernel_manual_unrollILi128ELi4EZNS0_15gpu_kernel_implIZZZNS0_12_GLOBAL__N_137scaled_modified_bessel_k0_kernel_cudaERNS_18TensorIteratorBaseEENKUlvE_clEvENKUlvE0_clEvEUlfE_EEvS5_RKT_EUlibE_EEviT1_
	.p2align	8
	.type	_ZN2at6native32elementwise_kernel_manual_unrollILi128ELi4EZNS0_15gpu_kernel_implIZZZNS0_12_GLOBAL__N_137scaled_modified_bessel_k0_kernel_cudaERNS_18TensorIteratorBaseEENKUlvE_clEvENKUlvE0_clEvEUlfE_EEvS5_RKT_EUlibE_EEviT1_,@function
_ZN2at6native32elementwise_kernel_manual_unrollILi128ELi4EZNS0_15gpu_kernel_implIZZZNS0_12_GLOBAL__N_137scaled_modified_bessel_k0_kernel_cudaERNS_18TensorIteratorBaseEENKUlvE_clEvENKUlvE0_clEvEUlfE_EEvS5_RKT_EUlibE_EEviT1_: ; @_ZN2at6native32elementwise_kernel_manual_unrollILi128ELi4EZNS0_15gpu_kernel_implIZZZNS0_12_GLOBAL__N_137scaled_modified_bessel_k0_kernel_cudaERNS_18TensorIteratorBaseEENKUlvE_clEvENKUlvE0_clEvEUlfE_EEvS5_RKT_EUlibE_EEviT1_
; %bb.0:
	v_mov_b32_e32 v1, 0
	s_bfe_u32 s9, ttmp6, 0x4000c
	s_clause 0x1
	s_load_b32 s12, s[0:1], 0x0
	s_load_b128 s[4:7], s[0:1], 0x8
	s_add_co_i32 s9, s9, 1
	s_and_b32 s10, ttmp6, 15
	global_load_u16 v1, v1, s[0:1] offset:33
	s_load_b64 s[2:3], s[0:1], 0x18
	s_wait_xcnt 0x0
	s_mul_i32 s1, ttmp9, s9
	s_getreg_b32 s11, hwreg(HW_REG_IB_STS2, 6, 4)
	s_add_co_i32 s10, s10, s1
	s_mov_b32 s1, 0
	s_wait_loadcnt 0x0
	v_readfirstlane_b32 s8, v1
	s_and_b32 s0, 0xffff, s8
	s_delay_alu instid0(SALU_CYCLE_1) | instskip(SKIP_3) | instid1(SALU_CYCLE_1)
	s_lshr_b32 s9, s0, 8
	s_cmp_eq_u32 s11, 0
	s_mov_b32 s11, 0
	s_cselect_b32 s0, ttmp9, s10
	v_lshl_or_b32 v10, s0, 9, v0
	s_mov_b32 s0, exec_lo
	s_delay_alu instid0(VALU_DEP_1) | instskip(SKIP_1) | instid1(VALU_DEP_1)
	v_or_b32_e32 v0, 0x180, v10
	s_wait_kmcnt 0x0
	v_cmpx_le_i32_e64 s12, v0
	s_xor_b32 s10, exec_lo, s0
	s_cbranch_execz .LBB18_1063
; %bb.1:
	s_mov_b32 s17, -1
	s_mov_b32 s15, 0
	s_mov_b32 s13, 0
	s_mov_b32 s14, exec_lo
	v_cmpx_gt_i32_e64 s12, v10
	s_cbranch_execz .LBB18_260
; %bb.2:
	v_mul_lo_u32 v0, v10, s3
	s_and_b32 s0, 0xffff, s9
	s_delay_alu instid0(SALU_CYCLE_1) | instskip(NEXT) | instid1(VALU_DEP_1)
	s_cmp_lt_i32 s0, 11
	v_ashrrev_i32_e32 v1, 31, v0
	s_delay_alu instid0(VALU_DEP_1)
	v_add_nc_u64_e32 v[0:1], s[6:7], v[0:1]
	s_cbranch_scc1 .LBB18_9
; %bb.3:
	s_cmp_gt_i32 s0, 25
	s_cbranch_scc0 .LBB18_26
; %bb.4:
	s_cmp_gt_i32 s0, 28
	s_cbranch_scc0 .LBB18_29
	;; [unrolled: 3-line block ×4, first 2 shown]
; %bb.7:
	s_cmp_eq_u32 s0, 46
	s_mov_b32 s16, 0
	s_cbranch_scc0 .LBB18_35
; %bb.8:
	global_load_b32 v2, v[0:1], off
	s_mov_b32 s11, -1
	s_wait_loadcnt 0x0
	v_lshlrev_b32_e32 v2, 16, v2
	s_branch .LBB18_37
.LBB18_9:
                                        ; implicit-def: $vgpr2
	s_cbranch_execnz .LBB18_210
.LBB18_10:
	s_and_not1_b32 vcc_lo, exec_lo, s11
	s_cbranch_vccnz .LBB18_257
.LBB18_11:
	s_wait_xcnt 0x0
	v_mov_b32_e32 v0, 0x7f800000
	s_mov_b32 s11, exec_lo
	s_wait_loadcnt 0x0
	s_delay_alu instid0(VALU_DEP_2)
	v_cmpx_neq_f32_e32 0, v2
	s_cbranch_execz .LBB18_19
; %bb.12:
	v_mov_b32_e32 v0, 0x7fc00000
	s_mov_b32 s16, exec_lo
	v_cmpx_ngt_f32_e32 0, v2
	s_cbranch_execz .LBB18_18
; %bb.13:
                                        ; implicit-def: $vgpr0
	s_mov_b32 s0, exec_lo
	v_cmpx_ge_f32_e32 2.0, v2
	s_xor_b32 s17, exec_lo, s0
	s_cbranch_execz .LBB18_15
; %bb.14:
	s_mov_b32 s0, 0xa2a2e5b9
	v_mov_b32_e32 v3, 0.5
	v_mul_f32_e32 v11, 0x3fb8aa3b, v2
	v_mov_b64_e32 v[6:7], 0x3ad6e3ac293fd856
	v_mov_b64_e32 v[12:13], 0xbb8db2f12d3612e2
	;; [unrolled: 1-line block ×3, first 2 shown]
	v_pk_fma_f32 v[0:1], v[2:3], v[2:3], -2.0 op_sel_hi:[0,1,0]
	s_delay_alu instid0(VALU_DEP_1) | instskip(NEXT) | instid1(VALU_DEP_2)
	v_fmaak_f32 v4, s0, v1, 0x24199b15
	v_mul_f32_e32 v8, 0x251e770f, v0
	s_mov_b32 s0, 0xa51e770f
	v_pk_mul_f32 v[14:15], v[2:3], v[2:3] op_sel_hi:[0,1]
	s_delay_alu instid0(VALU_DEP_3) | instskip(NEXT) | instid1(VALU_DEP_2)
	v_fmaak_f32 v5, v1, v4, 0x22a2e5b9
	v_cmp_gt_f32_e32 vcc_lo, 0x800000, v15
	s_delay_alu instid0(VALU_DEP_2) | instskip(NEXT) | instid1(VALU_DEP_1)
	v_add_f32_e32 v5, 0xa58c275c, v5
	v_fma_f32 v4, v1, v5, -v4
	s_delay_alu instid0(VALU_DEP_1) | instskip(NEXT) | instid1(VALU_DEP_1)
	v_add_f32_e32 v4, 0x26f736c5, v4
	v_fma_f32 v5, v1, v4, -v5
	s_delay_alu instid0(VALU_DEP_1) | instskip(NEXT) | instid1(VALU_DEP_1)
	;; [unrolled: 3-line block ×18, first 2 shown]
	v_add_f32_e32 v5, 0xba1717e9, v5
	v_fma_f32 v9, v1, v5, -v4
	v_mov_b32_e32 v4, 0xa51e770f
	s_delay_alu instid0(VALU_DEP_2) | instskip(SKIP_2) | instid1(VALU_DEP_3)
	v_pk_add_f32 v[6:7], v[8:9], v[6:7]
	v_mov_b64_e32 v[8:9], s[0:1]
	v_cmp_ngt_f32_e64 s0, 0xc2ce8ed0, v2
	v_pk_fma_f32 v[4:5], v[0:1], v[6:7], v[4:5] neg_lo:[0,0,1] neg_hi:[0,0,1]
	s_delay_alu instid0(VALU_DEP_3) | instskip(NEXT) | instid1(VALU_DEP_2)
	v_pk_fma_f32 v[8:9], v[0:1], v[6:7], v[8:9]
	v_mov_b32_e32 v9, v5
	s_delay_alu instid0(VALU_DEP_1) | instskip(SKIP_2) | instid1(VALU_DEP_3)
	v_pk_add_f32 v[4:5], v[8:9], v[12:13]
	v_mov_b64_e32 v[8:9], 0x3c2ccb103102e09b
	v_mov_b64_e32 v[12:13], 0xc000000037bfc808
	v_pk_fma_f32 v[6:7], v[0:1], v[4:5], v[6:7] neg_lo:[0,0,1] neg_hi:[0,0,1]
	s_delay_alu instid0(VALU_DEP_1) | instskip(SKIP_1) | instid1(VALU_DEP_2)
	v_pk_add_f32 v[6:7], v[6:7], v[8:9]
	v_mov_b64_e32 v[8:9], 0xbcc274f8348815e7
	v_pk_fma_f32 v[4:5], v[0:1], v[6:7], v[4:5] neg_lo:[0,0,1] neg_hi:[0,0,1]
	s_delay_alu instid0(VALU_DEP_1) | instskip(SKIP_1) | instid1(VALU_DEP_2)
	v_pk_add_f32 v[4:5], v[4:5], v[8:9]
	v_mov_b64_e32 v[8:9], 0x3d49f45637bfc808
	v_pk_fma_f32 v[6:7], v[0:1], v[4:5], v[6:7] neg_lo:[0,0,1] neg_hi:[0,0,1]
	s_delay_alu instid0(VALU_DEP_1) | instskip(NEXT) | instid1(VALU_DEP_2)
	v_mov_b32_e32 v14, v6
	v_pk_add_f32 v[6:7], v[6:7], v[8:9]
	v_mov_b32_e32 v8, v0
	s_delay_alu instid0(VALU_DEP_3) | instskip(NEXT) | instid1(VALU_DEP_3)
	v_pk_add_f32 v[12:13], v[14:15], v[12:13]
	v_mov_b32_e32 v9, v7
	v_cndmask_b32_e64 v14, 0, 32, vcc_lo
	s_delay_alu instid0(VALU_DEP_2) | instskip(SKIP_3) | instid1(VALU_DEP_4)
	v_pk_fma_f32 v[4:5], v[12:13], v[8:9], v[4:5] neg_lo:[0,0,1] neg_hi:[0,0,1]
	v_mov_b64_e32 v[8:9], 0x3e2fbd643d135fb3
	v_rndne_f32_e32 v12, v11
	v_fma_f32 v13, 0x3fb8aa3b, v2, -v11
	v_pk_add_f32 v[4:5], v[4:5], v[16:17]
	s_delay_alu instid0(VALU_DEP_3) | instskip(NEXT) | instid1(VALU_DEP_3)
	v_sub_f32_e32 v11, v11, v12
	v_fmamk_f32 v13, v2, 0x32a5705f, v13
	s_delay_alu instid0(VALU_DEP_3) | instskip(NEXT) | instid1(VALU_DEP_1)
	v_pk_fma_f32 v[6:7], v[0:1], v[4:5], v[6:7] neg_lo:[0,0,1] neg_hi:[0,0,1]
	v_pk_add_f32 v[6:7], v[6:7], v[8:9]
	v_ldexp_f32 v8, v15, v14
	s_delay_alu instid0(VALU_DEP_4) | instskip(NEXT) | instid1(VALU_DEP_3)
	v_add_f32_e32 v9, v11, v13
	v_pk_fma_f32 v[4:5], v[0:1], v[6:7], v[4:5] neg_lo:[0,0,1] neg_hi:[0,0,1]
	s_delay_alu instid0(VALU_DEP_3) | instskip(NEXT) | instid1(VALU_DEP_2)
	v_log_f32_e32 v11, v8
	v_exp_f32_e32 v8, v9
	v_nop
	v_cvt_i32_f32_e32 v9, v12
	v_add_f32_e32 v5, 0xbe9bff5e, v5
	v_add_f32_e32 v4, 0x3eb046c4, v4
	s_delay_alu instid0(TRANS32_DEP_2) | instskip(NEXT) | instid1(VALU_DEP_3)
	v_mul_f32_e32 v12, 0x3f317217, v11
	v_fma_f32 v1, v1, v5, -v7
	v_ldexp_f32 v5, v8, v9
	s_delay_alu instid0(VALU_DEP_4) | instskip(NEXT) | instid1(VALU_DEP_4)
	v_mul_f32_e32 v0, v0, v4
	v_fma_f32 v8, 0x3f317217, v11, -v12
	v_mov_b32_e32 v4, 0xbf090b37
	v_add_f32_e32 v1, 0x3f2d4275, v1
	v_cndmask_b32_e64 v5, 0, v5, s0
	v_cmp_nlt_f32_e64 s0, 0x42b17218, v2
	v_fmamk_f32 v14, v11, 0x3377d1cf, v8
	v_mov_b32_e32 v8, v6
	v_pk_add_f32 v[0:1], v[0:1], v[6:7] neg_lo:[0,1] neg_hi:[0,1]
	s_delay_alu instid0(VALU_DEP_4) | instskip(NEXT) | instid1(VALU_DEP_4)
	v_cndmask_b32_e64 v9, 0x7f800000, v5, s0
	v_fmac_f32_e32 v14, 0x3f317217, v11
	s_delay_alu instid0(VALU_DEP_3) | instskip(SKIP_3) | instid1(VALU_DEP_4)
	v_pk_mul_f32 v[12:13], v[0:1], v[2:3]
	v_cndmask_b32_e64 v2, 0, 0x41b17218, vcc_lo
	v_cmp_gt_f32_e64 vcc_lo, 0x7f800000, |v11|
	v_pk_add_f32 v[0:1], v[0:1], v[4:5]
	v_pk_mul_f32 v[4:5], v[12:13], v[8:9]
	v_mov_b32_e32 v12, v3
	v_cndmask_b32_e32 v11, v11, v14, vcc_lo
	s_delay_alu instid0(VALU_DEP_4) | instskip(NEXT) | instid1(VALU_DEP_2)
	v_pk_add_f32 v[0:1], v[0:1], v[6:7] neg_lo:[0,1] neg_hi:[0,1]
	v_dual_mov_b32 v1, v5 :: v_dual_sub_f32 v13, v11, v2
                                        ; implicit-def: $vgpr2
	s_delay_alu instid0(VALU_DEP_1) | instskip(NEXT) | instid1(VALU_DEP_1)
	v_pk_mul_f32 v[0:1], v[12:13], v[0:1]
	v_sub_f32_e32 v0, v0, v1
	s_delay_alu instid0(VALU_DEP_1)
	v_mul_f32_e32 v0, v9, v0
.LBB18_15:
	s_and_not1_saveexec_b32 s17, s17
	s_cbranch_execz .LBB18_17
; %bb.16:
	v_div_scale_f32 v0, null, v2, v2, 0x41000000
	v_div_scale_f32 v4, vcc_lo, 0x41000000, v2, 0x41000000
	s_mov_b32 s0, 0x22c38d2e
	v_rcp_f32_e32 v1, v0
	v_nop
	s_delay_alu instid0(TRANS32_DEP_1) | instskip(NEXT) | instid1(VALU_DEP_1)
	v_fma_f32 v3, -v0, v1, 1.0
	v_fmac_f32_e32 v1, v3, v1
	s_delay_alu instid0(VALU_DEP_1) | instskip(NEXT) | instid1(VALU_DEP_1)
	v_mul_f32_e32 v3, v4, v1
	v_fma_f32 v5, -v0, v3, v4
	s_delay_alu instid0(VALU_DEP_1) | instskip(NEXT) | instid1(VALU_DEP_1)
	v_fmac_f32_e32 v3, v5, v1
	v_fma_f32 v0, -v0, v3, v4
	v_mul_f32_e32 v4, 0x4f800000, v2
	s_delay_alu instid0(VALU_DEP_2) | instskip(SKIP_1) | instid1(VALU_DEP_2)
	v_div_fmas_f32 v0, v0, v1, v3
	v_cmp_gt_f32_e32 vcc_lo, 0xf800000, v2
	v_div_fixup_f32 v0, v0, v2, 0x41000000
	s_delay_alu instid0(VALU_DEP_4) | instskip(NEXT) | instid1(VALU_DEP_2)
	v_cndmask_b32_e32 v2, v2, v4, vcc_lo
	v_add_f32_e32 v0, -2.0, v0
	s_delay_alu instid0(VALU_DEP_2) | instskip(NEXT) | instid1(VALU_DEP_1)
	v_sqrt_f32_e32 v4, v2
	v_fmaak_f32 v1, s0, v0, 0xa397f665
	s_delay_alu instid0(TRANS32_DEP_1) | instskip(NEXT) | instid1(VALU_DEP_2)
	v_dual_add_nc_u32 v6, 1, v4 :: v_dual_add_nc_u32 v5, -1, v4
	v_fmaak_f32 v3, v0, v1, 0xa2c38d2e
	s_delay_alu instid0(VALU_DEP_2) | instskip(NEXT) | instid1(VALU_DEP_2)
	v_dual_fma_f32 v8, -v6, v4, v2 :: v_dual_fma_f32 v7, -v5, v4, v2
	v_add_f32_e32 v3, 0x24704972, v3
	s_delay_alu instid0(VALU_DEP_2) | instskip(NEXT) | instid1(VALU_DEP_2)
	v_cmp_ge_f32_e64 s0, 0, v7
	v_fma_f32 v1, v0, v3, -v1
	s_delay_alu instid0(VALU_DEP_2) | instskip(NEXT) | instid1(VALU_DEP_2)
	v_cndmask_b32_e64 v4, v4, v5, s0
	v_add_f32_e32 v1, 0xa5417ca4, v1
	v_cmp_lt_f32_e64 s0, 0, v8
	s_delay_alu instid0(VALU_DEP_2) | instskip(NEXT) | instid1(VALU_DEP_2)
	v_fma_f32 v3, v0, v1, -v3
	v_cndmask_b32_e64 v4, v4, v6, s0
	s_delay_alu instid0(VALU_DEP_2) | instskip(NEXT) | instid1(VALU_DEP_1)
	v_add_f32_e32 v3, 0x261edfcb, v3
	v_fma_f32 v1, v0, v3, -v1
	s_delay_alu instid0(VALU_DEP_1) | instskip(NEXT) | instid1(VALU_DEP_1)
	v_add_f32_e32 v1, 0xa7053487, v1
	v_fma_f32 v3, v0, v1, -v3
	s_delay_alu instid0(VALU_DEP_1) | instskip(NEXT) | instid1(VALU_DEP_1)
	;; [unrolled: 3-line block ×19, first 2 shown]
	v_add_f32_e32 v1, 0xbd00cfb9, v1
	v_fma_f32 v0, v0, v1, -v3
	v_mul_f32_e32 v1, 0x37800000, v4
	s_delay_alu instid0(VALU_DEP_1) | instskip(SKIP_1) | instid1(VALU_DEP_2)
	v_dual_add_f32 v0, 0x401c2ded, v0 :: v_dual_cndmask_b32 v1, v4, v1
	v_cmp_class_f32_e64 vcc_lo, v2, 0x260
	v_dual_sub_f32 v0, v0, v3 :: v_dual_cndmask_b32 v1, v1, v2
	s_delay_alu instid0(VALU_DEP_1) | instskip(NEXT) | instid1(VALU_DEP_1)
	v_mul_f32_e32 v0, 0.5, v0
	v_div_scale_f32 v2, null, v1, v1, v0
	s_delay_alu instid0(VALU_DEP_1) | instskip(SKIP_1) | instid1(TRANS32_DEP_1)
	v_rcp_f32_e32 v3, v2
	v_nop
	v_fma_f32 v4, -v2, v3, 1.0
	s_delay_alu instid0(VALU_DEP_1) | instskip(SKIP_1) | instid1(VALU_DEP_1)
	v_fmac_f32_e32 v3, v4, v3
	v_div_scale_f32 v4, vcc_lo, v0, v1, v0
	v_mul_f32_e32 v5, v4, v3
	s_delay_alu instid0(VALU_DEP_1) | instskip(NEXT) | instid1(VALU_DEP_1)
	v_fma_f32 v6, -v2, v5, v4
	v_fmac_f32_e32 v5, v6, v3
	s_delay_alu instid0(VALU_DEP_1) | instskip(NEXT) | instid1(VALU_DEP_1)
	v_fma_f32 v2, -v2, v5, v4
	v_div_fmas_f32 v2, v2, v3, v5
	s_delay_alu instid0(VALU_DEP_1)
	v_div_fixup_f32 v0, v2, v1, v0
.LBB18_17:
	s_or_b32 exec_lo, exec_lo, s17
.LBB18_18:
	s_delay_alu instid0(SALU_CYCLE_1)
	s_or_b32 exec_lo, exec_lo, s16
.LBB18_19:
	s_delay_alu instid0(SALU_CYCLE_1) | instskip(SKIP_2) | instid1(SALU_CYCLE_1)
	s_or_b32 exec_lo, exec_lo, s11
	v_mul_lo_u32 v2, v10, s2
	s_and_b32 s11, s8, 0xff
	s_cmp_lt_i32 s11, 11
	s_delay_alu instid0(VALU_DEP_1) | instskip(NEXT) | instid1(VALU_DEP_1)
	v_ashrrev_i32_e32 v3, 31, v2
	v_add_nc_u64_e32 v[2:3], s[4:5], v[2:3]
	s_cbranch_scc1 .LBB18_27
; %bb.20:
	s_and_b32 s16, 0xffff, s11
	s_delay_alu instid0(SALU_CYCLE_1)
	s_cmp_gt_i32 s16, 25
	s_cbranch_scc0 .LBB18_30
; %bb.21:
	s_cmp_gt_i32 s16, 28
	s_cbranch_scc0 .LBB18_32
; %bb.22:
	;; [unrolled: 3-line block ×4, first 2 shown]
	s_mov_b32 s18, 0
	s_mov_b32 s0, -1
	s_cmp_eq_u32 s16, 46
	s_mov_b32 s17, 0
	s_cbranch_scc0 .LBB18_41
; %bb.25:
	v_bfe_u32 v1, v0, 16, 1
	v_cmp_o_f32_e32 vcc_lo, v0, v0
	s_mov_b32 s17, -1
	s_mov_b32 s0, 0
	s_delay_alu instid0(VALU_DEP_2) | instskip(NEXT) | instid1(VALU_DEP_1)
	v_add3_u32 v1, v0, v1, 0x7fff
	v_lshrrev_b32_e32 v1, 16, v1
	s_delay_alu instid0(VALU_DEP_1)
	v_cndmask_b32_e32 v1, 0x7fc0, v1, vcc_lo
	global_store_b32 v[2:3], v1, off
	s_branch .LBB18_41
.LBB18_26:
                                        ; implicit-def: $vgpr2
	s_cbranch_execnz .LBB18_175
	s_branch .LBB18_209
.LBB18_27:
	s_mov_b32 s0, 0
	s_mov_b32 s17, 0
	s_cbranch_execnz .LBB18_110
.LBB18_28:
	s_and_not1_b32 vcc_lo, exec_lo, s17
	s_cbranch_vccnz .LBB18_258
	s_branch .LBB18_148
.LBB18_29:
	s_mov_b32 s16, -1
                                        ; implicit-def: $vgpr2
	s_branch .LBB18_156
.LBB18_30:
	s_mov_b32 s18, -1
	s_mov_b32 s0, 0
	s_mov_b32 s17, 0
	s_branch .LBB18_68
.LBB18_31:
	s_mov_b32 s16, -1
                                        ; implicit-def: $vgpr2
	s_branch .LBB18_151
.LBB18_32:
	s_mov_b32 s18, -1
	s_mov_b32 s0, 0
	s_mov_b32 s17, 0
	s_branch .LBB18_51
.LBB18_33:
	s_mov_b32 s16, -1
	s_branch .LBB18_36
.LBB18_34:
	s_mov_b32 s18, -1
	s_mov_b32 s0, 0
	s_mov_b32 s17, 0
	s_branch .LBB18_47
.LBB18_35:
	s_mov_b32 s13, -1
.LBB18_36:
                                        ; implicit-def: $vgpr2
.LBB18_37:
	s_and_b32 vcc_lo, exec_lo, s16
	s_cbranch_vccz .LBB18_150
; %bb.38:
	s_cmp_eq_u32 s0, 44
	s_cbranch_scc0 .LBB18_149
; %bb.39:
	global_load_u8 v2, v[0:1], off
	s_mov_b32 s13, 0
	s_mov_b32 s11, -1
	s_wait_loadcnt 0x0
	v_lshlrev_b32_e32 v3, 23, v2
	v_cmp_ne_u32_e32 vcc_lo, 0xff, v2
	s_delay_alu instid0(VALU_DEP_2) | instskip(SKIP_1) | instid1(VALU_DEP_2)
	v_cndmask_b32_e32 v3, 0x7f800001, v3, vcc_lo
	v_cmp_ne_u32_e32 vcc_lo, 0, v2
	v_cndmask_b32_e32 v2, 0x400000, v3, vcc_lo
	s_branch .LBB18_150
.LBB18_40:
	s_mov_b32 s18, -1
	s_mov_b32 s0, 0
	s_mov_b32 s17, 0
.LBB18_41:
	s_and_b32 vcc_lo, exec_lo, s18
	s_cbranch_vccz .LBB18_46
; %bb.42:
	s_cmp_eq_u32 s16, 44
	s_mov_b32 s0, -1
	s_cbranch_scc0 .LBB18_46
; %bb.43:
	v_bfe_u32 v4, v0, 23, 8
	s_wait_xcnt 0x0
	v_mov_b32_e32 v1, 0xff
	s_mov_b32 s17, exec_lo
	s_delay_alu instid0(VALU_DEP_2)
	v_cmpx_ne_u32_e32 0xff, v4
	s_cbranch_execz .LBB18_45
; %bb.44:
	v_and_b32_e32 v1, 0x400000, v0
	v_and_or_b32 v4, 0x3fffff, v0, v4
	s_delay_alu instid0(VALU_DEP_2) | instskip(NEXT) | instid1(VALU_DEP_2)
	v_cmp_ne_u32_e32 vcc_lo, 0, v1
	v_cmp_ne_u32_e64 s0, 0, v4
	v_lshrrev_b32_e32 v1, 23, v0
	s_and_b32 s0, vcc_lo, s0
	s_delay_alu instid0(SALU_CYCLE_1) | instskip(NEXT) | instid1(VALU_DEP_1)
	v_cndmask_b32_e64 v4, 0, 1, s0
	v_add_nc_u32_e32 v1, v1, v4
.LBB18_45:
	s_or_b32 exec_lo, exec_lo, s17
	s_mov_b32 s17, -1
	s_mov_b32 s0, 0
	global_store_b8 v[2:3], v1, off
.LBB18_46:
	s_mov_b32 s18, 0
.LBB18_47:
	s_delay_alu instid0(SALU_CYCLE_1)
	s_and_b32 vcc_lo, exec_lo, s18
	s_cbranch_vccz .LBB18_50
; %bb.48:
	s_cmp_eq_u32 s16, 29
	s_mov_b32 s0, -1
	s_cbranch_scc0 .LBB18_50
; %bb.49:
	s_wait_xcnt 0x0
	v_trunc_f32_e32 v1, v0
	s_mov_b32 s17, -1
	s_mov_b32 s0, 0
	s_mov_b32 s18, 0
	s_delay_alu instid0(VALU_DEP_1) | instskip(NEXT) | instid1(VALU_DEP_1)
	v_mul_f32_e32 v4, 0x2f800000, v1
	v_floor_f32_e32 v4, v4
	s_delay_alu instid0(VALU_DEP_1) | instskip(SKIP_1) | instid1(VALU_DEP_2)
	v_fmamk_f32 v1, v4, 0xcf800000, v1
	v_cvt_u32_f32_e32 v5, v4
	v_cvt_u32_f32_e32 v4, v1
	global_store_b64 v[2:3], v[4:5], off
	s_branch .LBB18_51
.LBB18_50:
	s_mov_b32 s18, 0
.LBB18_51:
	s_delay_alu instid0(SALU_CYCLE_1)
	s_and_b32 vcc_lo, exec_lo, s18
	s_cbranch_vccz .LBB18_67
; %bb.52:
	s_cmp_lt_i32 s16, 27
	s_mov_b32 s17, -1
	s_cbranch_scc1 .LBB18_58
; %bb.53:
	s_wait_xcnt 0x0
	v_cvt_u32_f32_e32 v1, v0
	s_cmp_gt_i32 s16, 27
	s_cbranch_scc0 .LBB18_55
; %bb.54:
	s_mov_b32 s17, 0
	global_store_b32 v[2:3], v1, off
.LBB18_55:
	s_and_not1_b32 vcc_lo, exec_lo, s17
	s_cbranch_vccnz .LBB18_57
; %bb.56:
	global_store_b16 v[2:3], v1, off
.LBB18_57:
	s_mov_b32 s17, 0
.LBB18_58:
	s_delay_alu instid0(SALU_CYCLE_1)
	s_and_not1_b32 vcc_lo, exec_lo, s17
	s_cbranch_vccnz .LBB18_66
; %bb.59:
	s_wait_xcnt 0x0
	v_and_b32_e32 v1, 0x7fffffff, v0
	v_mov_b32_e32 v4, 0x80
	s_mov_b32 s17, exec_lo
	s_delay_alu instid0(VALU_DEP_2)
	v_cmpx_gt_u32_e32 0x43800000, v1
	s_cbranch_execz .LBB18_65
; %bb.60:
	v_cmp_lt_u32_e32 vcc_lo, 0x3bffffff, v1
	s_mov_b32 s18, 0
                                        ; implicit-def: $vgpr1
	s_and_saveexec_b32 s19, vcc_lo
	s_delay_alu instid0(SALU_CYCLE_1)
	s_xor_b32 s19, exec_lo, s19
	s_cbranch_execz .LBB18_295
; %bb.61:
	v_bfe_u32 v1, v0, 20, 1
	s_mov_b32 s18, exec_lo
	s_delay_alu instid0(VALU_DEP_1) | instskip(NEXT) | instid1(VALU_DEP_1)
	v_add3_u32 v1, v0, v1, 0x487ffff
	v_lshrrev_b32_e32 v1, 20, v1
	s_and_not1_saveexec_b32 s19, s19
	s_cbranch_execnz .LBB18_296
.LBB18_62:
	s_or_b32 exec_lo, exec_lo, s19
	v_mov_b32_e32 v4, 0
	s_and_saveexec_b32 s19, s18
.LBB18_63:
	v_lshrrev_b32_e32 v4, 24, v0
	s_delay_alu instid0(VALU_DEP_1)
	v_and_or_b32 v4, 0x80, v4, v1
.LBB18_64:
	s_or_b32 exec_lo, exec_lo, s19
.LBB18_65:
	s_delay_alu instid0(SALU_CYCLE_1)
	s_or_b32 exec_lo, exec_lo, s17
	global_store_b8 v[2:3], v4, off
.LBB18_66:
	s_mov_b32 s17, -1
.LBB18_67:
	s_mov_b32 s18, 0
.LBB18_68:
	s_delay_alu instid0(SALU_CYCLE_1)
	s_and_b32 vcc_lo, exec_lo, s18
	s_cbranch_vccz .LBB18_109
; %bb.69:
	s_cmp_gt_i32 s16, 22
	s_mov_b32 s18, -1
	s_cbranch_scc0 .LBB18_101
; %bb.70:
	s_cmp_lt_i32 s16, 24
	s_mov_b32 s17, -1
	s_cbranch_scc1 .LBB18_90
; %bb.71:
	s_cmp_gt_i32 s16, 24
	s_cbranch_scc0 .LBB18_79
; %bb.72:
	s_wait_xcnt 0x0
	v_and_b32_e32 v1, 0x7fffffff, v0
	v_mov_b32_e32 v4, 0x80
	s_mov_b32 s17, exec_lo
	s_delay_alu instid0(VALU_DEP_2)
	v_cmpx_gt_u32_e32 0x47800000, v1
	s_cbranch_execz .LBB18_78
; %bb.73:
	v_cmp_lt_u32_e32 vcc_lo, 0x37ffffff, v1
	s_mov_b32 s18, 0
                                        ; implicit-def: $vgpr1
	s_and_saveexec_b32 s19, vcc_lo
	s_delay_alu instid0(SALU_CYCLE_1)
	s_xor_b32 s19, exec_lo, s19
	s_cbranch_execz .LBB18_299
; %bb.74:
	v_bfe_u32 v1, v0, 21, 1
	s_mov_b32 s18, exec_lo
	s_delay_alu instid0(VALU_DEP_1) | instskip(NEXT) | instid1(VALU_DEP_1)
	v_add3_u32 v1, v0, v1, 0x88fffff
	v_lshrrev_b32_e32 v1, 21, v1
	s_and_not1_saveexec_b32 s19, s19
	s_cbranch_execnz .LBB18_300
.LBB18_75:
	s_or_b32 exec_lo, exec_lo, s19
	v_mov_b32_e32 v4, 0
	s_and_saveexec_b32 s19, s18
.LBB18_76:
	v_lshrrev_b32_e32 v4, 24, v0
	s_delay_alu instid0(VALU_DEP_1)
	v_and_or_b32 v4, 0x80, v4, v1
.LBB18_77:
	s_or_b32 exec_lo, exec_lo, s19
.LBB18_78:
	s_delay_alu instid0(SALU_CYCLE_1)
	s_or_b32 exec_lo, exec_lo, s17
	s_mov_b32 s17, 0
	global_store_b8 v[2:3], v4, off
.LBB18_79:
	s_and_b32 vcc_lo, exec_lo, s17
	s_cbranch_vccz .LBB18_89
; %bb.80:
	s_wait_xcnt 0x0
	v_and_b32_e32 v4, 0x7fffffff, v0
	s_mov_b32 s17, exec_lo
                                        ; implicit-def: $vgpr1
	s_delay_alu instid0(VALU_DEP_1)
	v_cmpx_gt_u32_e32 0x43f00000, v4
	s_xor_b32 s17, exec_lo, s17
	s_cbranch_execz .LBB18_86
; %bb.81:
	s_mov_b32 s18, exec_lo
                                        ; implicit-def: $vgpr1
	v_cmpx_lt_u32_e32 0x3c7fffff, v4
	s_xor_b32 s18, exec_lo, s18
; %bb.82:
	v_bfe_u32 v1, v0, 20, 1
	s_delay_alu instid0(VALU_DEP_1) | instskip(NEXT) | instid1(VALU_DEP_1)
	v_add3_u32 v1, v0, v1, 0x407ffff
	v_and_b32_e32 v4, 0xff00000, v1
	v_lshrrev_b32_e32 v1, 20, v1
	s_delay_alu instid0(VALU_DEP_2) | instskip(NEXT) | instid1(VALU_DEP_2)
	v_cmp_ne_u32_e32 vcc_lo, 0x7f00000, v4
	v_cndmask_b32_e32 v1, 0x7e, v1, vcc_lo
; %bb.83:
	s_and_not1_saveexec_b32 s18, s18
; %bb.84:
	v_add_f32_e64 v1, 0x46800000, |v0|
; %bb.85:
	s_or_b32 exec_lo, exec_lo, s18
                                        ; implicit-def: $vgpr4
.LBB18_86:
	s_and_not1_saveexec_b32 s17, s17
; %bb.87:
	v_mov_b32_e32 v1, 0x7f
	v_cmp_lt_u32_e32 vcc_lo, 0x7f800000, v4
	s_delay_alu instid0(VALU_DEP_2)
	v_cndmask_b32_e32 v1, 0x7e, v1, vcc_lo
; %bb.88:
	s_or_b32 exec_lo, exec_lo, s17
	v_lshrrev_b32_e32 v4, 24, v0
	s_delay_alu instid0(VALU_DEP_1)
	v_and_or_b32 v1, 0x80, v4, v1
	global_store_b8 v[2:3], v1, off
.LBB18_89:
	s_mov_b32 s17, 0
.LBB18_90:
	s_delay_alu instid0(SALU_CYCLE_1)
	s_and_not1_b32 vcc_lo, exec_lo, s17
	s_cbranch_vccnz .LBB18_100
; %bb.91:
	s_wait_xcnt 0x0
	v_and_b32_e32 v4, 0x7fffffff, v0
	s_mov_b32 s17, exec_lo
                                        ; implicit-def: $vgpr1
	s_delay_alu instid0(VALU_DEP_1)
	v_cmpx_gt_u32_e32 0x47800000, v4
	s_xor_b32 s17, exec_lo, s17
	s_cbranch_execz .LBB18_97
; %bb.92:
	s_mov_b32 s18, exec_lo
                                        ; implicit-def: $vgpr1
	v_cmpx_lt_u32_e32 0x387fffff, v4
	s_xor_b32 s18, exec_lo, s18
; %bb.93:
	v_bfe_u32 v1, v0, 21, 1
	s_delay_alu instid0(VALU_DEP_1) | instskip(NEXT) | instid1(VALU_DEP_1)
	v_add3_u32 v1, v0, v1, 0x80fffff
	v_lshrrev_b32_e32 v1, 21, v1
; %bb.94:
	s_and_not1_saveexec_b32 s18, s18
; %bb.95:
	v_add_f32_e64 v1, 0x43000000, |v0|
; %bb.96:
	s_or_b32 exec_lo, exec_lo, s18
                                        ; implicit-def: $vgpr4
.LBB18_97:
	s_and_not1_saveexec_b32 s17, s17
; %bb.98:
	v_mov_b32_e32 v1, 0x7f
	v_cmp_lt_u32_e32 vcc_lo, 0x7f800000, v4
	s_delay_alu instid0(VALU_DEP_2)
	v_cndmask_b32_e32 v1, 0x7c, v1, vcc_lo
; %bb.99:
	s_or_b32 exec_lo, exec_lo, s17
	v_lshrrev_b32_e32 v4, 24, v0
	s_delay_alu instid0(VALU_DEP_1)
	v_and_or_b32 v1, 0x80, v4, v1
	global_store_b8 v[2:3], v1, off
.LBB18_100:
	s_mov_b32 s18, 0
	s_mov_b32 s17, -1
.LBB18_101:
	s_and_not1_b32 vcc_lo, exec_lo, s18
	s_cbranch_vccnz .LBB18_109
; %bb.102:
	s_cmp_gt_i32 s16, 14
	s_mov_b32 s18, -1
	s_cbranch_scc0 .LBB18_106
; %bb.103:
	s_cmp_eq_u32 s16, 15
	s_mov_b32 s0, -1
	s_cbranch_scc0 .LBB18_105
; %bb.104:
	s_wait_xcnt 0x0
	v_bfe_u32 v1, v0, 16, 1
	v_cmp_o_f32_e32 vcc_lo, v0, v0
	s_mov_b32 s17, -1
	s_mov_b32 s0, 0
	s_delay_alu instid0(VALU_DEP_2) | instskip(NEXT) | instid1(VALU_DEP_1)
	v_add3_u32 v1, v0, v1, 0x7fff
	v_lshrrev_b32_e32 v1, 16, v1
	s_delay_alu instid0(VALU_DEP_1)
	v_cndmask_b32_e32 v1, 0x7fc0, v1, vcc_lo
	global_store_b16 v[2:3], v1, off
.LBB18_105:
	s_mov_b32 s18, 0
.LBB18_106:
	s_delay_alu instid0(SALU_CYCLE_1)
	s_and_b32 vcc_lo, exec_lo, s18
	s_cbranch_vccz .LBB18_109
; %bb.107:
	s_cmp_eq_u32 s16, 11
	s_mov_b32 s0, -1
	s_cbranch_scc0 .LBB18_109
; %bb.108:
	v_cmp_neq_f32_e32 vcc_lo, 0, v0
	s_mov_b32 s0, 0
	s_mov_b32 s17, -1
	s_wait_xcnt 0x0
	v_cndmask_b32_e64 v1, 0, 1, vcc_lo
	global_store_b8 v[2:3], v1, off
.LBB18_109:
	s_branch .LBB18_28
.LBB18_110:
	s_and_b32 s11, 0xffff, s11
	s_mov_b32 s16, -1
	s_cmp_lt_i32 s11, 5
	s_cbranch_scc1 .LBB18_131
; %bb.111:
	s_cmp_lt_i32 s11, 8
	s_cbranch_scc1 .LBB18_121
; %bb.112:
	;; [unrolled: 3-line block ×3, first 2 shown]
	s_cmp_gt_i32 s11, 9
	s_cbranch_scc0 .LBB18_115
; %bb.114:
	s_wait_xcnt 0x0
	v_cvt_f64_f32_e32 v[4:5], v0
	v_mov_b32_e32 v6, 0
	s_mov_b32 s16, 0
	s_delay_alu instid0(VALU_DEP_1)
	v_mov_b32_e32 v7, v6
	global_store_b128 v[2:3], v[4:7], off
.LBB18_115:
	s_and_not1_b32 vcc_lo, exec_lo, s16
	s_cbranch_vccnz .LBB18_117
; %bb.116:
	s_wait_xcnt 0x0
	v_mov_b32_e32 v1, 0
	global_store_b64 v[2:3], v[0:1], off
.LBB18_117:
	s_mov_b32 s16, 0
.LBB18_118:
	s_delay_alu instid0(SALU_CYCLE_1)
	s_and_not1_b32 vcc_lo, exec_lo, s16
	s_cbranch_vccnz .LBB18_120
; %bb.119:
	s_wait_xcnt 0x0
	v_cvt_f16_f32_e32 v1, v0
	s_delay_alu instid0(VALU_DEP_1)
	v_and_b32_e32 v1, 0xffff, v1
	global_store_b32 v[2:3], v1, off
.LBB18_120:
	s_mov_b32 s16, 0
.LBB18_121:
	s_delay_alu instid0(SALU_CYCLE_1)
	s_and_not1_b32 vcc_lo, exec_lo, s16
	s_cbranch_vccnz .LBB18_130
; %bb.122:
	s_cmp_lt_i32 s11, 6
	s_mov_b32 s16, -1
	s_cbranch_scc1 .LBB18_128
; %bb.123:
	s_cmp_gt_i32 s11, 6
	s_cbranch_scc0 .LBB18_125
; %bb.124:
	s_wait_xcnt 0x0
	v_cvt_f64_f32_e32 v[4:5], v0
	s_mov_b32 s16, 0
	global_store_b64 v[2:3], v[4:5], off
.LBB18_125:
	s_and_not1_b32 vcc_lo, exec_lo, s16
	s_cbranch_vccnz .LBB18_127
; %bb.126:
	global_store_b32 v[2:3], v0, off
.LBB18_127:
	s_mov_b32 s16, 0
.LBB18_128:
	s_delay_alu instid0(SALU_CYCLE_1)
	s_and_not1_b32 vcc_lo, exec_lo, s16
	s_cbranch_vccnz .LBB18_130
; %bb.129:
	s_wait_xcnt 0x0
	v_cvt_f16_f32_e32 v1, v0
	global_store_b16 v[2:3], v1, off
.LBB18_130:
	s_mov_b32 s16, 0
.LBB18_131:
	s_delay_alu instid0(SALU_CYCLE_1)
	s_and_not1_b32 vcc_lo, exec_lo, s16
	s_cbranch_vccnz .LBB18_147
; %bb.132:
	s_cmp_lt_i32 s11, 2
	s_mov_b32 s16, -1
	s_cbranch_scc1 .LBB18_142
; %bb.133:
	s_cmp_lt_i32 s11, 3
	s_cbranch_scc1 .LBB18_139
; %bb.134:
	s_cmp_gt_i32 s11, 3
	s_cbranch_scc0 .LBB18_136
; %bb.135:
	s_wait_xcnt 0x0
	v_trunc_f32_e32 v1, v0
	s_mov_b32 s16, 0
	s_delay_alu instid0(VALU_DEP_1) | instskip(NEXT) | instid1(VALU_DEP_1)
	v_mul_f32_e64 v4, 0x2f800000, |v1|
	v_floor_f32_e32 v5, v4
	v_ashrrev_i32_e32 v4, 31, v1
	s_delay_alu instid0(VALU_DEP_2) | instskip(SKIP_1) | instid1(VALU_DEP_3)
	v_fma_f32 v6, 0xcf800000, v5, |v1|
	v_cvt_u32_f32_e32 v1, v5
	v_mov_b32_e32 v5, v4
	s_delay_alu instid0(VALU_DEP_3) | instskip(NEXT) | instid1(VALU_DEP_3)
	v_cvt_u32_f32_e32 v6, v6
	v_xor_b32_e32 v7, v1, v4
	s_delay_alu instid0(VALU_DEP_2) | instskip(NEXT) | instid1(VALU_DEP_1)
	v_xor_b32_e32 v6, v6, v4
	v_sub_nc_u64_e32 v[4:5], v[6:7], v[4:5]
	global_store_b64 v[2:3], v[4:5], off
.LBB18_136:
	s_and_not1_b32 vcc_lo, exec_lo, s16
	s_cbranch_vccnz .LBB18_138
; %bb.137:
	s_wait_xcnt 0x0
	v_cvt_i32_f32_e32 v1, v0
	global_store_b32 v[2:3], v1, off
.LBB18_138:
	s_mov_b32 s16, 0
.LBB18_139:
	s_delay_alu instid0(SALU_CYCLE_1)
	s_and_not1_b32 vcc_lo, exec_lo, s16
	s_cbranch_vccnz .LBB18_141
; %bb.140:
	s_wait_xcnt 0x0
	v_cvt_i32_f32_e32 v1, v0
	global_store_b16 v[2:3], v1, off
.LBB18_141:
	s_mov_b32 s16, 0
.LBB18_142:
	s_delay_alu instid0(SALU_CYCLE_1)
	s_and_not1_b32 vcc_lo, exec_lo, s16
	s_cbranch_vccnz .LBB18_147
; %bb.143:
	s_cmp_gt_i32 s11, 0
	s_mov_b32 s11, -1
	s_cbranch_scc0 .LBB18_145
; %bb.144:
	s_wait_xcnt 0x0
	v_cvt_i32_f32_e32 v1, v0
	s_mov_b32 s11, 0
	global_store_b8 v[2:3], v1, off
.LBB18_145:
	s_and_not1_b32 vcc_lo, exec_lo, s11
	s_cbranch_vccnz .LBB18_147
; %bb.146:
	s_wait_xcnt 0x0
	v_trunc_f32_e32 v0, v0
	s_delay_alu instid0(VALU_DEP_1) | instskip(NEXT) | instid1(VALU_DEP_1)
	v_mul_f32_e64 v1, 0x2f800000, |v0|
	v_floor_f32_e32 v1, v1
	s_delay_alu instid0(VALU_DEP_1) | instskip(SKIP_1) | instid1(VALU_DEP_2)
	v_fma_f32 v1, 0xcf800000, v1, |v0|
	v_ashrrev_i32_e32 v0, 31, v0
	v_cvt_u32_f32_e32 v1, v1
	s_delay_alu instid0(VALU_DEP_1) | instskip(NEXT) | instid1(VALU_DEP_1)
	v_xor_b32_e32 v1, v1, v0
	v_sub_nc_u32_e32 v0, v1, v0
	global_store_b8 v[2:3], v0, off
.LBB18_147:
.LBB18_148:
	v_add_nc_u32_e32 v10, 0x80, v10
	s_mov_b32 s16, -1
	s_branch .LBB18_259
.LBB18_149:
	s_mov_b32 s13, -1
                                        ; implicit-def: $vgpr2
.LBB18_150:
	s_mov_b32 s16, 0
.LBB18_151:
	s_delay_alu instid0(SALU_CYCLE_1)
	s_and_b32 vcc_lo, exec_lo, s16
	s_cbranch_vccz .LBB18_155
; %bb.152:
	s_cmp_eq_u32 s0, 29
	s_cbranch_scc0 .LBB18_154
; %bb.153:
	global_load_b64 v[2:3], v[0:1], off
	s_mov_b32 s11, -1
	s_mov_b32 s13, 0
	s_mov_b32 s16, 0
	s_wait_loadcnt 0x0
	v_clz_i32_u32_e32 v4, v3
	s_delay_alu instid0(VALU_DEP_1) | instskip(NEXT) | instid1(VALU_DEP_1)
	v_min_u32_e32 v4, 32, v4
	v_lshlrev_b64_e32 v[2:3], v4, v[2:3]
	s_delay_alu instid0(VALU_DEP_1) | instskip(NEXT) | instid1(VALU_DEP_1)
	v_min_u32_e32 v2, 1, v2
	v_dual_sub_nc_u32 v3, 32, v4 :: v_dual_bitop2_b32 v2, v3, v2 bitop3:0x54
	s_delay_alu instid0(VALU_DEP_1) | instskip(NEXT) | instid1(VALU_DEP_1)
	v_cvt_f32_u32_e32 v2, v2
	v_ldexp_f32 v2, v2, v3
	s_branch .LBB18_156
.LBB18_154:
	s_mov_b32 s13, -1
                                        ; implicit-def: $vgpr2
.LBB18_155:
	s_mov_b32 s16, 0
.LBB18_156:
	s_delay_alu instid0(SALU_CYCLE_1)
	s_and_b32 vcc_lo, exec_lo, s16
	s_cbranch_vccz .LBB18_174
; %bb.157:
	s_cmp_lt_i32 s0, 27
	s_cbranch_scc1 .LBB18_160
; %bb.158:
	s_cmp_gt_i32 s0, 27
	s_cbranch_scc0 .LBB18_161
; %bb.159:
	global_load_b32 v2, v[0:1], off
	s_mov_b32 s11, 0
	s_wait_loadcnt 0x0
	v_cvt_f32_u32_e32 v2, v2
	s_branch .LBB18_162
.LBB18_160:
	s_mov_b32 s11, -1
                                        ; implicit-def: $vgpr2
	s_branch .LBB18_165
.LBB18_161:
	s_mov_b32 s11, -1
                                        ; implicit-def: $vgpr2
.LBB18_162:
	s_delay_alu instid0(SALU_CYCLE_1)
	s_and_not1_b32 vcc_lo, exec_lo, s11
	s_cbranch_vccnz .LBB18_164
; %bb.163:
	global_load_u16 v2, v[0:1], off
	s_wait_loadcnt 0x0
	v_cvt_f32_u32_e32 v2, v2
.LBB18_164:
	s_mov_b32 s11, 0
.LBB18_165:
	s_delay_alu instid0(SALU_CYCLE_1)
	s_and_not1_b32 vcc_lo, exec_lo, s11
	s_cbranch_vccnz .LBB18_173
; %bb.166:
	global_load_u8 v3, v[0:1], off
	s_mov_b32 s11, 0
	s_mov_b32 s16, exec_lo
	s_wait_loadcnt 0x0
	v_cmpx_lt_i16_e32 0x7f, v3
	s_xor_b32 s16, exec_lo, s16
	s_cbranch_execz .LBB18_186
; %bb.167:
	s_mov_b32 s11, -1
	s_mov_b32 s17, exec_lo
	v_cmpx_eq_u16_e32 0x80, v3
; %bb.168:
	s_xor_b32 s11, exec_lo, -1
; %bb.169:
	s_or_b32 exec_lo, exec_lo, s17
	s_delay_alu instid0(SALU_CYCLE_1)
	s_and_b32 s11, s11, exec_lo
	s_or_saveexec_b32 s16, s16
	v_mov_b32_e32 v2, 0x7f800001
	s_xor_b32 exec_lo, exec_lo, s16
	s_cbranch_execnz .LBB18_187
.LBB18_170:
	s_or_b32 exec_lo, exec_lo, s16
	s_and_saveexec_b32 s16, s11
	s_cbranch_execz .LBB18_172
.LBB18_171:
	v_and_b32_e32 v2, 0xffff, v3
	s_delay_alu instid0(VALU_DEP_1) | instskip(SKIP_1) | instid1(VALU_DEP_2)
	v_and_b32_e32 v4, 7, v2
	v_bfe_u32 v7, v2, 3, 4
	v_clz_i32_u32_e32 v5, v4
	s_delay_alu instid0(VALU_DEP_2) | instskip(NEXT) | instid1(VALU_DEP_2)
	v_cmp_eq_u32_e32 vcc_lo, 0, v7
	v_min_u32_e32 v5, 32, v5
	s_delay_alu instid0(VALU_DEP_1) | instskip(NEXT) | instid1(VALU_DEP_1)
	v_subrev_nc_u32_e32 v6, 28, v5
	v_dual_lshlrev_b32 v2, v6, v2 :: v_dual_sub_nc_u32 v5, 29, v5
	s_delay_alu instid0(VALU_DEP_1) | instskip(NEXT) | instid1(VALU_DEP_1)
	v_dual_lshlrev_b32 v3, 24, v3 :: v_dual_bitop2_b32 v2, 7, v2 bitop3:0x40
	v_dual_cndmask_b32 v5, v7, v5 :: v_dual_cndmask_b32 v2, v4, v2
	s_delay_alu instid0(VALU_DEP_2) | instskip(NEXT) | instid1(VALU_DEP_2)
	v_and_b32_e32 v3, 0x80000000, v3
	v_lshl_add_u32 v4, v5, 23, 0x3b800000
	s_delay_alu instid0(VALU_DEP_3) | instskip(NEXT) | instid1(VALU_DEP_1)
	v_lshlrev_b32_e32 v2, 20, v2
	v_or3_b32 v2, v3, v4, v2
.LBB18_172:
	s_or_b32 exec_lo, exec_lo, s16
.LBB18_173:
	s_mov_b32 s11, -1
.LBB18_174:
	s_branch .LBB18_209
.LBB18_175:
	s_cmp_gt_i32 s0, 22
	s_cbranch_scc0 .LBB18_185
; %bb.176:
	s_cmp_lt_i32 s0, 24
	s_cbranch_scc1 .LBB18_188
; %bb.177:
	s_cmp_gt_i32 s0, 24
	s_cbranch_scc0 .LBB18_189
; %bb.178:
	global_load_u8 v3, v[0:1], off
	s_mov_b32 s11, 0
	s_mov_b32 s16, exec_lo
	s_wait_loadcnt 0x0
	v_cmpx_lt_i16_e32 0x7f, v3
	s_xor_b32 s16, exec_lo, s16
	s_cbranch_execz .LBB18_201
; %bb.179:
	s_mov_b32 s11, -1
	s_mov_b32 s17, exec_lo
	v_cmpx_eq_u16_e32 0x80, v3
; %bb.180:
	s_xor_b32 s11, exec_lo, -1
; %bb.181:
	s_or_b32 exec_lo, exec_lo, s17
	s_delay_alu instid0(SALU_CYCLE_1)
	s_and_b32 s11, s11, exec_lo
	s_or_saveexec_b32 s16, s16
	v_mov_b32_e32 v2, 0x7f800001
	s_xor_b32 exec_lo, exec_lo, s16
	s_cbranch_execnz .LBB18_202
.LBB18_182:
	s_or_b32 exec_lo, exec_lo, s16
	s_and_saveexec_b32 s16, s11
	s_cbranch_execz .LBB18_184
.LBB18_183:
	v_and_b32_e32 v2, 0xffff, v3
	s_delay_alu instid0(VALU_DEP_1) | instskip(SKIP_1) | instid1(VALU_DEP_2)
	v_and_b32_e32 v4, 3, v2
	v_bfe_u32 v7, v2, 2, 5
	v_clz_i32_u32_e32 v5, v4
	s_delay_alu instid0(VALU_DEP_2) | instskip(NEXT) | instid1(VALU_DEP_2)
	v_cmp_eq_u32_e32 vcc_lo, 0, v7
	v_min_u32_e32 v5, 32, v5
	s_delay_alu instid0(VALU_DEP_1) | instskip(NEXT) | instid1(VALU_DEP_1)
	v_subrev_nc_u32_e32 v6, 29, v5
	v_dual_lshlrev_b32 v2, v6, v2 :: v_dual_sub_nc_u32 v5, 30, v5
	s_delay_alu instid0(VALU_DEP_1) | instskip(NEXT) | instid1(VALU_DEP_1)
	v_dual_lshlrev_b32 v3, 24, v3 :: v_dual_bitop2_b32 v2, 3, v2 bitop3:0x40
	v_dual_cndmask_b32 v5, v7, v5 :: v_dual_cndmask_b32 v2, v4, v2
	s_delay_alu instid0(VALU_DEP_2) | instskip(NEXT) | instid1(VALU_DEP_2)
	v_and_b32_e32 v3, 0x80000000, v3
	v_lshl_add_u32 v4, v5, 23, 0x37800000
	s_delay_alu instid0(VALU_DEP_3) | instskip(NEXT) | instid1(VALU_DEP_1)
	v_lshlrev_b32_e32 v2, 21, v2
	v_or3_b32 v2, v3, v4, v2
.LBB18_184:
	s_or_b32 exec_lo, exec_lo, s16
	s_mov_b32 s11, 0
	s_branch .LBB18_190
.LBB18_185:
	s_mov_b32 s16, -1
                                        ; implicit-def: $vgpr2
	s_branch .LBB18_196
.LBB18_186:
	s_or_saveexec_b32 s16, s16
	v_mov_b32_e32 v2, 0x7f800001
	s_xor_b32 exec_lo, exec_lo, s16
	s_cbranch_execz .LBB18_170
.LBB18_187:
	v_cmp_ne_u16_e32 vcc_lo, 0, v3
	v_mov_b32_e32 v2, 0
	s_and_not1_b32 s11, s11, exec_lo
	s_and_b32 s17, vcc_lo, exec_lo
	s_delay_alu instid0(SALU_CYCLE_1)
	s_or_b32 s11, s11, s17
	s_or_b32 exec_lo, exec_lo, s16
	s_and_saveexec_b32 s16, s11
	s_cbranch_execnz .LBB18_171
	s_branch .LBB18_172
.LBB18_188:
	s_mov_b32 s11, -1
                                        ; implicit-def: $vgpr2
	s_branch .LBB18_193
.LBB18_189:
	s_mov_b32 s11, -1
                                        ; implicit-def: $vgpr2
.LBB18_190:
	s_delay_alu instid0(SALU_CYCLE_1)
	s_and_b32 vcc_lo, exec_lo, s11
	s_cbranch_vccz .LBB18_192
; %bb.191:
	global_load_u8 v2, v[0:1], off
	s_wait_loadcnt 0x0
	v_lshlrev_b32_e32 v2, 24, v2
	s_delay_alu instid0(VALU_DEP_1) | instskip(NEXT) | instid1(VALU_DEP_1)
	v_and_b32_e32 v3, 0x7f000000, v2
	v_clz_i32_u32_e32 v4, v3
	v_cmp_ne_u32_e32 vcc_lo, 0, v3
	v_add_nc_u32_e32 v6, 0x1000000, v3
	s_delay_alu instid0(VALU_DEP_3) | instskip(NEXT) | instid1(VALU_DEP_1)
	v_min_u32_e32 v4, 32, v4
	v_sub_nc_u32_e64 v4, v4, 4 clamp
	s_delay_alu instid0(VALU_DEP_1) | instskip(NEXT) | instid1(VALU_DEP_1)
	v_dual_lshlrev_b32 v5, v4, v3 :: v_dual_lshlrev_b32 v4, 23, v4
	v_lshrrev_b32_e32 v5, 4, v5
	s_delay_alu instid0(VALU_DEP_1) | instskip(NEXT) | instid1(VALU_DEP_1)
	v_dual_sub_nc_u32 v4, v5, v4 :: v_dual_ashrrev_i32 v5, 8, v6
	v_add_nc_u32_e32 v4, 0x3c000000, v4
	s_delay_alu instid0(VALU_DEP_1) | instskip(NEXT) | instid1(VALU_DEP_1)
	v_and_or_b32 v4, 0x7f800000, v5, v4
	v_cndmask_b32_e32 v3, 0, v4, vcc_lo
	s_delay_alu instid0(VALU_DEP_1)
	v_and_or_b32 v2, 0x80000000, v2, v3
.LBB18_192:
	s_mov_b32 s11, 0
.LBB18_193:
	s_delay_alu instid0(SALU_CYCLE_1)
	s_and_not1_b32 vcc_lo, exec_lo, s11
	s_cbranch_vccnz .LBB18_195
; %bb.194:
	global_load_u8 v2, v[0:1], off
	s_wait_loadcnt 0x0
	v_lshlrev_b32_e32 v3, 25, v2
	v_lshlrev_b16 v2, 8, v2
	s_delay_alu instid0(VALU_DEP_1) | instskip(SKIP_1) | instid1(VALU_DEP_2)
	v_and_or_b32 v5, 0x7f00, v2, 0.5
	v_bfe_i32 v2, v2, 0, 16
	v_dual_add_f32 v5, -0.5, v5 :: v_dual_lshrrev_b32 v4, 4, v3
	v_cmp_gt_u32_e32 vcc_lo, 0x8000000, v3
	s_delay_alu instid0(VALU_DEP_2) | instskip(NEXT) | instid1(VALU_DEP_1)
	v_or_b32_e32 v4, 0x70000000, v4
	v_mul_f32_e32 v4, 0x7800000, v4
	s_delay_alu instid0(VALU_DEP_1) | instskip(NEXT) | instid1(VALU_DEP_1)
	v_cndmask_b32_e32 v3, v4, v5, vcc_lo
	v_and_or_b32 v2, 0x80000000, v2, v3
.LBB18_195:
	s_mov_b32 s16, 0
	s_mov_b32 s11, -1
.LBB18_196:
	s_and_not1_b32 vcc_lo, exec_lo, s16
	s_cbranch_vccnz .LBB18_209
; %bb.197:
	s_cmp_gt_i32 s0, 14
	s_cbranch_scc0 .LBB18_200
; %bb.198:
	s_cmp_eq_u32 s0, 15
	s_cbranch_scc0 .LBB18_203
; %bb.199:
	global_load_u16 v2, v[0:1], off
	s_mov_b32 s11, -1
	s_mov_b32 s13, 0
	s_wait_loadcnt 0x0
	v_lshlrev_b32_e32 v2, 16, v2
	s_branch .LBB18_204
.LBB18_200:
	s_mov_b32 s16, -1
                                        ; implicit-def: $vgpr2
	s_branch .LBB18_205
.LBB18_201:
	s_or_saveexec_b32 s16, s16
	v_mov_b32_e32 v2, 0x7f800001
	s_xor_b32 exec_lo, exec_lo, s16
	s_cbranch_execz .LBB18_182
.LBB18_202:
	v_cmp_ne_u16_e32 vcc_lo, 0, v3
	v_mov_b32_e32 v2, 0
	s_and_not1_b32 s11, s11, exec_lo
	s_and_b32 s17, vcc_lo, exec_lo
	s_delay_alu instid0(SALU_CYCLE_1)
	s_or_b32 s11, s11, s17
	s_or_b32 exec_lo, exec_lo, s16
	s_and_saveexec_b32 s16, s11
	s_cbranch_execnz .LBB18_183
	s_branch .LBB18_184
.LBB18_203:
	s_mov_b32 s13, -1
                                        ; implicit-def: $vgpr2
.LBB18_204:
	s_mov_b32 s16, 0
.LBB18_205:
	s_delay_alu instid0(SALU_CYCLE_1)
	s_and_b32 vcc_lo, exec_lo, s16
	s_cbranch_vccz .LBB18_209
; %bb.206:
	s_cmp_eq_u32 s0, 11
	s_cbranch_scc0 .LBB18_208
; %bb.207:
	global_load_u8 v2, v[0:1], off
	s_mov_b32 s13, 0
	s_mov_b32 s11, -1
	s_wait_loadcnt 0x0
	v_cmp_ne_u16_e32 vcc_lo, 0, v2
	v_cndmask_b32_e64 v2, 0, 1.0, vcc_lo
	s_branch .LBB18_209
.LBB18_208:
	s_mov_b32 s13, -1
                                        ; implicit-def: $vgpr2
.LBB18_209:
	s_branch .LBB18_10
.LBB18_210:
	s_cmp_lt_i32 s0, 5
	s_cbranch_scc1 .LBB18_215
; %bb.211:
	s_cmp_lt_i32 s0, 8
	s_cbranch_scc1 .LBB18_216
; %bb.212:
	;; [unrolled: 3-line block ×3, first 2 shown]
	s_cmp_gt_i32 s0, 9
	s_cbranch_scc0 .LBB18_218
; %bb.214:
	global_load_b64 v[2:3], v[0:1], off
	s_mov_b32 s11, 0
	s_wait_loadcnt 0x0
	v_cvt_f32_f64_e32 v2, v[2:3]
	s_branch .LBB18_219
.LBB18_215:
                                        ; implicit-def: $vgpr2
	s_branch .LBB18_237
.LBB18_216:
	s_mov_b32 s11, -1
                                        ; implicit-def: $vgpr2
	s_branch .LBB18_225
.LBB18_217:
	s_mov_b32 s11, -1
                                        ; implicit-def: $vgpr2
	s_branch .LBB18_222
.LBB18_218:
	s_mov_b32 s11, -1
                                        ; implicit-def: $vgpr2
.LBB18_219:
	s_delay_alu instid0(SALU_CYCLE_1)
	s_and_not1_b32 vcc_lo, exec_lo, s11
	s_cbranch_vccnz .LBB18_221
; %bb.220:
	global_load_b32 v2, v[0:1], off
.LBB18_221:
	s_mov_b32 s11, 0
.LBB18_222:
	s_delay_alu instid0(SALU_CYCLE_1)
	s_and_not1_b32 vcc_lo, exec_lo, s11
	s_cbranch_vccnz .LBB18_224
; %bb.223:
	s_wait_loadcnt 0x0
	global_load_b32 v2, v[0:1], off
	s_wait_loadcnt 0x0
	v_cvt_f32_f16_e32 v2, v2
.LBB18_224:
	s_mov_b32 s11, 0
.LBB18_225:
	s_delay_alu instid0(SALU_CYCLE_1)
	s_and_not1_b32 vcc_lo, exec_lo, s11
	s_cbranch_vccnz .LBB18_236
; %bb.226:
	s_cmp_lt_i32 s0, 6
	s_cbranch_scc1 .LBB18_229
; %bb.227:
	s_cmp_gt_i32 s0, 6
	s_cbranch_scc0 .LBB18_230
; %bb.228:
	s_wait_loadcnt 0x0
	global_load_b64 v[2:3], v[0:1], off
	s_mov_b32 s11, 0
	s_wait_loadcnt 0x0
	v_cvt_f32_f64_e32 v2, v[2:3]
	s_branch .LBB18_231
.LBB18_229:
	s_mov_b32 s11, -1
                                        ; implicit-def: $vgpr2
	s_branch .LBB18_234
.LBB18_230:
	s_mov_b32 s11, -1
                                        ; implicit-def: $vgpr2
.LBB18_231:
	s_delay_alu instid0(SALU_CYCLE_1)
	s_and_not1_b32 vcc_lo, exec_lo, s11
	s_cbranch_vccnz .LBB18_233
; %bb.232:
	s_wait_loadcnt 0x0
	global_load_b32 v2, v[0:1], off
.LBB18_233:
	s_mov_b32 s11, 0
.LBB18_234:
	s_delay_alu instid0(SALU_CYCLE_1)
	s_and_not1_b32 vcc_lo, exec_lo, s11
	s_cbranch_vccnz .LBB18_236
; %bb.235:
	s_wait_loadcnt 0x0
	global_load_u16 v2, v[0:1], off
	s_wait_loadcnt 0x0
	v_cvt_f32_f16_e32 v2, v2
.LBB18_236:
	s_cbranch_execnz .LBB18_256
.LBB18_237:
	s_cmp_lt_i32 s0, 2
	s_cbranch_scc1 .LBB18_241
; %bb.238:
	s_cmp_lt_i32 s0, 3
	s_cbranch_scc1 .LBB18_242
; %bb.239:
	s_cmp_gt_i32 s0, 3
	s_cbranch_scc0 .LBB18_243
; %bb.240:
	s_wait_loadcnt 0x0
	global_load_b64 v[2:3], v[0:1], off
	s_mov_b32 s11, 0
	s_wait_loadcnt 0x0
	v_xor_b32_e32 v4, v2, v3
	v_cls_i32_e32 v5, v3
	s_delay_alu instid0(VALU_DEP_2) | instskip(NEXT) | instid1(VALU_DEP_1)
	v_ashrrev_i32_e32 v4, 31, v4
	v_add_nc_u32_e32 v4, 32, v4
	s_delay_alu instid0(VALU_DEP_1) | instskip(NEXT) | instid1(VALU_DEP_1)
	v_add_min_u32_e64 v4, v5, -1, v4
	v_lshlrev_b64_e32 v[2:3], v4, v[2:3]
	s_delay_alu instid0(VALU_DEP_1) | instskip(NEXT) | instid1(VALU_DEP_1)
	v_min_u32_e32 v2, 1, v2
	v_dual_sub_nc_u32 v3, 32, v4 :: v_dual_bitop2_b32 v2, v3, v2 bitop3:0x54
	s_delay_alu instid0(VALU_DEP_1) | instskip(NEXT) | instid1(VALU_DEP_1)
	v_cvt_f32_i32_e32 v2, v2
	v_ldexp_f32 v2, v2, v3
	s_branch .LBB18_244
.LBB18_241:
	s_mov_b32 s11, -1
                                        ; implicit-def: $vgpr2
	s_branch .LBB18_250
.LBB18_242:
	s_mov_b32 s11, -1
                                        ; implicit-def: $vgpr2
	s_branch .LBB18_247
.LBB18_243:
	s_mov_b32 s11, -1
                                        ; implicit-def: $vgpr2
.LBB18_244:
	s_delay_alu instid0(SALU_CYCLE_1)
	s_and_not1_b32 vcc_lo, exec_lo, s11
	s_cbranch_vccnz .LBB18_246
; %bb.245:
	s_wait_loadcnt 0x0
	global_load_b32 v2, v[0:1], off
	s_wait_loadcnt 0x0
	v_cvt_f32_i32_e32 v2, v2
.LBB18_246:
	s_mov_b32 s11, 0
.LBB18_247:
	s_delay_alu instid0(SALU_CYCLE_1)
	s_and_not1_b32 vcc_lo, exec_lo, s11
	s_cbranch_vccnz .LBB18_249
; %bb.248:
	s_wait_loadcnt 0x0
	global_load_i16 v2, v[0:1], off
	s_wait_loadcnt 0x0
	v_cvt_f32_i32_e32 v2, v2
.LBB18_249:
	s_mov_b32 s11, 0
.LBB18_250:
	s_delay_alu instid0(SALU_CYCLE_1)
	s_and_not1_b32 vcc_lo, exec_lo, s11
	s_cbranch_vccnz .LBB18_256
; %bb.251:
	s_cmp_gt_i32 s0, 0
	s_mov_b32 s0, 0
	s_cbranch_scc0 .LBB18_253
; %bb.252:
	s_wait_loadcnt 0x0
	global_load_i8 v2, v[0:1], off
	s_wait_loadcnt 0x0
	v_cvt_f32_i32_e32 v2, v2
	s_branch .LBB18_254
.LBB18_253:
	s_mov_b32 s0, -1
                                        ; implicit-def: $vgpr2
.LBB18_254:
	s_delay_alu instid0(SALU_CYCLE_1)
	s_and_not1_b32 vcc_lo, exec_lo, s0
	s_cbranch_vccnz .LBB18_256
; %bb.255:
	global_load_u8 v0, v[0:1], off
	s_wait_loadcnt 0x0
	v_cvt_f32_ubyte0_e32 v2, v0
.LBB18_256:
	s_branch .LBB18_11
.LBB18_257:
	s_mov_b32 s0, 0
.LBB18_258:
	s_mov_b32 s16, 0
                                        ; implicit-def: $vgpr10
.LBB18_259:
	s_and_b32 s11, s0, exec_lo
	s_and_b32 s13, s13, exec_lo
	s_or_not1_b32 s17, s16, exec_lo
.LBB18_260:
	s_wait_xcnt 0x0
	s_or_b32 exec_lo, exec_lo, s14
	s_mov_b32 s16, 0
	s_mov_b32 s0, 0
                                        ; implicit-def: $vgpr0_vgpr1
                                        ; implicit-def: $vgpr2
	s_and_saveexec_b32 s14, s17
	s_cbranch_execz .LBB18_269
; %bb.261:
	s_mov_b32 s0, -1
	s_mov_b32 s15, s13
	s_mov_b32 s16, s11
	s_mov_b32 s17, exec_lo
	v_cmpx_gt_i32_e64 s12, v10
	s_cbranch_execz .LBB18_531
; %bb.262:
	v_mul_lo_u32 v0, v10, s3
	s_and_b32 s0, 0xffff, s9
	s_delay_alu instid0(SALU_CYCLE_1) | instskip(NEXT) | instid1(VALU_DEP_1)
	s_cmp_lt_i32 s0, 11
	v_ashrrev_i32_e32 v1, 31, v0
	s_delay_alu instid0(VALU_DEP_1)
	v_add_nc_u64_e32 v[0:1], s[6:7], v[0:1]
	s_cbranch_scc1 .LBB18_272
; %bb.263:
	s_cmp_gt_i32 s0, 25
	s_cbranch_scc0 .LBB18_289
; %bb.264:
	s_cmp_gt_i32 s0, 28
	s_cbranch_scc0 .LBB18_291
; %bb.265:
	s_cmp_gt_i32 s0, 43
	s_cbranch_scc0 .LBB18_293
; %bb.266:
	s_cmp_gt_i32 s0, 45
	s_cbranch_scc0 .LBB18_297
; %bb.267:
	s_cmp_eq_u32 s0, 46
	s_mov_b32 s18, 0
	s_cbranch_scc0 .LBB18_301
; %bb.268:
	s_wait_loadcnt 0x0
	global_load_b32 v2, v[0:1], off
	s_mov_b32 s16, -1
	s_mov_b32 s15, 0
	s_wait_loadcnt 0x0
	v_lshlrev_b32_e32 v2, 16, v2
	s_branch .LBB18_303
.LBB18_269:
	s_or_b32 exec_lo, exec_lo, s14
	s_mov_b32 s12, 0
	s_and_saveexec_b32 s14, s13
	s_cbranch_execnz .LBB18_887
.LBB18_270:
	s_or_b32 exec_lo, exec_lo, s14
	s_and_saveexec_b32 s13, s15
	s_delay_alu instid0(SALU_CYCLE_1)
	s_xor_b32 s13, exec_lo, s13
	s_cbranch_execz .LBB18_888
.LBB18_271:
	s_wait_loadcnt 0x0
	global_load_u8 v2, v[0:1], off
	s_or_b32 s0, s0, exec_lo
	s_wait_loadcnt 0x0
	v_cmp_ne_u16_e32 vcc_lo, 0, v2
	v_cndmask_b32_e64 v2, 0, 1.0, vcc_lo
	s_wait_xcnt 0x0
	s_or_b32 exec_lo, exec_lo, s13
	s_and_saveexec_b32 s13, s16
	s_cbranch_execz .LBB18_934
	s_branch .LBB18_889
.LBB18_272:
	s_mov_b32 s16, 0
	s_mov_b32 s15, s13
                                        ; implicit-def: $vgpr2
	s_cbranch_execnz .LBB18_480
.LBB18_273:
	s_and_not1_b32 vcc_lo, exec_lo, s16
	s_cbranch_vccnz .LBB18_528
.LBB18_274:
	s_wait_xcnt 0x0
	v_mov_b32_e32 v0, 0x7f800000
	s_mov_b32 s16, exec_lo
	s_wait_loadcnt 0x0
	s_delay_alu instid0(VALU_DEP_2)
	v_cmpx_neq_f32_e32 0, v2
	s_cbranch_execz .LBB18_282
; %bb.275:
	v_mov_b32_e32 v0, 0x7fc00000
	s_mov_b32 s18, exec_lo
	v_cmpx_ngt_f32_e32 0, v2
	s_cbranch_execz .LBB18_281
; %bb.276:
                                        ; implicit-def: $vgpr0
	s_mov_b32 s0, exec_lo
	v_cmpx_ge_f32_e32 2.0, v2
	s_xor_b32 s19, exec_lo, s0
	s_cbranch_execz .LBB18_278
; %bb.277:
	s_mov_b32 s0, 0xa2a2e5b9
	v_mov_b32_e32 v3, 0.5
	v_mul_f32_e32 v11, 0x3fb8aa3b, v2
	v_mov_b64_e32 v[6:7], 0x3ad6e3ac293fd856
	v_mov_b64_e32 v[12:13], 0xbb8db2f12d3612e2
	;; [unrolled: 1-line block ×3, first 2 shown]
	v_pk_fma_f32 v[0:1], v[2:3], v[2:3], -2.0 op_sel_hi:[0,1,0]
	s_delay_alu instid0(VALU_DEP_1) | instskip(NEXT) | instid1(VALU_DEP_2)
	v_fmaak_f32 v4, s0, v1, 0x24199b15
	v_mul_f32_e32 v8, 0x251e770f, v0
	s_mov_b32 s0, 0xa51e770f
	v_pk_mul_f32 v[14:15], v[2:3], v[2:3] op_sel_hi:[0,1]
	s_delay_alu instid0(VALU_DEP_3) | instskip(NEXT) | instid1(VALU_DEP_2)
	v_fmaak_f32 v5, v1, v4, 0x22a2e5b9
	v_cmp_gt_f32_e32 vcc_lo, 0x800000, v15
	s_delay_alu instid0(VALU_DEP_2) | instskip(NEXT) | instid1(VALU_DEP_1)
	v_add_f32_e32 v5, 0xa58c275c, v5
	v_fma_f32 v4, v1, v5, -v4
	s_delay_alu instid0(VALU_DEP_1) | instskip(NEXT) | instid1(VALU_DEP_1)
	v_add_f32_e32 v4, 0x26f736c5, v4
	v_fma_f32 v5, v1, v4, -v5
	s_delay_alu instid0(VALU_DEP_1) | instskip(NEXT) | instid1(VALU_DEP_1)
	;; [unrolled: 3-line block ×18, first 2 shown]
	v_add_f32_e32 v5, 0xba1717e9, v5
	v_fma_f32 v9, v1, v5, -v4
	v_mov_b32_e32 v4, 0xa51e770f
	s_delay_alu instid0(VALU_DEP_2) | instskip(SKIP_2) | instid1(VALU_DEP_3)
	v_pk_add_f32 v[6:7], v[8:9], v[6:7]
	v_mov_b64_e32 v[8:9], s[0:1]
	v_cmp_ngt_f32_e64 s0, 0xc2ce8ed0, v2
	v_pk_fma_f32 v[4:5], v[0:1], v[6:7], v[4:5] neg_lo:[0,0,1] neg_hi:[0,0,1]
	s_delay_alu instid0(VALU_DEP_3) | instskip(NEXT) | instid1(VALU_DEP_2)
	v_pk_fma_f32 v[8:9], v[0:1], v[6:7], v[8:9]
	v_mov_b32_e32 v9, v5
	s_delay_alu instid0(VALU_DEP_1) | instskip(SKIP_2) | instid1(VALU_DEP_3)
	v_pk_add_f32 v[4:5], v[8:9], v[12:13]
	v_mov_b64_e32 v[8:9], 0x3c2ccb103102e09b
	v_mov_b64_e32 v[12:13], 0xc000000037bfc808
	v_pk_fma_f32 v[6:7], v[0:1], v[4:5], v[6:7] neg_lo:[0,0,1] neg_hi:[0,0,1]
	s_delay_alu instid0(VALU_DEP_1) | instskip(SKIP_1) | instid1(VALU_DEP_2)
	v_pk_add_f32 v[6:7], v[6:7], v[8:9]
	v_mov_b64_e32 v[8:9], 0xbcc274f8348815e7
	v_pk_fma_f32 v[4:5], v[0:1], v[6:7], v[4:5] neg_lo:[0,0,1] neg_hi:[0,0,1]
	s_delay_alu instid0(VALU_DEP_1) | instskip(SKIP_1) | instid1(VALU_DEP_2)
	v_pk_add_f32 v[4:5], v[4:5], v[8:9]
	v_mov_b64_e32 v[8:9], 0x3d49f45637bfc808
	v_pk_fma_f32 v[6:7], v[0:1], v[4:5], v[6:7] neg_lo:[0,0,1] neg_hi:[0,0,1]
	s_delay_alu instid0(VALU_DEP_1) | instskip(NEXT) | instid1(VALU_DEP_2)
	v_mov_b32_e32 v14, v6
	v_pk_add_f32 v[6:7], v[6:7], v[8:9]
	v_mov_b32_e32 v8, v0
	s_delay_alu instid0(VALU_DEP_3) | instskip(NEXT) | instid1(VALU_DEP_3)
	v_pk_add_f32 v[12:13], v[14:15], v[12:13]
	v_mov_b32_e32 v9, v7
	v_cndmask_b32_e64 v14, 0, 32, vcc_lo
	s_delay_alu instid0(VALU_DEP_2) | instskip(SKIP_3) | instid1(VALU_DEP_4)
	v_pk_fma_f32 v[4:5], v[12:13], v[8:9], v[4:5] neg_lo:[0,0,1] neg_hi:[0,0,1]
	v_mov_b64_e32 v[8:9], 0x3e2fbd643d135fb3
	v_rndne_f32_e32 v12, v11
	v_fma_f32 v13, 0x3fb8aa3b, v2, -v11
	v_pk_add_f32 v[4:5], v[4:5], v[16:17]
	s_delay_alu instid0(VALU_DEP_3) | instskip(NEXT) | instid1(VALU_DEP_3)
	v_sub_f32_e32 v11, v11, v12
	v_fmamk_f32 v13, v2, 0x32a5705f, v13
	s_delay_alu instid0(VALU_DEP_3) | instskip(NEXT) | instid1(VALU_DEP_1)
	v_pk_fma_f32 v[6:7], v[0:1], v[4:5], v[6:7] neg_lo:[0,0,1] neg_hi:[0,0,1]
	v_pk_add_f32 v[6:7], v[6:7], v[8:9]
	v_ldexp_f32 v8, v15, v14
	s_delay_alu instid0(VALU_DEP_4) | instskip(NEXT) | instid1(VALU_DEP_3)
	v_add_f32_e32 v9, v11, v13
	v_pk_fma_f32 v[4:5], v[0:1], v[6:7], v[4:5] neg_lo:[0,0,1] neg_hi:[0,0,1]
	s_delay_alu instid0(VALU_DEP_3) | instskip(NEXT) | instid1(VALU_DEP_2)
	v_log_f32_e32 v11, v8
	v_exp_f32_e32 v8, v9
	v_nop
	v_cvt_i32_f32_e32 v9, v12
	v_add_f32_e32 v5, 0xbe9bff5e, v5
	v_add_f32_e32 v4, 0x3eb046c4, v4
	s_delay_alu instid0(TRANS32_DEP_2) | instskip(NEXT) | instid1(VALU_DEP_3)
	v_mul_f32_e32 v12, 0x3f317217, v11
	v_fma_f32 v1, v1, v5, -v7
	v_ldexp_f32 v5, v8, v9
	s_delay_alu instid0(VALU_DEP_4) | instskip(NEXT) | instid1(VALU_DEP_4)
	v_mul_f32_e32 v0, v0, v4
	v_fma_f32 v8, 0x3f317217, v11, -v12
	v_mov_b32_e32 v4, 0xbf090b37
	v_add_f32_e32 v1, 0x3f2d4275, v1
	v_cndmask_b32_e64 v5, 0, v5, s0
	v_cmp_nlt_f32_e64 s0, 0x42b17218, v2
	v_fmamk_f32 v14, v11, 0x3377d1cf, v8
	v_mov_b32_e32 v8, v6
	v_pk_add_f32 v[0:1], v[0:1], v[6:7] neg_lo:[0,1] neg_hi:[0,1]
	s_delay_alu instid0(VALU_DEP_4) | instskip(NEXT) | instid1(VALU_DEP_4)
	v_cndmask_b32_e64 v9, 0x7f800000, v5, s0
	v_fmac_f32_e32 v14, 0x3f317217, v11
	s_delay_alu instid0(VALU_DEP_3) | instskip(SKIP_3) | instid1(VALU_DEP_4)
	v_pk_mul_f32 v[12:13], v[0:1], v[2:3]
	v_cndmask_b32_e64 v2, 0, 0x41b17218, vcc_lo
	v_cmp_gt_f32_e64 vcc_lo, 0x7f800000, |v11|
	v_pk_add_f32 v[0:1], v[0:1], v[4:5]
	v_pk_mul_f32 v[4:5], v[12:13], v[8:9]
	v_mov_b32_e32 v12, v3
	v_cndmask_b32_e32 v11, v11, v14, vcc_lo
	s_delay_alu instid0(VALU_DEP_4) | instskip(NEXT) | instid1(VALU_DEP_2)
	v_pk_add_f32 v[0:1], v[0:1], v[6:7] neg_lo:[0,1] neg_hi:[0,1]
	v_dual_mov_b32 v1, v5 :: v_dual_sub_f32 v13, v11, v2
                                        ; implicit-def: $vgpr2
	s_delay_alu instid0(VALU_DEP_1) | instskip(NEXT) | instid1(VALU_DEP_1)
	v_pk_mul_f32 v[0:1], v[12:13], v[0:1]
	v_sub_f32_e32 v0, v0, v1
	s_delay_alu instid0(VALU_DEP_1)
	v_mul_f32_e32 v0, v9, v0
.LBB18_278:
	s_and_not1_saveexec_b32 s19, s19
	s_cbranch_execz .LBB18_280
; %bb.279:
	v_div_scale_f32 v0, null, v2, v2, 0x41000000
	v_div_scale_f32 v4, vcc_lo, 0x41000000, v2, 0x41000000
	s_mov_b32 s0, 0x22c38d2e
	v_rcp_f32_e32 v1, v0
	v_nop
	s_delay_alu instid0(TRANS32_DEP_1) | instskip(NEXT) | instid1(VALU_DEP_1)
	v_fma_f32 v3, -v0, v1, 1.0
	v_fmac_f32_e32 v1, v3, v1
	s_delay_alu instid0(VALU_DEP_1) | instskip(NEXT) | instid1(VALU_DEP_1)
	v_mul_f32_e32 v3, v4, v1
	v_fma_f32 v5, -v0, v3, v4
	s_delay_alu instid0(VALU_DEP_1) | instskip(NEXT) | instid1(VALU_DEP_1)
	v_fmac_f32_e32 v3, v5, v1
	v_fma_f32 v0, -v0, v3, v4
	v_mul_f32_e32 v4, 0x4f800000, v2
	s_delay_alu instid0(VALU_DEP_2) | instskip(SKIP_1) | instid1(VALU_DEP_2)
	v_div_fmas_f32 v0, v0, v1, v3
	v_cmp_gt_f32_e32 vcc_lo, 0xf800000, v2
	v_div_fixup_f32 v0, v0, v2, 0x41000000
	s_delay_alu instid0(VALU_DEP_4) | instskip(NEXT) | instid1(VALU_DEP_2)
	v_cndmask_b32_e32 v2, v2, v4, vcc_lo
	v_add_f32_e32 v0, -2.0, v0
	s_delay_alu instid0(VALU_DEP_2) | instskip(NEXT) | instid1(VALU_DEP_1)
	v_sqrt_f32_e32 v4, v2
	v_fmaak_f32 v1, s0, v0, 0xa397f665
	s_delay_alu instid0(TRANS32_DEP_1) | instskip(NEXT) | instid1(VALU_DEP_2)
	v_dual_add_nc_u32 v6, 1, v4 :: v_dual_add_nc_u32 v5, -1, v4
	v_fmaak_f32 v3, v0, v1, 0xa2c38d2e
	s_delay_alu instid0(VALU_DEP_2) | instskip(NEXT) | instid1(VALU_DEP_2)
	v_dual_fma_f32 v8, -v6, v4, v2 :: v_dual_fma_f32 v7, -v5, v4, v2
	v_add_f32_e32 v3, 0x24704972, v3
	s_delay_alu instid0(VALU_DEP_2) | instskip(NEXT) | instid1(VALU_DEP_2)
	v_cmp_ge_f32_e64 s0, 0, v7
	v_fma_f32 v1, v0, v3, -v1
	s_delay_alu instid0(VALU_DEP_2) | instskip(NEXT) | instid1(VALU_DEP_2)
	v_cndmask_b32_e64 v4, v4, v5, s0
	v_add_f32_e32 v1, 0xa5417ca4, v1
	v_cmp_lt_f32_e64 s0, 0, v8
	s_delay_alu instid0(VALU_DEP_2) | instskip(NEXT) | instid1(VALU_DEP_2)
	v_fma_f32 v3, v0, v1, -v3
	v_cndmask_b32_e64 v4, v4, v6, s0
	s_delay_alu instid0(VALU_DEP_2) | instskip(NEXT) | instid1(VALU_DEP_1)
	v_add_f32_e32 v3, 0x261edfcb, v3
	v_fma_f32 v1, v0, v3, -v1
	s_delay_alu instid0(VALU_DEP_1) | instskip(NEXT) | instid1(VALU_DEP_1)
	v_add_f32_e32 v1, 0xa7053487, v1
	v_fma_f32 v3, v0, v1, -v3
	s_delay_alu instid0(VALU_DEP_1) | instskip(NEXT) | instid1(VALU_DEP_1)
	;; [unrolled: 3-line block ×19, first 2 shown]
	v_add_f32_e32 v1, 0xbd00cfb9, v1
	v_fma_f32 v0, v0, v1, -v3
	v_mul_f32_e32 v1, 0x37800000, v4
	s_delay_alu instid0(VALU_DEP_1) | instskip(SKIP_1) | instid1(VALU_DEP_2)
	v_dual_add_f32 v0, 0x401c2ded, v0 :: v_dual_cndmask_b32 v1, v4, v1
	v_cmp_class_f32_e64 vcc_lo, v2, 0x260
	v_dual_sub_f32 v0, v0, v3 :: v_dual_cndmask_b32 v1, v1, v2
	s_delay_alu instid0(VALU_DEP_1) | instskip(NEXT) | instid1(VALU_DEP_1)
	v_mul_f32_e32 v0, 0.5, v0
	v_div_scale_f32 v2, null, v1, v1, v0
	s_delay_alu instid0(VALU_DEP_1) | instskip(SKIP_1) | instid1(TRANS32_DEP_1)
	v_rcp_f32_e32 v3, v2
	v_nop
	v_fma_f32 v4, -v2, v3, 1.0
	s_delay_alu instid0(VALU_DEP_1) | instskip(SKIP_1) | instid1(VALU_DEP_1)
	v_fmac_f32_e32 v3, v4, v3
	v_div_scale_f32 v4, vcc_lo, v0, v1, v0
	v_mul_f32_e32 v5, v4, v3
	s_delay_alu instid0(VALU_DEP_1) | instskip(NEXT) | instid1(VALU_DEP_1)
	v_fma_f32 v6, -v2, v5, v4
	v_fmac_f32_e32 v5, v6, v3
	s_delay_alu instid0(VALU_DEP_1) | instskip(NEXT) | instid1(VALU_DEP_1)
	v_fma_f32 v2, -v2, v5, v4
	v_div_fmas_f32 v2, v2, v3, v5
	s_delay_alu instid0(VALU_DEP_1)
	v_div_fixup_f32 v0, v2, v1, v0
.LBB18_280:
	s_or_b32 exec_lo, exec_lo, s19
.LBB18_281:
	s_delay_alu instid0(SALU_CYCLE_1)
	s_or_b32 exec_lo, exec_lo, s18
.LBB18_282:
	s_delay_alu instid0(SALU_CYCLE_1) | instskip(SKIP_2) | instid1(SALU_CYCLE_1)
	s_or_b32 exec_lo, exec_lo, s16
	v_mul_lo_u32 v2, v10, s2
	s_and_b32 s16, s8, 0xff
	s_cmp_lt_i32 s16, 11
	s_delay_alu instid0(VALU_DEP_1) | instskip(NEXT) | instid1(VALU_DEP_1)
	v_ashrrev_i32_e32 v3, 31, v2
	v_add_nc_u64_e32 v[2:3], s[4:5], v[2:3]
	s_cbranch_scc1 .LBB18_290
; %bb.283:
	s_and_b32 s18, 0xffff, s16
	s_delay_alu instid0(SALU_CYCLE_1)
	s_cmp_gt_i32 s18, 25
	s_cbranch_scc0 .LBB18_292
; %bb.284:
	s_cmp_gt_i32 s18, 28
	s_cbranch_scc0 .LBB18_294
; %bb.285:
	;; [unrolled: 3-line block ×4, first 2 shown]
	s_mov_b32 s20, 0
	s_mov_b32 s0, -1
	s_cmp_eq_u32 s18, 46
	s_mov_b32 s19, 0
	s_cbranch_scc0 .LBB18_307
; %bb.288:
	v_bfe_u32 v1, v0, 16, 1
	v_cmp_o_f32_e32 vcc_lo, v0, v0
	s_mov_b32 s19, -1
	s_mov_b32 s0, 0
	s_delay_alu instid0(VALU_DEP_2) | instskip(NEXT) | instid1(VALU_DEP_1)
	v_add3_u32 v1, v0, v1, 0x7fff
	v_lshrrev_b32_e32 v1, 16, v1
	s_delay_alu instid0(VALU_DEP_1)
	v_cndmask_b32_e32 v1, 0x7fc0, v1, vcc_lo
	global_store_b32 v[2:3], v1, off
	s_branch .LBB18_307
.LBB18_289:
	s_mov_b32 s18, -1
	s_mov_b32 s16, 0
	s_mov_b32 s15, s13
                                        ; implicit-def: $vgpr2
	s_branch .LBB18_444
.LBB18_290:
	s_mov_b32 s18, -1
	s_mov_b32 s19, 0
	s_mov_b32 s0, s11
	s_branch .LBB18_376
.LBB18_291:
	s_mov_b32 s18, -1
	s_mov_b32 s16, 0
	s_mov_b32 s15, s13
                                        ; implicit-def: $vgpr2
	s_branch .LBB18_425
.LBB18_292:
	s_mov_b32 s20, -1
	s_mov_b32 s19, 0
	s_mov_b32 s0, s11
	s_branch .LBB18_334
.LBB18_293:
	s_mov_b32 s18, -1
	s_mov_b32 s16, 0
	s_mov_b32 s15, s13
                                        ; implicit-def: $vgpr2
	s_branch .LBB18_420
.LBB18_294:
	s_mov_b32 s20, -1
	s_mov_b32 s19, 0
	s_mov_b32 s0, s11
	s_branch .LBB18_317
.LBB18_295:
	s_and_not1_saveexec_b32 s19, s19
	s_cbranch_execz .LBB18_62
.LBB18_296:
	v_add_f32_e64 v1, 0x46000000, |v0|
	s_and_not1_b32 s18, s18, exec_lo
	s_delay_alu instid0(VALU_DEP_1) | instskip(NEXT) | instid1(VALU_DEP_1)
	v_and_b32_e32 v1, 0xff, v1
	v_cmp_ne_u32_e32 vcc_lo, 0, v1
	s_and_b32 s20, vcc_lo, exec_lo
	s_delay_alu instid0(SALU_CYCLE_1)
	s_or_b32 s18, s18, s20
	s_or_b32 exec_lo, exec_lo, s19
	v_mov_b32_e32 v4, 0
	s_and_saveexec_b32 s19, s18
	s_cbranch_execnz .LBB18_63
	s_branch .LBB18_64
.LBB18_297:
	s_mov_b32 s18, -1
	s_mov_b32 s16, 0
	s_mov_b32 s15, s13
	s_branch .LBB18_302
.LBB18_298:
	s_mov_b32 s20, -1
	s_mov_b32 s19, 0
	s_mov_b32 s0, s11
	s_branch .LBB18_313
.LBB18_299:
	s_and_not1_saveexec_b32 s19, s19
	s_cbranch_execz .LBB18_75
.LBB18_300:
	v_add_f32_e64 v1, 0x42800000, |v0|
	s_and_not1_b32 s18, s18, exec_lo
	s_delay_alu instid0(VALU_DEP_1) | instskip(NEXT) | instid1(VALU_DEP_1)
	v_and_b32_e32 v1, 0xff, v1
	v_cmp_ne_u32_e32 vcc_lo, 0, v1
	s_and_b32 s20, vcc_lo, exec_lo
	s_delay_alu instid0(SALU_CYCLE_1)
	s_or_b32 s18, s18, s20
	s_or_b32 exec_lo, exec_lo, s19
	v_mov_b32_e32 v4, 0
	s_and_saveexec_b32 s19, s18
	s_cbranch_execnz .LBB18_76
	s_branch .LBB18_77
.LBB18_301:
	s_mov_b32 s15, -1
	s_mov_b32 s16, 0
.LBB18_302:
                                        ; implicit-def: $vgpr2
.LBB18_303:
	s_and_b32 vcc_lo, exec_lo, s18
	s_cbranch_vccz .LBB18_419
; %bb.304:
	s_cmp_eq_u32 s0, 44
	s_cbranch_scc0 .LBB18_418
; %bb.305:
	s_wait_loadcnt 0x0
	global_load_u8 v2, v[0:1], off
	s_mov_b32 s15, 0
	s_mov_b32 s16, -1
	s_wait_loadcnt 0x0
	v_lshlrev_b32_e32 v3, 23, v2
	v_cmp_ne_u32_e32 vcc_lo, 0xff, v2
	s_delay_alu instid0(VALU_DEP_2) | instskip(SKIP_1) | instid1(VALU_DEP_2)
	v_cndmask_b32_e32 v3, 0x7f800001, v3, vcc_lo
	v_cmp_ne_u32_e32 vcc_lo, 0, v2
	v_cndmask_b32_e32 v2, 0x400000, v3, vcc_lo
	s_branch .LBB18_419
.LBB18_306:
	s_mov_b32 s20, -1
	s_mov_b32 s19, 0
	s_mov_b32 s0, s11
.LBB18_307:
	s_and_b32 vcc_lo, exec_lo, s20
	s_cbranch_vccz .LBB18_312
; %bb.308:
	s_cmp_eq_u32 s18, 44
	s_mov_b32 s0, -1
	s_cbranch_scc0 .LBB18_312
; %bb.309:
	v_bfe_u32 v4, v0, 23, 8
	s_wait_xcnt 0x0
	v_mov_b32_e32 v1, 0xff
	s_mov_b32 s19, exec_lo
	s_delay_alu instid0(VALU_DEP_2)
	v_cmpx_ne_u32_e32 0xff, v4
	s_cbranch_execz .LBB18_311
; %bb.310:
	v_and_b32_e32 v1, 0x400000, v0
	v_and_or_b32 v4, 0x3fffff, v0, v4
	s_delay_alu instid0(VALU_DEP_2) | instskip(NEXT) | instid1(VALU_DEP_2)
	v_cmp_ne_u32_e32 vcc_lo, 0, v1
	v_cmp_ne_u32_e64 s0, 0, v4
	v_lshrrev_b32_e32 v1, 23, v0
	s_and_b32 s0, vcc_lo, s0
	s_delay_alu instid0(SALU_CYCLE_1) | instskip(NEXT) | instid1(VALU_DEP_1)
	v_cndmask_b32_e64 v4, 0, 1, s0
	v_add_nc_u32_e32 v1, v1, v4
.LBB18_311:
	s_or_b32 exec_lo, exec_lo, s19
	s_mov_b32 s19, -1
	s_mov_b32 s0, 0
	global_store_b8 v[2:3], v1, off
.LBB18_312:
	s_mov_b32 s20, 0
.LBB18_313:
	s_delay_alu instid0(SALU_CYCLE_1)
	s_and_b32 vcc_lo, exec_lo, s20
	s_cbranch_vccz .LBB18_316
; %bb.314:
	s_cmp_eq_u32 s18, 29
	s_mov_b32 s0, -1
	s_cbranch_scc0 .LBB18_316
; %bb.315:
	s_wait_xcnt 0x0
	v_trunc_f32_e32 v1, v0
	s_mov_b32 s19, -1
	s_mov_b32 s0, 0
	s_mov_b32 s20, 0
	s_delay_alu instid0(VALU_DEP_1) | instskip(NEXT) | instid1(VALU_DEP_1)
	v_mul_f32_e32 v4, 0x2f800000, v1
	v_floor_f32_e32 v4, v4
	s_delay_alu instid0(VALU_DEP_1) | instskip(SKIP_1) | instid1(VALU_DEP_2)
	v_fmamk_f32 v1, v4, 0xcf800000, v1
	v_cvt_u32_f32_e32 v5, v4
	v_cvt_u32_f32_e32 v4, v1
	global_store_b64 v[2:3], v[4:5], off
	s_branch .LBB18_317
.LBB18_316:
	s_mov_b32 s20, 0
.LBB18_317:
	s_delay_alu instid0(SALU_CYCLE_1)
	s_and_b32 vcc_lo, exec_lo, s20
	s_cbranch_vccz .LBB18_333
; %bb.318:
	s_cmp_lt_i32 s18, 27
	s_mov_b32 s19, -1
	s_cbranch_scc1 .LBB18_324
; %bb.319:
	s_wait_xcnt 0x0
	v_cvt_u32_f32_e32 v1, v0
	s_cmp_gt_i32 s18, 27
	s_cbranch_scc0 .LBB18_321
; %bb.320:
	s_mov_b32 s19, 0
	global_store_b32 v[2:3], v1, off
.LBB18_321:
	s_and_not1_b32 vcc_lo, exec_lo, s19
	s_cbranch_vccnz .LBB18_323
; %bb.322:
	global_store_b16 v[2:3], v1, off
.LBB18_323:
	s_mov_b32 s19, 0
.LBB18_324:
	s_delay_alu instid0(SALU_CYCLE_1)
	s_and_not1_b32 vcc_lo, exec_lo, s19
	s_cbranch_vccnz .LBB18_332
; %bb.325:
	s_wait_xcnt 0x0
	v_and_b32_e32 v1, 0x7fffffff, v0
	v_mov_b32_e32 v4, 0x80
	s_mov_b32 s19, exec_lo
	s_delay_alu instid0(VALU_DEP_2)
	v_cmpx_gt_u32_e32 0x43800000, v1
	s_cbranch_execz .LBB18_331
; %bb.326:
	v_cmp_lt_u32_e32 vcc_lo, 0x3bffffff, v1
	s_mov_b32 s20, 0
                                        ; implicit-def: $vgpr1
	s_and_saveexec_b32 s21, vcc_lo
	s_delay_alu instid0(SALU_CYCLE_1)
	s_xor_b32 s21, exec_lo, s21
	s_cbranch_execz .LBB18_544
; %bb.327:
	v_bfe_u32 v1, v0, 20, 1
	s_mov_b32 s20, exec_lo
	s_delay_alu instid0(VALU_DEP_1) | instskip(NEXT) | instid1(VALU_DEP_1)
	v_add3_u32 v1, v0, v1, 0x487ffff
	v_lshrrev_b32_e32 v1, 20, v1
	s_and_not1_saveexec_b32 s21, s21
	s_cbranch_execnz .LBB18_545
.LBB18_328:
	s_or_b32 exec_lo, exec_lo, s21
	v_mov_b32_e32 v4, 0
	s_and_saveexec_b32 s21, s20
.LBB18_329:
	v_lshrrev_b32_e32 v4, 24, v0
	s_delay_alu instid0(VALU_DEP_1)
	v_and_or_b32 v4, 0x80, v4, v1
.LBB18_330:
	s_or_b32 exec_lo, exec_lo, s21
.LBB18_331:
	s_delay_alu instid0(SALU_CYCLE_1)
	s_or_b32 exec_lo, exec_lo, s19
	global_store_b8 v[2:3], v4, off
.LBB18_332:
	s_mov_b32 s19, -1
.LBB18_333:
	s_mov_b32 s20, 0
.LBB18_334:
	s_delay_alu instid0(SALU_CYCLE_1)
	s_and_b32 vcc_lo, exec_lo, s20
	s_cbranch_vccz .LBB18_375
; %bb.335:
	s_cmp_gt_i32 s18, 22
	s_mov_b32 s20, -1
	s_cbranch_scc0 .LBB18_367
; %bb.336:
	s_cmp_lt_i32 s18, 24
	s_mov_b32 s19, -1
	s_cbranch_scc1 .LBB18_356
; %bb.337:
	s_cmp_gt_i32 s18, 24
	s_cbranch_scc0 .LBB18_345
; %bb.338:
	s_wait_xcnt 0x0
	v_and_b32_e32 v1, 0x7fffffff, v0
	v_mov_b32_e32 v4, 0x80
	s_mov_b32 s19, exec_lo
	s_delay_alu instid0(VALU_DEP_2)
	v_cmpx_gt_u32_e32 0x47800000, v1
	s_cbranch_execz .LBB18_344
; %bb.339:
	v_cmp_lt_u32_e32 vcc_lo, 0x37ffffff, v1
	s_mov_b32 s20, 0
                                        ; implicit-def: $vgpr1
	s_and_saveexec_b32 s21, vcc_lo
	s_delay_alu instid0(SALU_CYCLE_1)
	s_xor_b32 s21, exec_lo, s21
	s_cbranch_execz .LBB18_547
; %bb.340:
	v_bfe_u32 v1, v0, 21, 1
	s_mov_b32 s20, exec_lo
	s_delay_alu instid0(VALU_DEP_1) | instskip(NEXT) | instid1(VALU_DEP_1)
	v_add3_u32 v1, v0, v1, 0x88fffff
	v_lshrrev_b32_e32 v1, 21, v1
	s_and_not1_saveexec_b32 s21, s21
	s_cbranch_execnz .LBB18_548
.LBB18_341:
	s_or_b32 exec_lo, exec_lo, s21
	v_mov_b32_e32 v4, 0
	s_and_saveexec_b32 s21, s20
.LBB18_342:
	v_lshrrev_b32_e32 v4, 24, v0
	s_delay_alu instid0(VALU_DEP_1)
	v_and_or_b32 v4, 0x80, v4, v1
.LBB18_343:
	s_or_b32 exec_lo, exec_lo, s21
.LBB18_344:
	s_delay_alu instid0(SALU_CYCLE_1)
	s_or_b32 exec_lo, exec_lo, s19
	s_mov_b32 s19, 0
	global_store_b8 v[2:3], v4, off
.LBB18_345:
	s_and_b32 vcc_lo, exec_lo, s19
	s_cbranch_vccz .LBB18_355
; %bb.346:
	s_wait_xcnt 0x0
	v_and_b32_e32 v4, 0x7fffffff, v0
	s_mov_b32 s19, exec_lo
                                        ; implicit-def: $vgpr1
	s_delay_alu instid0(VALU_DEP_1)
	v_cmpx_gt_u32_e32 0x43f00000, v4
	s_xor_b32 s19, exec_lo, s19
	s_cbranch_execz .LBB18_352
; %bb.347:
	s_mov_b32 s20, exec_lo
                                        ; implicit-def: $vgpr1
	v_cmpx_lt_u32_e32 0x3c7fffff, v4
	s_xor_b32 s20, exec_lo, s20
; %bb.348:
	v_bfe_u32 v1, v0, 20, 1
	s_delay_alu instid0(VALU_DEP_1) | instskip(NEXT) | instid1(VALU_DEP_1)
	v_add3_u32 v1, v0, v1, 0x407ffff
	v_and_b32_e32 v4, 0xff00000, v1
	v_lshrrev_b32_e32 v1, 20, v1
	s_delay_alu instid0(VALU_DEP_2) | instskip(NEXT) | instid1(VALU_DEP_2)
	v_cmp_ne_u32_e32 vcc_lo, 0x7f00000, v4
	v_cndmask_b32_e32 v1, 0x7e, v1, vcc_lo
; %bb.349:
	s_and_not1_saveexec_b32 s20, s20
; %bb.350:
	v_add_f32_e64 v1, 0x46800000, |v0|
; %bb.351:
	s_or_b32 exec_lo, exec_lo, s20
                                        ; implicit-def: $vgpr4
.LBB18_352:
	s_and_not1_saveexec_b32 s19, s19
; %bb.353:
	v_mov_b32_e32 v1, 0x7f
	v_cmp_lt_u32_e32 vcc_lo, 0x7f800000, v4
	s_delay_alu instid0(VALU_DEP_2)
	v_cndmask_b32_e32 v1, 0x7e, v1, vcc_lo
; %bb.354:
	s_or_b32 exec_lo, exec_lo, s19
	v_lshrrev_b32_e32 v4, 24, v0
	s_delay_alu instid0(VALU_DEP_1)
	v_and_or_b32 v1, 0x80, v4, v1
	global_store_b8 v[2:3], v1, off
.LBB18_355:
	s_mov_b32 s19, 0
.LBB18_356:
	s_delay_alu instid0(SALU_CYCLE_1)
	s_and_not1_b32 vcc_lo, exec_lo, s19
	s_cbranch_vccnz .LBB18_366
; %bb.357:
	s_wait_xcnt 0x0
	v_and_b32_e32 v4, 0x7fffffff, v0
	s_mov_b32 s19, exec_lo
                                        ; implicit-def: $vgpr1
	s_delay_alu instid0(VALU_DEP_1)
	v_cmpx_gt_u32_e32 0x47800000, v4
	s_xor_b32 s19, exec_lo, s19
	s_cbranch_execz .LBB18_363
; %bb.358:
	s_mov_b32 s20, exec_lo
                                        ; implicit-def: $vgpr1
	v_cmpx_lt_u32_e32 0x387fffff, v4
	s_xor_b32 s20, exec_lo, s20
; %bb.359:
	v_bfe_u32 v1, v0, 21, 1
	s_delay_alu instid0(VALU_DEP_1) | instskip(NEXT) | instid1(VALU_DEP_1)
	v_add3_u32 v1, v0, v1, 0x80fffff
	v_lshrrev_b32_e32 v1, 21, v1
; %bb.360:
	s_and_not1_saveexec_b32 s20, s20
; %bb.361:
	v_add_f32_e64 v1, 0x43000000, |v0|
; %bb.362:
	s_or_b32 exec_lo, exec_lo, s20
                                        ; implicit-def: $vgpr4
.LBB18_363:
	s_and_not1_saveexec_b32 s19, s19
; %bb.364:
	v_mov_b32_e32 v1, 0x7f
	v_cmp_lt_u32_e32 vcc_lo, 0x7f800000, v4
	s_delay_alu instid0(VALU_DEP_2)
	v_cndmask_b32_e32 v1, 0x7c, v1, vcc_lo
; %bb.365:
	s_or_b32 exec_lo, exec_lo, s19
	v_lshrrev_b32_e32 v4, 24, v0
	s_delay_alu instid0(VALU_DEP_1)
	v_and_or_b32 v1, 0x80, v4, v1
	global_store_b8 v[2:3], v1, off
.LBB18_366:
	s_mov_b32 s20, 0
	s_mov_b32 s19, -1
.LBB18_367:
	s_and_not1_b32 vcc_lo, exec_lo, s20
	s_cbranch_vccnz .LBB18_375
; %bb.368:
	s_cmp_gt_i32 s18, 14
	s_mov_b32 s20, -1
	s_cbranch_scc0 .LBB18_372
; %bb.369:
	s_cmp_eq_u32 s18, 15
	s_mov_b32 s0, -1
	s_cbranch_scc0 .LBB18_371
; %bb.370:
	s_wait_xcnt 0x0
	v_bfe_u32 v1, v0, 16, 1
	v_cmp_o_f32_e32 vcc_lo, v0, v0
	s_mov_b32 s19, -1
	s_mov_b32 s0, 0
	s_delay_alu instid0(VALU_DEP_2) | instskip(NEXT) | instid1(VALU_DEP_1)
	v_add3_u32 v1, v0, v1, 0x7fff
	v_lshrrev_b32_e32 v1, 16, v1
	s_delay_alu instid0(VALU_DEP_1)
	v_cndmask_b32_e32 v1, 0x7fc0, v1, vcc_lo
	global_store_b16 v[2:3], v1, off
.LBB18_371:
	s_mov_b32 s20, 0
.LBB18_372:
	s_delay_alu instid0(SALU_CYCLE_1)
	s_and_b32 vcc_lo, exec_lo, s20
	s_cbranch_vccz .LBB18_375
; %bb.373:
	s_cmp_eq_u32 s18, 11
	s_mov_b32 s0, -1
	s_cbranch_scc0 .LBB18_375
; %bb.374:
	v_cmp_neq_f32_e32 vcc_lo, 0, v0
	s_mov_b32 s0, 0
	s_mov_b32 s19, -1
	s_wait_xcnt 0x0
	v_cndmask_b32_e64 v1, 0, 1, vcc_lo
	global_store_b8 v[2:3], v1, off
.LBB18_375:
	s_mov_b32 s18, 0
.LBB18_376:
	s_delay_alu instid0(SALU_CYCLE_1)
	s_and_b32 vcc_lo, exec_lo, s18
	s_cbranch_vccz .LBB18_415
; %bb.377:
	s_and_b32 s16, 0xffff, s16
	s_mov_b32 s18, -1
	s_cmp_lt_i32 s16, 5
	s_cbranch_scc1 .LBB18_398
; %bb.378:
	s_cmp_lt_i32 s16, 8
	s_cbranch_scc1 .LBB18_388
; %bb.379:
	;; [unrolled: 3-line block ×3, first 2 shown]
	s_cmp_gt_i32 s16, 9
	s_cbranch_scc0 .LBB18_382
; %bb.381:
	s_wait_xcnt 0x0
	v_cvt_f64_f32_e32 v[4:5], v0
	v_mov_b32_e32 v6, 0
	s_mov_b32 s18, 0
	s_delay_alu instid0(VALU_DEP_1)
	v_mov_b32_e32 v7, v6
	global_store_b128 v[2:3], v[4:7], off
.LBB18_382:
	s_and_not1_b32 vcc_lo, exec_lo, s18
	s_cbranch_vccnz .LBB18_384
; %bb.383:
	s_wait_xcnt 0x0
	v_mov_b32_e32 v1, 0
	global_store_b64 v[2:3], v[0:1], off
.LBB18_384:
	s_mov_b32 s18, 0
.LBB18_385:
	s_delay_alu instid0(SALU_CYCLE_1)
	s_and_not1_b32 vcc_lo, exec_lo, s18
	s_cbranch_vccnz .LBB18_387
; %bb.386:
	s_wait_xcnt 0x0
	v_cvt_f16_f32_e32 v1, v0
	s_delay_alu instid0(VALU_DEP_1)
	v_and_b32_e32 v1, 0xffff, v1
	global_store_b32 v[2:3], v1, off
.LBB18_387:
	s_mov_b32 s18, 0
.LBB18_388:
	s_delay_alu instid0(SALU_CYCLE_1)
	s_and_not1_b32 vcc_lo, exec_lo, s18
	s_cbranch_vccnz .LBB18_397
; %bb.389:
	s_cmp_lt_i32 s16, 6
	s_mov_b32 s18, -1
	s_cbranch_scc1 .LBB18_395
; %bb.390:
	s_cmp_gt_i32 s16, 6
	s_cbranch_scc0 .LBB18_392
; %bb.391:
	s_wait_xcnt 0x0
	v_cvt_f64_f32_e32 v[4:5], v0
	s_mov_b32 s18, 0
	global_store_b64 v[2:3], v[4:5], off
.LBB18_392:
	s_and_not1_b32 vcc_lo, exec_lo, s18
	s_cbranch_vccnz .LBB18_394
; %bb.393:
	global_store_b32 v[2:3], v0, off
.LBB18_394:
	s_mov_b32 s18, 0
.LBB18_395:
	s_delay_alu instid0(SALU_CYCLE_1)
	s_and_not1_b32 vcc_lo, exec_lo, s18
	s_cbranch_vccnz .LBB18_397
; %bb.396:
	s_wait_xcnt 0x0
	v_cvt_f16_f32_e32 v1, v0
	global_store_b16 v[2:3], v1, off
.LBB18_397:
	s_mov_b32 s18, 0
.LBB18_398:
	s_delay_alu instid0(SALU_CYCLE_1)
	s_and_not1_b32 vcc_lo, exec_lo, s18
	s_cbranch_vccnz .LBB18_414
; %bb.399:
	s_cmp_lt_i32 s16, 2
	s_mov_b32 s18, -1
	s_cbranch_scc1 .LBB18_409
; %bb.400:
	s_cmp_lt_i32 s16, 3
	s_cbranch_scc1 .LBB18_406
; %bb.401:
	s_cmp_gt_i32 s16, 3
	s_cbranch_scc0 .LBB18_403
; %bb.402:
	s_wait_xcnt 0x0
	v_trunc_f32_e32 v1, v0
	s_mov_b32 s18, 0
	s_delay_alu instid0(VALU_DEP_1) | instskip(NEXT) | instid1(VALU_DEP_1)
	v_mul_f32_e64 v4, 0x2f800000, |v1|
	v_floor_f32_e32 v5, v4
	v_ashrrev_i32_e32 v4, 31, v1
	s_delay_alu instid0(VALU_DEP_2) | instskip(SKIP_1) | instid1(VALU_DEP_3)
	v_fma_f32 v6, 0xcf800000, v5, |v1|
	v_cvt_u32_f32_e32 v1, v5
	v_mov_b32_e32 v5, v4
	s_delay_alu instid0(VALU_DEP_3) | instskip(NEXT) | instid1(VALU_DEP_3)
	v_cvt_u32_f32_e32 v6, v6
	v_xor_b32_e32 v7, v1, v4
	s_delay_alu instid0(VALU_DEP_2) | instskip(NEXT) | instid1(VALU_DEP_1)
	v_xor_b32_e32 v6, v6, v4
	v_sub_nc_u64_e32 v[4:5], v[6:7], v[4:5]
	global_store_b64 v[2:3], v[4:5], off
.LBB18_403:
	s_and_not1_b32 vcc_lo, exec_lo, s18
	s_cbranch_vccnz .LBB18_405
; %bb.404:
	s_wait_xcnt 0x0
	v_cvt_i32_f32_e32 v1, v0
	global_store_b32 v[2:3], v1, off
.LBB18_405:
	s_mov_b32 s18, 0
.LBB18_406:
	s_delay_alu instid0(SALU_CYCLE_1)
	s_and_not1_b32 vcc_lo, exec_lo, s18
	s_cbranch_vccnz .LBB18_408
; %bb.407:
	s_wait_xcnt 0x0
	v_cvt_i32_f32_e32 v1, v0
	global_store_b16 v[2:3], v1, off
.LBB18_408:
	s_mov_b32 s18, 0
.LBB18_409:
	s_delay_alu instid0(SALU_CYCLE_1)
	s_and_not1_b32 vcc_lo, exec_lo, s18
	s_cbranch_vccnz .LBB18_414
; %bb.410:
	s_cmp_gt_i32 s16, 0
	s_mov_b32 s16, -1
	s_cbranch_scc0 .LBB18_412
; %bb.411:
	s_wait_xcnt 0x0
	v_cvt_i32_f32_e32 v1, v0
	s_mov_b32 s16, 0
	global_store_b8 v[2:3], v1, off
.LBB18_412:
	s_and_not1_b32 vcc_lo, exec_lo, s16
	s_cbranch_vccnz .LBB18_414
; %bb.413:
	s_wait_xcnt 0x0
	v_trunc_f32_e32 v0, v0
	s_delay_alu instid0(VALU_DEP_1) | instskip(NEXT) | instid1(VALU_DEP_1)
	v_mul_f32_e64 v1, 0x2f800000, |v0|
	v_floor_f32_e32 v1, v1
	s_delay_alu instid0(VALU_DEP_1) | instskip(SKIP_1) | instid1(VALU_DEP_2)
	v_fma_f32 v1, 0xcf800000, v1, |v0|
	v_ashrrev_i32_e32 v0, 31, v0
	v_cvt_u32_f32_e32 v1, v1
	s_delay_alu instid0(VALU_DEP_1) | instskip(NEXT) | instid1(VALU_DEP_1)
	v_xor_b32_e32 v1, v1, v0
	v_sub_nc_u32_e32 v0, v1, v0
	global_store_b8 v[2:3], v0, off
.LBB18_414:
	s_mov_b32 s19, -1
.LBB18_415:
	s_delay_alu instid0(SALU_CYCLE_1)
	s_and_not1_b32 vcc_lo, exec_lo, s19
	s_cbranch_vccnz .LBB18_417
; %bb.416:
	v_add_nc_u32_e32 v10, 0x80, v10
	s_mov_b32 s18, -1
	s_branch .LBB18_530
.LBB18_417:
	s_mov_b32 s18, 0
	s_branch .LBB18_529
.LBB18_418:
	s_mov_b32 s15, -1
                                        ; implicit-def: $vgpr2
.LBB18_419:
	s_mov_b32 s18, 0
.LBB18_420:
	s_delay_alu instid0(SALU_CYCLE_1)
	s_and_b32 vcc_lo, exec_lo, s18
	s_cbranch_vccz .LBB18_424
; %bb.421:
	s_cmp_eq_u32 s0, 29
	s_cbranch_scc0 .LBB18_423
; %bb.422:
	s_wait_loadcnt 0x0
	global_load_b64 v[2:3], v[0:1], off
	s_mov_b32 s16, -1
	s_mov_b32 s15, 0
	s_mov_b32 s18, 0
	s_wait_loadcnt 0x0
	v_clz_i32_u32_e32 v4, v3
	s_delay_alu instid0(VALU_DEP_1) | instskip(NEXT) | instid1(VALU_DEP_1)
	v_min_u32_e32 v4, 32, v4
	v_lshlrev_b64_e32 v[2:3], v4, v[2:3]
	s_delay_alu instid0(VALU_DEP_1) | instskip(NEXT) | instid1(VALU_DEP_1)
	v_min_u32_e32 v2, 1, v2
	v_dual_sub_nc_u32 v3, 32, v4 :: v_dual_bitop2_b32 v2, v3, v2 bitop3:0x54
	s_delay_alu instid0(VALU_DEP_1) | instskip(NEXT) | instid1(VALU_DEP_1)
	v_cvt_f32_u32_e32 v2, v2
	v_ldexp_f32 v2, v2, v3
	s_branch .LBB18_425
.LBB18_423:
	s_mov_b32 s15, -1
                                        ; implicit-def: $vgpr2
.LBB18_424:
	s_mov_b32 s18, 0
.LBB18_425:
	s_delay_alu instid0(SALU_CYCLE_1)
	s_and_b32 vcc_lo, exec_lo, s18
	s_cbranch_vccz .LBB18_443
; %bb.426:
	s_cmp_lt_i32 s0, 27
	s_cbranch_scc1 .LBB18_429
; %bb.427:
	s_cmp_gt_i32 s0, 27
	s_cbranch_scc0 .LBB18_430
; %bb.428:
	s_wait_loadcnt 0x0
	global_load_b32 v2, v[0:1], off
	s_mov_b32 s16, 0
	s_wait_loadcnt 0x0
	v_cvt_f32_u32_e32 v2, v2
	s_branch .LBB18_431
.LBB18_429:
	s_mov_b32 s16, -1
                                        ; implicit-def: $vgpr2
	s_branch .LBB18_434
.LBB18_430:
	s_mov_b32 s16, -1
                                        ; implicit-def: $vgpr2
.LBB18_431:
	s_delay_alu instid0(SALU_CYCLE_1)
	s_and_not1_b32 vcc_lo, exec_lo, s16
	s_cbranch_vccnz .LBB18_433
; %bb.432:
	s_wait_loadcnt 0x0
	global_load_u16 v2, v[0:1], off
	s_wait_loadcnt 0x0
	v_cvt_f32_u32_e32 v2, v2
.LBB18_433:
	s_mov_b32 s16, 0
.LBB18_434:
	s_delay_alu instid0(SALU_CYCLE_1)
	s_and_not1_b32 vcc_lo, exec_lo, s16
	s_cbranch_vccnz .LBB18_442
; %bb.435:
	global_load_u8 v3, v[0:1], off
	s_mov_b32 s16, 0
	s_mov_b32 s18, exec_lo
	s_wait_loadcnt 0x0
	v_cmpx_lt_i16_e32 0x7f, v3
	s_xor_b32 s18, exec_lo, s18
	s_cbranch_execz .LBB18_456
; %bb.436:
	s_mov_b32 s16, -1
	s_mov_b32 s19, exec_lo
	v_cmpx_eq_u16_e32 0x80, v3
; %bb.437:
	s_xor_b32 s16, exec_lo, -1
; %bb.438:
	s_or_b32 exec_lo, exec_lo, s19
	s_delay_alu instid0(SALU_CYCLE_1)
	s_and_b32 s16, s16, exec_lo
	s_or_saveexec_b32 s18, s18
	v_mov_b32_e32 v2, 0x7f800001
	s_xor_b32 exec_lo, exec_lo, s18
	s_cbranch_execnz .LBB18_457
.LBB18_439:
	s_or_b32 exec_lo, exec_lo, s18
	s_and_saveexec_b32 s18, s16
	s_cbranch_execz .LBB18_441
.LBB18_440:
	v_and_b32_e32 v2, 0xffff, v3
	s_delay_alu instid0(VALU_DEP_1) | instskip(SKIP_1) | instid1(VALU_DEP_2)
	v_and_b32_e32 v4, 7, v2
	v_bfe_u32 v7, v2, 3, 4
	v_clz_i32_u32_e32 v5, v4
	s_delay_alu instid0(VALU_DEP_2) | instskip(NEXT) | instid1(VALU_DEP_2)
	v_cmp_eq_u32_e32 vcc_lo, 0, v7
	v_min_u32_e32 v5, 32, v5
	s_delay_alu instid0(VALU_DEP_1) | instskip(NEXT) | instid1(VALU_DEP_1)
	v_subrev_nc_u32_e32 v6, 28, v5
	v_dual_lshlrev_b32 v2, v6, v2 :: v_dual_sub_nc_u32 v5, 29, v5
	s_delay_alu instid0(VALU_DEP_1) | instskip(NEXT) | instid1(VALU_DEP_1)
	v_dual_lshlrev_b32 v3, 24, v3 :: v_dual_bitop2_b32 v2, 7, v2 bitop3:0x40
	v_dual_cndmask_b32 v5, v7, v5 :: v_dual_cndmask_b32 v2, v4, v2
	s_delay_alu instid0(VALU_DEP_2) | instskip(NEXT) | instid1(VALU_DEP_2)
	v_and_b32_e32 v3, 0x80000000, v3
	v_lshl_add_u32 v4, v5, 23, 0x3b800000
	s_delay_alu instid0(VALU_DEP_3) | instskip(NEXT) | instid1(VALU_DEP_1)
	v_lshlrev_b32_e32 v2, 20, v2
	v_or3_b32 v2, v3, v4, v2
.LBB18_441:
	s_or_b32 exec_lo, exec_lo, s18
.LBB18_442:
	s_mov_b32 s16, -1
.LBB18_443:
	s_mov_b32 s18, 0
.LBB18_444:
	s_delay_alu instid0(SALU_CYCLE_1)
	s_and_b32 vcc_lo, exec_lo, s18
	s_cbranch_vccz .LBB18_479
; %bb.445:
	s_cmp_gt_i32 s0, 22
	s_cbranch_scc0 .LBB18_455
; %bb.446:
	s_cmp_lt_i32 s0, 24
	s_cbranch_scc1 .LBB18_458
; %bb.447:
	s_cmp_gt_i32 s0, 24
	s_cbranch_scc0 .LBB18_459
; %bb.448:
	global_load_u8 v3, v[0:1], off
	s_mov_b32 s16, 0
	s_mov_b32 s18, exec_lo
	s_wait_loadcnt 0x0
	v_cmpx_lt_i16_e32 0x7f, v3
	s_xor_b32 s18, exec_lo, s18
	s_cbranch_execz .LBB18_471
; %bb.449:
	s_mov_b32 s16, -1
	s_mov_b32 s19, exec_lo
	v_cmpx_eq_u16_e32 0x80, v3
; %bb.450:
	s_xor_b32 s16, exec_lo, -1
; %bb.451:
	s_or_b32 exec_lo, exec_lo, s19
	s_delay_alu instid0(SALU_CYCLE_1)
	s_and_b32 s16, s16, exec_lo
	s_or_saveexec_b32 s18, s18
	v_mov_b32_e32 v2, 0x7f800001
	s_xor_b32 exec_lo, exec_lo, s18
	s_cbranch_execnz .LBB18_472
.LBB18_452:
	s_or_b32 exec_lo, exec_lo, s18
	s_and_saveexec_b32 s18, s16
	s_cbranch_execz .LBB18_454
.LBB18_453:
	v_and_b32_e32 v2, 0xffff, v3
	s_delay_alu instid0(VALU_DEP_1) | instskip(SKIP_1) | instid1(VALU_DEP_2)
	v_and_b32_e32 v4, 3, v2
	v_bfe_u32 v7, v2, 2, 5
	v_clz_i32_u32_e32 v5, v4
	s_delay_alu instid0(VALU_DEP_2) | instskip(NEXT) | instid1(VALU_DEP_2)
	v_cmp_eq_u32_e32 vcc_lo, 0, v7
	v_min_u32_e32 v5, 32, v5
	s_delay_alu instid0(VALU_DEP_1) | instskip(NEXT) | instid1(VALU_DEP_1)
	v_subrev_nc_u32_e32 v6, 29, v5
	v_dual_lshlrev_b32 v2, v6, v2 :: v_dual_sub_nc_u32 v5, 30, v5
	s_delay_alu instid0(VALU_DEP_1) | instskip(NEXT) | instid1(VALU_DEP_1)
	v_dual_lshlrev_b32 v3, 24, v3 :: v_dual_bitop2_b32 v2, 3, v2 bitop3:0x40
	v_dual_cndmask_b32 v5, v7, v5 :: v_dual_cndmask_b32 v2, v4, v2
	s_delay_alu instid0(VALU_DEP_2) | instskip(NEXT) | instid1(VALU_DEP_2)
	v_and_b32_e32 v3, 0x80000000, v3
	v_lshl_add_u32 v4, v5, 23, 0x37800000
	s_delay_alu instid0(VALU_DEP_3) | instskip(NEXT) | instid1(VALU_DEP_1)
	v_lshlrev_b32_e32 v2, 21, v2
	v_or3_b32 v2, v3, v4, v2
.LBB18_454:
	s_or_b32 exec_lo, exec_lo, s18
	s_mov_b32 s16, 0
	s_branch .LBB18_460
.LBB18_455:
	s_mov_b32 s18, -1
                                        ; implicit-def: $vgpr2
	s_branch .LBB18_466
.LBB18_456:
	s_or_saveexec_b32 s18, s18
	v_mov_b32_e32 v2, 0x7f800001
	s_xor_b32 exec_lo, exec_lo, s18
	s_cbranch_execz .LBB18_439
.LBB18_457:
	v_cmp_ne_u16_e32 vcc_lo, 0, v3
	v_mov_b32_e32 v2, 0
	s_and_not1_b32 s16, s16, exec_lo
	s_and_b32 s19, vcc_lo, exec_lo
	s_delay_alu instid0(SALU_CYCLE_1)
	s_or_b32 s16, s16, s19
	s_or_b32 exec_lo, exec_lo, s18
	s_and_saveexec_b32 s18, s16
	s_cbranch_execnz .LBB18_440
	s_branch .LBB18_441
.LBB18_458:
	s_mov_b32 s16, -1
                                        ; implicit-def: $vgpr2
	s_branch .LBB18_463
.LBB18_459:
	s_mov_b32 s16, -1
                                        ; implicit-def: $vgpr2
.LBB18_460:
	s_delay_alu instid0(SALU_CYCLE_1)
	s_and_b32 vcc_lo, exec_lo, s16
	s_cbranch_vccz .LBB18_462
; %bb.461:
	s_wait_loadcnt 0x0
	global_load_u8 v2, v[0:1], off
	s_wait_loadcnt 0x0
	v_lshlrev_b32_e32 v2, 24, v2
	s_delay_alu instid0(VALU_DEP_1) | instskip(NEXT) | instid1(VALU_DEP_1)
	v_and_b32_e32 v3, 0x7f000000, v2
	v_clz_i32_u32_e32 v4, v3
	v_cmp_ne_u32_e32 vcc_lo, 0, v3
	v_add_nc_u32_e32 v6, 0x1000000, v3
	s_delay_alu instid0(VALU_DEP_3) | instskip(NEXT) | instid1(VALU_DEP_1)
	v_min_u32_e32 v4, 32, v4
	v_sub_nc_u32_e64 v4, v4, 4 clamp
	s_delay_alu instid0(VALU_DEP_1) | instskip(NEXT) | instid1(VALU_DEP_1)
	v_dual_lshlrev_b32 v5, v4, v3 :: v_dual_lshlrev_b32 v4, 23, v4
	v_lshrrev_b32_e32 v5, 4, v5
	s_delay_alu instid0(VALU_DEP_1) | instskip(NEXT) | instid1(VALU_DEP_1)
	v_dual_sub_nc_u32 v4, v5, v4 :: v_dual_ashrrev_i32 v5, 8, v6
	v_add_nc_u32_e32 v4, 0x3c000000, v4
	s_delay_alu instid0(VALU_DEP_1) | instskip(NEXT) | instid1(VALU_DEP_1)
	v_and_or_b32 v4, 0x7f800000, v5, v4
	v_cndmask_b32_e32 v3, 0, v4, vcc_lo
	s_delay_alu instid0(VALU_DEP_1)
	v_and_or_b32 v2, 0x80000000, v2, v3
.LBB18_462:
	s_mov_b32 s16, 0
.LBB18_463:
	s_delay_alu instid0(SALU_CYCLE_1)
	s_and_not1_b32 vcc_lo, exec_lo, s16
	s_cbranch_vccnz .LBB18_465
; %bb.464:
	s_wait_loadcnt 0x0
	global_load_u8 v2, v[0:1], off
	s_wait_loadcnt 0x0
	v_lshlrev_b32_e32 v3, 25, v2
	v_lshlrev_b16 v2, 8, v2
	s_delay_alu instid0(VALU_DEP_1) | instskip(SKIP_1) | instid1(VALU_DEP_2)
	v_and_or_b32 v5, 0x7f00, v2, 0.5
	v_bfe_i32 v2, v2, 0, 16
	v_dual_add_f32 v5, -0.5, v5 :: v_dual_lshrrev_b32 v4, 4, v3
	v_cmp_gt_u32_e32 vcc_lo, 0x8000000, v3
	s_delay_alu instid0(VALU_DEP_2) | instskip(NEXT) | instid1(VALU_DEP_1)
	v_or_b32_e32 v4, 0x70000000, v4
	v_mul_f32_e32 v4, 0x7800000, v4
	s_delay_alu instid0(VALU_DEP_1) | instskip(NEXT) | instid1(VALU_DEP_1)
	v_cndmask_b32_e32 v3, v4, v5, vcc_lo
	v_and_or_b32 v2, 0x80000000, v2, v3
.LBB18_465:
	s_mov_b32 s18, 0
	s_mov_b32 s16, -1
.LBB18_466:
	s_and_not1_b32 vcc_lo, exec_lo, s18
	s_cbranch_vccnz .LBB18_479
; %bb.467:
	s_cmp_gt_i32 s0, 14
	s_cbranch_scc0 .LBB18_470
; %bb.468:
	s_cmp_eq_u32 s0, 15
	s_cbranch_scc0 .LBB18_473
; %bb.469:
	s_wait_loadcnt 0x0
	global_load_u16 v2, v[0:1], off
	s_mov_b32 s16, -1
	s_mov_b32 s15, 0
	s_wait_loadcnt 0x0
	v_lshlrev_b32_e32 v2, 16, v2
	s_branch .LBB18_474
.LBB18_470:
	s_mov_b32 s18, -1
                                        ; implicit-def: $vgpr2
	s_branch .LBB18_475
.LBB18_471:
	s_or_saveexec_b32 s18, s18
	v_mov_b32_e32 v2, 0x7f800001
	s_xor_b32 exec_lo, exec_lo, s18
	s_cbranch_execz .LBB18_452
.LBB18_472:
	v_cmp_ne_u16_e32 vcc_lo, 0, v3
	v_mov_b32_e32 v2, 0
	s_and_not1_b32 s16, s16, exec_lo
	s_and_b32 s19, vcc_lo, exec_lo
	s_delay_alu instid0(SALU_CYCLE_1)
	s_or_b32 s16, s16, s19
	s_or_b32 exec_lo, exec_lo, s18
	s_and_saveexec_b32 s18, s16
	s_cbranch_execnz .LBB18_453
	s_branch .LBB18_454
.LBB18_473:
	s_mov_b32 s15, -1
                                        ; implicit-def: $vgpr2
.LBB18_474:
	s_mov_b32 s18, 0
.LBB18_475:
	s_delay_alu instid0(SALU_CYCLE_1)
	s_and_b32 vcc_lo, exec_lo, s18
	s_cbranch_vccz .LBB18_479
; %bb.476:
	s_cmp_eq_u32 s0, 11
	s_cbranch_scc0 .LBB18_478
; %bb.477:
	s_wait_loadcnt 0x0
	global_load_u8 v2, v[0:1], off
	s_mov_b32 s15, 0
	s_mov_b32 s16, -1
	s_wait_loadcnt 0x0
	v_cmp_ne_u16_e32 vcc_lo, 0, v2
	v_cndmask_b32_e64 v2, 0, 1.0, vcc_lo
	s_branch .LBB18_479
.LBB18_478:
	s_mov_b32 s15, -1
                                        ; implicit-def: $vgpr2
.LBB18_479:
	s_branch .LBB18_273
.LBB18_480:
	s_cmp_lt_i32 s0, 5
	s_cbranch_scc1 .LBB18_485
; %bb.481:
	s_cmp_lt_i32 s0, 8
	s_cbranch_scc1 .LBB18_486
; %bb.482:
	;; [unrolled: 3-line block ×3, first 2 shown]
	s_cmp_gt_i32 s0, 9
	s_cbranch_scc0 .LBB18_488
; %bb.484:
	s_wait_loadcnt 0x0
	global_load_b64 v[2:3], v[0:1], off
	s_mov_b32 s16, 0
	s_wait_loadcnt 0x0
	v_cvt_f32_f64_e32 v2, v[2:3]
	s_branch .LBB18_489
.LBB18_485:
	s_mov_b32 s16, -1
                                        ; implicit-def: $vgpr2
	s_branch .LBB18_507
.LBB18_486:
	s_mov_b32 s16, -1
                                        ; implicit-def: $vgpr2
	s_branch .LBB18_495
.LBB18_487:
	s_mov_b32 s16, -1
                                        ; implicit-def: $vgpr2
	s_branch .LBB18_492
.LBB18_488:
	s_mov_b32 s16, -1
                                        ; implicit-def: $vgpr2
.LBB18_489:
	s_delay_alu instid0(SALU_CYCLE_1)
	s_and_not1_b32 vcc_lo, exec_lo, s16
	s_cbranch_vccnz .LBB18_491
; %bb.490:
	s_wait_loadcnt 0x0
	global_load_b32 v2, v[0:1], off
.LBB18_491:
	s_mov_b32 s16, 0
.LBB18_492:
	s_delay_alu instid0(SALU_CYCLE_1)
	s_and_not1_b32 vcc_lo, exec_lo, s16
	s_cbranch_vccnz .LBB18_494
; %bb.493:
	s_wait_loadcnt 0x0
	global_load_b32 v2, v[0:1], off
	s_wait_loadcnt 0x0
	v_cvt_f32_f16_e32 v2, v2
.LBB18_494:
	s_mov_b32 s16, 0
.LBB18_495:
	s_delay_alu instid0(SALU_CYCLE_1)
	s_and_not1_b32 vcc_lo, exec_lo, s16
	s_cbranch_vccnz .LBB18_506
; %bb.496:
	s_cmp_lt_i32 s0, 6
	s_cbranch_scc1 .LBB18_499
; %bb.497:
	s_cmp_gt_i32 s0, 6
	s_cbranch_scc0 .LBB18_500
; %bb.498:
	s_wait_loadcnt 0x0
	global_load_b64 v[2:3], v[0:1], off
	s_mov_b32 s16, 0
	s_wait_loadcnt 0x0
	v_cvt_f32_f64_e32 v2, v[2:3]
	s_branch .LBB18_501
.LBB18_499:
	s_mov_b32 s16, -1
                                        ; implicit-def: $vgpr2
	s_branch .LBB18_504
.LBB18_500:
	s_mov_b32 s16, -1
                                        ; implicit-def: $vgpr2
.LBB18_501:
	s_delay_alu instid0(SALU_CYCLE_1)
	s_and_not1_b32 vcc_lo, exec_lo, s16
	s_cbranch_vccnz .LBB18_503
; %bb.502:
	s_wait_loadcnt 0x0
	global_load_b32 v2, v[0:1], off
.LBB18_503:
	s_mov_b32 s16, 0
.LBB18_504:
	s_delay_alu instid0(SALU_CYCLE_1)
	s_and_not1_b32 vcc_lo, exec_lo, s16
	s_cbranch_vccnz .LBB18_506
; %bb.505:
	s_wait_loadcnt 0x0
	global_load_u16 v2, v[0:1], off
	s_wait_loadcnt 0x0
	v_cvt_f32_f16_e32 v2, v2
.LBB18_506:
	s_mov_b32 s16, 0
.LBB18_507:
	s_delay_alu instid0(SALU_CYCLE_1)
	s_and_not1_b32 vcc_lo, exec_lo, s16
	s_cbranch_vccnz .LBB18_527
; %bb.508:
	s_cmp_lt_i32 s0, 2
	s_cbranch_scc1 .LBB18_512
; %bb.509:
	s_cmp_lt_i32 s0, 3
	s_cbranch_scc1 .LBB18_513
; %bb.510:
	s_cmp_gt_i32 s0, 3
	s_cbranch_scc0 .LBB18_514
; %bb.511:
	s_wait_loadcnt 0x0
	global_load_b64 v[2:3], v[0:1], off
	s_mov_b32 s16, 0
	s_wait_loadcnt 0x0
	v_xor_b32_e32 v4, v2, v3
	v_cls_i32_e32 v5, v3
	s_delay_alu instid0(VALU_DEP_2) | instskip(NEXT) | instid1(VALU_DEP_1)
	v_ashrrev_i32_e32 v4, 31, v4
	v_add_nc_u32_e32 v4, 32, v4
	s_delay_alu instid0(VALU_DEP_1) | instskip(NEXT) | instid1(VALU_DEP_1)
	v_add_min_u32_e64 v4, v5, -1, v4
	v_lshlrev_b64_e32 v[2:3], v4, v[2:3]
	s_delay_alu instid0(VALU_DEP_1) | instskip(NEXT) | instid1(VALU_DEP_1)
	v_min_u32_e32 v2, 1, v2
	v_dual_sub_nc_u32 v3, 32, v4 :: v_dual_bitop2_b32 v2, v3, v2 bitop3:0x54
	s_delay_alu instid0(VALU_DEP_1) | instskip(NEXT) | instid1(VALU_DEP_1)
	v_cvt_f32_i32_e32 v2, v2
	v_ldexp_f32 v2, v2, v3
	s_branch .LBB18_515
.LBB18_512:
	s_mov_b32 s16, -1
                                        ; implicit-def: $vgpr2
	s_branch .LBB18_521
.LBB18_513:
	s_mov_b32 s16, -1
                                        ; implicit-def: $vgpr2
	s_branch .LBB18_518
.LBB18_514:
	s_mov_b32 s16, -1
                                        ; implicit-def: $vgpr2
.LBB18_515:
	s_delay_alu instid0(SALU_CYCLE_1)
	s_and_not1_b32 vcc_lo, exec_lo, s16
	s_cbranch_vccnz .LBB18_517
; %bb.516:
	s_wait_loadcnt 0x0
	global_load_b32 v2, v[0:1], off
	s_wait_loadcnt 0x0
	v_cvt_f32_i32_e32 v2, v2
.LBB18_517:
	s_mov_b32 s16, 0
.LBB18_518:
	s_delay_alu instid0(SALU_CYCLE_1)
	s_and_not1_b32 vcc_lo, exec_lo, s16
	s_cbranch_vccnz .LBB18_520
; %bb.519:
	s_wait_loadcnt 0x0
	global_load_i16 v2, v[0:1], off
	s_wait_loadcnt 0x0
	v_cvt_f32_i32_e32 v2, v2
.LBB18_520:
	s_mov_b32 s16, 0
.LBB18_521:
	s_delay_alu instid0(SALU_CYCLE_1)
	s_and_not1_b32 vcc_lo, exec_lo, s16
	s_cbranch_vccnz .LBB18_527
; %bb.522:
	s_cmp_gt_i32 s0, 0
	s_mov_b32 s0, 0
	s_cbranch_scc0 .LBB18_524
; %bb.523:
	s_wait_loadcnt 0x0
	global_load_i8 v2, v[0:1], off
	s_wait_loadcnt 0x0
	v_cvt_f32_i32_e32 v2, v2
	s_branch .LBB18_525
.LBB18_524:
	s_mov_b32 s0, -1
                                        ; implicit-def: $vgpr2
.LBB18_525:
	s_delay_alu instid0(SALU_CYCLE_1)
	s_and_not1_b32 vcc_lo, exec_lo, s0
	s_cbranch_vccnz .LBB18_527
; %bb.526:
	global_load_u8 v0, v[0:1], off
	s_wait_loadcnt 0x0
	v_cvt_f32_ubyte0_e32 v2, v0
.LBB18_527:
	s_branch .LBB18_274
.LBB18_528:
	s_mov_b32 s18, 0
	s_mov_b32 s0, s11
.LBB18_529:
                                        ; implicit-def: $vgpr10
.LBB18_530:
	s_and_not1_b32 s16, s11, exec_lo
	s_and_b32 s0, s0, exec_lo
	s_and_not1_b32 s19, s13, exec_lo
	s_and_b32 s15, s15, exec_lo
	s_or_b32 s16, s16, s0
	s_or_b32 s15, s19, s15
	s_or_not1_b32 s0, s18, exec_lo
.LBB18_531:
	s_wait_xcnt 0x0
	s_or_b32 exec_lo, exec_lo, s17
	s_mov_b32 s18, 0
	s_mov_b32 s19, 0
	;; [unrolled: 1-line block ×3, first 2 shown]
                                        ; implicit-def: $vgpr0_vgpr1
                                        ; implicit-def: $vgpr2
	s_and_saveexec_b32 s17, s0
	s_cbranch_execz .LBB18_886
; %bb.532:
	s_mov_b32 s20, -1
	s_mov_b32 s0, s15
	s_mov_b32 s19, s16
	s_mov_b32 s18, exec_lo
	v_cmpx_gt_i32_e64 s12, v10
	s_cbranch_execz .LBB18_800
; %bb.533:
	v_mul_lo_u32 v0, v10, s3
	s_and_b32 s0, 0xffff, s9
	s_delay_alu instid0(SALU_CYCLE_1) | instskip(NEXT) | instid1(VALU_DEP_1)
	s_cmp_lt_i32 s0, 11
	v_ashrrev_i32_e32 v1, 31, v0
	s_delay_alu instid0(VALU_DEP_1)
	v_add_nc_u64_e32 v[0:1], s[6:7], v[0:1]
	s_cbranch_scc1 .LBB18_540
; %bb.534:
	s_cmp_gt_i32 s0, 25
	s_cbranch_scc0 .LBB18_541
; %bb.535:
	s_cmp_gt_i32 s0, 28
	s_cbranch_scc0 .LBB18_542
	;; [unrolled: 3-line block ×4, first 2 shown]
; %bb.538:
	s_cmp_eq_u32 s0, 46
	s_mov_b32 s21, 0
	s_cbranch_scc0 .LBB18_549
; %bb.539:
	s_wait_loadcnt 0x0
	global_load_b32 v2, v[0:1], off
	s_mov_b32 s19, 0
	s_wait_loadcnt 0x0
	v_lshlrev_b32_e32 v2, 16, v2
	s_branch .LBB18_551
.LBB18_540:
	s_mov_b32 s21, -1
	s_mov_b32 s20, 0
	s_mov_b32 s19, s15
                                        ; implicit-def: $vgpr2
	s_branch .LBB18_616
.LBB18_541:
	s_mov_b32 s21, -1
	s_mov_b32 s20, 0
	s_mov_b32 s19, s15
                                        ; implicit-def: $vgpr2
	s_branch .LBB18_580
.LBB18_542:
	s_mov_b32 s21, -1
	s_mov_b32 s20, 0
	s_mov_b32 s19, s15
                                        ; implicit-def: $vgpr2
	s_branch .LBB18_561
.LBB18_543:
	s_mov_b32 s21, -1
	s_mov_b32 s20, 0
	s_mov_b32 s19, s15
                                        ; implicit-def: $vgpr2
	s_branch .LBB18_556
.LBB18_544:
	s_and_not1_saveexec_b32 s21, s21
	s_cbranch_execz .LBB18_328
.LBB18_545:
	v_add_f32_e64 v1, 0x46000000, |v0|
	s_and_not1_b32 s20, s20, exec_lo
	s_delay_alu instid0(VALU_DEP_1) | instskip(NEXT) | instid1(VALU_DEP_1)
	v_and_b32_e32 v1, 0xff, v1
	v_cmp_ne_u32_e32 vcc_lo, 0, v1
	s_and_b32 s22, vcc_lo, exec_lo
	s_delay_alu instid0(SALU_CYCLE_1)
	s_or_b32 s20, s20, s22
	s_or_b32 exec_lo, exec_lo, s21
	v_mov_b32_e32 v4, 0
	s_and_saveexec_b32 s21, s20
	s_cbranch_execnz .LBB18_329
	s_branch .LBB18_330
.LBB18_546:
	s_mov_b32 s21, -1
	s_mov_b32 s20, 0
	s_mov_b32 s19, s15
	s_branch .LBB18_550
.LBB18_547:
	s_and_not1_saveexec_b32 s21, s21
	s_cbranch_execz .LBB18_341
.LBB18_548:
	v_add_f32_e64 v1, 0x42800000, |v0|
	s_and_not1_b32 s20, s20, exec_lo
	s_delay_alu instid0(VALU_DEP_1) | instskip(NEXT) | instid1(VALU_DEP_1)
	v_and_b32_e32 v1, 0xff, v1
	v_cmp_ne_u32_e32 vcc_lo, 0, v1
	s_and_b32 s22, vcc_lo, exec_lo
	s_delay_alu instid0(SALU_CYCLE_1)
	s_or_b32 s20, s20, s22
	s_or_b32 exec_lo, exec_lo, s21
	v_mov_b32_e32 v4, 0
	s_and_saveexec_b32 s21, s20
	s_cbranch_execnz .LBB18_342
	s_branch .LBB18_343
.LBB18_549:
	s_mov_b32 s19, -1
	s_mov_b32 s20, 0
.LBB18_550:
                                        ; implicit-def: $vgpr2
.LBB18_551:
	s_and_b32 vcc_lo, exec_lo, s21
	s_cbranch_vccz .LBB18_555
; %bb.552:
	s_cmp_eq_u32 s0, 44
	s_cbranch_scc0 .LBB18_554
; %bb.553:
	s_wait_loadcnt 0x0
	global_load_u8 v2, v[0:1], off
	s_mov_b32 s19, 0
	s_mov_b32 s20, -1
	s_wait_loadcnt 0x0
	v_lshlrev_b32_e32 v3, 23, v2
	v_cmp_ne_u32_e32 vcc_lo, 0xff, v2
	s_delay_alu instid0(VALU_DEP_2) | instskip(SKIP_1) | instid1(VALU_DEP_2)
	v_cndmask_b32_e32 v3, 0x7f800001, v3, vcc_lo
	v_cmp_ne_u32_e32 vcc_lo, 0, v2
	v_cndmask_b32_e32 v2, 0x400000, v3, vcc_lo
	s_branch .LBB18_555
.LBB18_554:
	s_mov_b32 s19, -1
                                        ; implicit-def: $vgpr2
.LBB18_555:
	s_mov_b32 s21, 0
.LBB18_556:
	s_delay_alu instid0(SALU_CYCLE_1)
	s_and_b32 vcc_lo, exec_lo, s21
	s_cbranch_vccz .LBB18_560
; %bb.557:
	s_cmp_eq_u32 s0, 29
	s_cbranch_scc0 .LBB18_559
; %bb.558:
	s_wait_loadcnt 0x0
	global_load_b64 v[2:3], v[0:1], off
	s_mov_b32 s20, -1
	s_mov_b32 s19, 0
	s_mov_b32 s21, 0
	s_wait_loadcnt 0x0
	v_clz_i32_u32_e32 v4, v3
	s_delay_alu instid0(VALU_DEP_1) | instskip(NEXT) | instid1(VALU_DEP_1)
	v_min_u32_e32 v4, 32, v4
	v_lshlrev_b64_e32 v[2:3], v4, v[2:3]
	s_delay_alu instid0(VALU_DEP_1) | instskip(NEXT) | instid1(VALU_DEP_1)
	v_min_u32_e32 v2, 1, v2
	v_dual_sub_nc_u32 v3, 32, v4 :: v_dual_bitop2_b32 v2, v3, v2 bitop3:0x54
	s_delay_alu instid0(VALU_DEP_1) | instskip(NEXT) | instid1(VALU_DEP_1)
	v_cvt_f32_u32_e32 v2, v2
	v_ldexp_f32 v2, v2, v3
	s_branch .LBB18_561
.LBB18_559:
	s_mov_b32 s19, -1
                                        ; implicit-def: $vgpr2
.LBB18_560:
	s_mov_b32 s21, 0
.LBB18_561:
	s_delay_alu instid0(SALU_CYCLE_1)
	s_and_b32 vcc_lo, exec_lo, s21
	s_cbranch_vccz .LBB18_579
; %bb.562:
	s_cmp_lt_i32 s0, 27
	s_cbranch_scc1 .LBB18_565
; %bb.563:
	s_cmp_gt_i32 s0, 27
	s_cbranch_scc0 .LBB18_566
; %bb.564:
	s_wait_loadcnt 0x0
	global_load_b32 v2, v[0:1], off
	s_mov_b32 s20, 0
	s_wait_loadcnt 0x0
	v_cvt_f32_u32_e32 v2, v2
	s_branch .LBB18_567
.LBB18_565:
	s_mov_b32 s20, -1
                                        ; implicit-def: $vgpr2
	s_branch .LBB18_570
.LBB18_566:
	s_mov_b32 s20, -1
                                        ; implicit-def: $vgpr2
.LBB18_567:
	s_delay_alu instid0(SALU_CYCLE_1)
	s_and_not1_b32 vcc_lo, exec_lo, s20
	s_cbranch_vccnz .LBB18_569
; %bb.568:
	s_wait_loadcnt 0x0
	global_load_u16 v2, v[0:1], off
	s_wait_loadcnt 0x0
	v_cvt_f32_u32_e32 v2, v2
.LBB18_569:
	s_mov_b32 s20, 0
.LBB18_570:
	s_delay_alu instid0(SALU_CYCLE_1)
	s_and_not1_b32 vcc_lo, exec_lo, s20
	s_cbranch_vccnz .LBB18_578
; %bb.571:
	global_load_u8 v3, v[0:1], off
	s_mov_b32 s20, 0
	s_mov_b32 s21, exec_lo
	s_wait_loadcnt 0x0
	v_cmpx_lt_i16_e32 0x7f, v3
	s_xor_b32 s21, exec_lo, s21
	s_cbranch_execz .LBB18_592
; %bb.572:
	s_mov_b32 s20, -1
	s_mov_b32 s22, exec_lo
	v_cmpx_eq_u16_e32 0x80, v3
; %bb.573:
	s_xor_b32 s20, exec_lo, -1
; %bb.574:
	s_or_b32 exec_lo, exec_lo, s22
	s_delay_alu instid0(SALU_CYCLE_1)
	s_and_b32 s20, s20, exec_lo
	s_or_saveexec_b32 s21, s21
	v_mov_b32_e32 v2, 0x7f800001
	s_xor_b32 exec_lo, exec_lo, s21
	s_cbranch_execnz .LBB18_593
.LBB18_575:
	s_or_b32 exec_lo, exec_lo, s21
	s_and_saveexec_b32 s21, s20
	s_cbranch_execz .LBB18_577
.LBB18_576:
	v_and_b32_e32 v2, 0xffff, v3
	s_delay_alu instid0(VALU_DEP_1) | instskip(SKIP_1) | instid1(VALU_DEP_2)
	v_and_b32_e32 v4, 7, v2
	v_bfe_u32 v7, v2, 3, 4
	v_clz_i32_u32_e32 v5, v4
	s_delay_alu instid0(VALU_DEP_2) | instskip(NEXT) | instid1(VALU_DEP_2)
	v_cmp_eq_u32_e32 vcc_lo, 0, v7
	v_min_u32_e32 v5, 32, v5
	s_delay_alu instid0(VALU_DEP_1) | instskip(NEXT) | instid1(VALU_DEP_1)
	v_subrev_nc_u32_e32 v6, 28, v5
	v_dual_lshlrev_b32 v2, v6, v2 :: v_dual_sub_nc_u32 v5, 29, v5
	s_delay_alu instid0(VALU_DEP_1) | instskip(NEXT) | instid1(VALU_DEP_1)
	v_dual_lshlrev_b32 v3, 24, v3 :: v_dual_bitop2_b32 v2, 7, v2 bitop3:0x40
	v_dual_cndmask_b32 v5, v7, v5 :: v_dual_cndmask_b32 v2, v4, v2
	s_delay_alu instid0(VALU_DEP_2) | instskip(NEXT) | instid1(VALU_DEP_2)
	v_and_b32_e32 v3, 0x80000000, v3
	v_lshl_add_u32 v4, v5, 23, 0x3b800000
	s_delay_alu instid0(VALU_DEP_3) | instskip(NEXT) | instid1(VALU_DEP_1)
	v_lshlrev_b32_e32 v2, 20, v2
	v_or3_b32 v2, v3, v4, v2
.LBB18_577:
	s_or_b32 exec_lo, exec_lo, s21
.LBB18_578:
	s_mov_b32 s20, -1
.LBB18_579:
	s_mov_b32 s21, 0
.LBB18_580:
	s_delay_alu instid0(SALU_CYCLE_1)
	s_and_b32 vcc_lo, exec_lo, s21
	s_cbranch_vccz .LBB18_615
; %bb.581:
	s_cmp_gt_i32 s0, 22
	s_cbranch_scc0 .LBB18_591
; %bb.582:
	s_cmp_lt_i32 s0, 24
	s_cbranch_scc1 .LBB18_594
; %bb.583:
	s_cmp_gt_i32 s0, 24
	s_cbranch_scc0 .LBB18_595
; %bb.584:
	global_load_u8 v3, v[0:1], off
	s_mov_b32 s20, 0
	s_mov_b32 s21, exec_lo
	s_wait_loadcnt 0x0
	v_cmpx_lt_i16_e32 0x7f, v3
	s_xor_b32 s21, exec_lo, s21
	s_cbranch_execz .LBB18_607
; %bb.585:
	s_mov_b32 s20, -1
	s_mov_b32 s22, exec_lo
	v_cmpx_eq_u16_e32 0x80, v3
; %bb.586:
	s_xor_b32 s20, exec_lo, -1
; %bb.587:
	s_or_b32 exec_lo, exec_lo, s22
	s_delay_alu instid0(SALU_CYCLE_1)
	s_and_b32 s20, s20, exec_lo
	s_or_saveexec_b32 s21, s21
	v_mov_b32_e32 v2, 0x7f800001
	s_xor_b32 exec_lo, exec_lo, s21
	s_cbranch_execnz .LBB18_608
.LBB18_588:
	s_or_b32 exec_lo, exec_lo, s21
	s_and_saveexec_b32 s21, s20
	s_cbranch_execz .LBB18_590
.LBB18_589:
	v_and_b32_e32 v2, 0xffff, v3
	s_delay_alu instid0(VALU_DEP_1) | instskip(SKIP_1) | instid1(VALU_DEP_2)
	v_and_b32_e32 v4, 3, v2
	v_bfe_u32 v7, v2, 2, 5
	v_clz_i32_u32_e32 v5, v4
	s_delay_alu instid0(VALU_DEP_2) | instskip(NEXT) | instid1(VALU_DEP_2)
	v_cmp_eq_u32_e32 vcc_lo, 0, v7
	v_min_u32_e32 v5, 32, v5
	s_delay_alu instid0(VALU_DEP_1) | instskip(NEXT) | instid1(VALU_DEP_1)
	v_subrev_nc_u32_e32 v6, 29, v5
	v_dual_lshlrev_b32 v2, v6, v2 :: v_dual_sub_nc_u32 v5, 30, v5
	s_delay_alu instid0(VALU_DEP_1) | instskip(NEXT) | instid1(VALU_DEP_1)
	v_dual_lshlrev_b32 v3, 24, v3 :: v_dual_bitop2_b32 v2, 3, v2 bitop3:0x40
	v_dual_cndmask_b32 v5, v7, v5 :: v_dual_cndmask_b32 v2, v4, v2
	s_delay_alu instid0(VALU_DEP_2) | instskip(NEXT) | instid1(VALU_DEP_2)
	v_and_b32_e32 v3, 0x80000000, v3
	v_lshl_add_u32 v4, v5, 23, 0x37800000
	s_delay_alu instid0(VALU_DEP_3) | instskip(NEXT) | instid1(VALU_DEP_1)
	v_lshlrev_b32_e32 v2, 21, v2
	v_or3_b32 v2, v3, v4, v2
.LBB18_590:
	s_or_b32 exec_lo, exec_lo, s21
	s_mov_b32 s20, 0
	s_branch .LBB18_596
.LBB18_591:
	s_mov_b32 s21, -1
                                        ; implicit-def: $vgpr2
	s_branch .LBB18_602
.LBB18_592:
	s_or_saveexec_b32 s21, s21
	v_mov_b32_e32 v2, 0x7f800001
	s_xor_b32 exec_lo, exec_lo, s21
	s_cbranch_execz .LBB18_575
.LBB18_593:
	v_cmp_ne_u16_e32 vcc_lo, 0, v3
	v_mov_b32_e32 v2, 0
	s_and_not1_b32 s20, s20, exec_lo
	s_and_b32 s22, vcc_lo, exec_lo
	s_delay_alu instid0(SALU_CYCLE_1)
	s_or_b32 s20, s20, s22
	s_or_b32 exec_lo, exec_lo, s21
	s_and_saveexec_b32 s21, s20
	s_cbranch_execnz .LBB18_576
	s_branch .LBB18_577
.LBB18_594:
	s_mov_b32 s20, -1
                                        ; implicit-def: $vgpr2
	s_branch .LBB18_599
.LBB18_595:
	s_mov_b32 s20, -1
                                        ; implicit-def: $vgpr2
.LBB18_596:
	s_delay_alu instid0(SALU_CYCLE_1)
	s_and_b32 vcc_lo, exec_lo, s20
	s_cbranch_vccz .LBB18_598
; %bb.597:
	s_wait_loadcnt 0x0
	global_load_u8 v2, v[0:1], off
	s_wait_loadcnt 0x0
	v_lshlrev_b32_e32 v2, 24, v2
	s_delay_alu instid0(VALU_DEP_1) | instskip(NEXT) | instid1(VALU_DEP_1)
	v_and_b32_e32 v3, 0x7f000000, v2
	v_clz_i32_u32_e32 v4, v3
	v_cmp_ne_u32_e32 vcc_lo, 0, v3
	v_add_nc_u32_e32 v6, 0x1000000, v3
	s_delay_alu instid0(VALU_DEP_3) | instskip(NEXT) | instid1(VALU_DEP_1)
	v_min_u32_e32 v4, 32, v4
	v_sub_nc_u32_e64 v4, v4, 4 clamp
	s_delay_alu instid0(VALU_DEP_1) | instskip(NEXT) | instid1(VALU_DEP_1)
	v_dual_lshlrev_b32 v5, v4, v3 :: v_dual_lshlrev_b32 v4, 23, v4
	v_lshrrev_b32_e32 v5, 4, v5
	s_delay_alu instid0(VALU_DEP_1) | instskip(NEXT) | instid1(VALU_DEP_1)
	v_dual_sub_nc_u32 v4, v5, v4 :: v_dual_ashrrev_i32 v5, 8, v6
	v_add_nc_u32_e32 v4, 0x3c000000, v4
	s_delay_alu instid0(VALU_DEP_1) | instskip(NEXT) | instid1(VALU_DEP_1)
	v_and_or_b32 v4, 0x7f800000, v5, v4
	v_cndmask_b32_e32 v3, 0, v4, vcc_lo
	s_delay_alu instid0(VALU_DEP_1)
	v_and_or_b32 v2, 0x80000000, v2, v3
.LBB18_598:
	s_mov_b32 s20, 0
.LBB18_599:
	s_delay_alu instid0(SALU_CYCLE_1)
	s_and_not1_b32 vcc_lo, exec_lo, s20
	s_cbranch_vccnz .LBB18_601
; %bb.600:
	s_wait_loadcnt 0x0
	global_load_u8 v2, v[0:1], off
	s_wait_loadcnt 0x0
	v_lshlrev_b32_e32 v3, 25, v2
	v_lshlrev_b16 v2, 8, v2
	s_delay_alu instid0(VALU_DEP_1) | instskip(SKIP_1) | instid1(VALU_DEP_2)
	v_and_or_b32 v5, 0x7f00, v2, 0.5
	v_bfe_i32 v2, v2, 0, 16
	v_dual_add_f32 v5, -0.5, v5 :: v_dual_lshrrev_b32 v4, 4, v3
	v_cmp_gt_u32_e32 vcc_lo, 0x8000000, v3
	s_delay_alu instid0(VALU_DEP_2) | instskip(NEXT) | instid1(VALU_DEP_1)
	v_or_b32_e32 v4, 0x70000000, v4
	v_mul_f32_e32 v4, 0x7800000, v4
	s_delay_alu instid0(VALU_DEP_1) | instskip(NEXT) | instid1(VALU_DEP_1)
	v_cndmask_b32_e32 v3, v4, v5, vcc_lo
	v_and_or_b32 v2, 0x80000000, v2, v3
.LBB18_601:
	s_mov_b32 s21, 0
	s_mov_b32 s20, -1
.LBB18_602:
	s_and_not1_b32 vcc_lo, exec_lo, s21
	s_cbranch_vccnz .LBB18_615
; %bb.603:
	s_cmp_gt_i32 s0, 14
	s_cbranch_scc0 .LBB18_606
; %bb.604:
	s_cmp_eq_u32 s0, 15
	s_cbranch_scc0 .LBB18_609
; %bb.605:
	s_wait_loadcnt 0x0
	global_load_u16 v2, v[0:1], off
	s_mov_b32 s20, -1
	s_mov_b32 s19, 0
	s_wait_loadcnt 0x0
	v_lshlrev_b32_e32 v2, 16, v2
	s_branch .LBB18_610
.LBB18_606:
	s_mov_b32 s21, -1
                                        ; implicit-def: $vgpr2
	s_branch .LBB18_611
.LBB18_607:
	s_or_saveexec_b32 s21, s21
	v_mov_b32_e32 v2, 0x7f800001
	s_xor_b32 exec_lo, exec_lo, s21
	s_cbranch_execz .LBB18_588
.LBB18_608:
	v_cmp_ne_u16_e32 vcc_lo, 0, v3
	v_mov_b32_e32 v2, 0
	s_and_not1_b32 s20, s20, exec_lo
	s_and_b32 s22, vcc_lo, exec_lo
	s_delay_alu instid0(SALU_CYCLE_1)
	s_or_b32 s20, s20, s22
	s_or_b32 exec_lo, exec_lo, s21
	s_and_saveexec_b32 s21, s20
	s_cbranch_execnz .LBB18_589
	s_branch .LBB18_590
.LBB18_609:
	s_mov_b32 s19, -1
                                        ; implicit-def: $vgpr2
.LBB18_610:
	s_mov_b32 s21, 0
.LBB18_611:
	s_delay_alu instid0(SALU_CYCLE_1)
	s_and_b32 vcc_lo, exec_lo, s21
	s_cbranch_vccz .LBB18_615
; %bb.612:
	s_cmp_eq_u32 s0, 11
	s_cbranch_scc0 .LBB18_614
; %bb.613:
	s_wait_loadcnt 0x0
	global_load_u8 v2, v[0:1], off
	s_mov_b32 s19, 0
	s_mov_b32 s20, -1
	s_wait_loadcnt 0x0
	v_cmp_ne_u16_e32 vcc_lo, 0, v2
	v_cndmask_b32_e64 v2, 0, 1.0, vcc_lo
	s_branch .LBB18_615
.LBB18_614:
	s_mov_b32 s19, -1
                                        ; implicit-def: $vgpr2
.LBB18_615:
	s_mov_b32 s21, 0
.LBB18_616:
	s_delay_alu instid0(SALU_CYCLE_1)
	s_and_b32 vcc_lo, exec_lo, s21
	s_cbranch_vccz .LBB18_665
; %bb.617:
	s_cmp_lt_i32 s0, 5
	s_cbranch_scc1 .LBB18_622
; %bb.618:
	s_cmp_lt_i32 s0, 8
	s_cbranch_scc1 .LBB18_623
	;; [unrolled: 3-line block ×3, first 2 shown]
; %bb.620:
	s_cmp_gt_i32 s0, 9
	s_cbranch_scc0 .LBB18_625
; %bb.621:
	s_wait_loadcnt 0x0
	global_load_b64 v[2:3], v[0:1], off
	s_mov_b32 s20, 0
	s_wait_loadcnt 0x0
	v_cvt_f32_f64_e32 v2, v[2:3]
	s_branch .LBB18_626
.LBB18_622:
	s_mov_b32 s20, -1
                                        ; implicit-def: $vgpr2
	s_branch .LBB18_644
.LBB18_623:
	s_mov_b32 s20, -1
                                        ; implicit-def: $vgpr2
	s_branch .LBB18_632
.LBB18_624:
	s_mov_b32 s20, -1
                                        ; implicit-def: $vgpr2
	s_branch .LBB18_629
.LBB18_625:
	s_mov_b32 s20, -1
                                        ; implicit-def: $vgpr2
.LBB18_626:
	s_delay_alu instid0(SALU_CYCLE_1)
	s_and_not1_b32 vcc_lo, exec_lo, s20
	s_cbranch_vccnz .LBB18_628
; %bb.627:
	s_wait_loadcnt 0x0
	global_load_b32 v2, v[0:1], off
.LBB18_628:
	s_mov_b32 s20, 0
.LBB18_629:
	s_delay_alu instid0(SALU_CYCLE_1)
	s_and_not1_b32 vcc_lo, exec_lo, s20
	s_cbranch_vccnz .LBB18_631
; %bb.630:
	s_wait_loadcnt 0x0
	global_load_b32 v2, v[0:1], off
	s_wait_loadcnt 0x0
	v_cvt_f32_f16_e32 v2, v2
.LBB18_631:
	s_mov_b32 s20, 0
.LBB18_632:
	s_delay_alu instid0(SALU_CYCLE_1)
	s_and_not1_b32 vcc_lo, exec_lo, s20
	s_cbranch_vccnz .LBB18_643
; %bb.633:
	s_cmp_lt_i32 s0, 6
	s_cbranch_scc1 .LBB18_636
; %bb.634:
	s_cmp_gt_i32 s0, 6
	s_cbranch_scc0 .LBB18_637
; %bb.635:
	s_wait_loadcnt 0x0
	global_load_b64 v[2:3], v[0:1], off
	s_mov_b32 s20, 0
	s_wait_loadcnt 0x0
	v_cvt_f32_f64_e32 v2, v[2:3]
	s_branch .LBB18_638
.LBB18_636:
	s_mov_b32 s20, -1
                                        ; implicit-def: $vgpr2
	s_branch .LBB18_641
.LBB18_637:
	s_mov_b32 s20, -1
                                        ; implicit-def: $vgpr2
.LBB18_638:
	s_delay_alu instid0(SALU_CYCLE_1)
	s_and_not1_b32 vcc_lo, exec_lo, s20
	s_cbranch_vccnz .LBB18_640
; %bb.639:
	s_wait_loadcnt 0x0
	global_load_b32 v2, v[0:1], off
.LBB18_640:
	s_mov_b32 s20, 0
.LBB18_641:
	s_delay_alu instid0(SALU_CYCLE_1)
	s_and_not1_b32 vcc_lo, exec_lo, s20
	s_cbranch_vccnz .LBB18_643
; %bb.642:
	s_wait_loadcnt 0x0
	global_load_u16 v2, v[0:1], off
	s_wait_loadcnt 0x0
	v_cvt_f32_f16_e32 v2, v2
.LBB18_643:
	s_mov_b32 s20, 0
.LBB18_644:
	s_delay_alu instid0(SALU_CYCLE_1)
	s_and_not1_b32 vcc_lo, exec_lo, s20
	s_cbranch_vccnz .LBB18_664
; %bb.645:
	s_cmp_lt_i32 s0, 2
	s_cbranch_scc1 .LBB18_649
; %bb.646:
	s_cmp_lt_i32 s0, 3
	s_cbranch_scc1 .LBB18_650
; %bb.647:
	s_cmp_gt_i32 s0, 3
	s_cbranch_scc0 .LBB18_651
; %bb.648:
	s_wait_loadcnt 0x0
	global_load_b64 v[2:3], v[0:1], off
	s_mov_b32 s20, 0
	s_wait_loadcnt 0x0
	v_xor_b32_e32 v4, v2, v3
	v_cls_i32_e32 v5, v3
	s_delay_alu instid0(VALU_DEP_2) | instskip(NEXT) | instid1(VALU_DEP_1)
	v_ashrrev_i32_e32 v4, 31, v4
	v_add_nc_u32_e32 v4, 32, v4
	s_delay_alu instid0(VALU_DEP_1) | instskip(NEXT) | instid1(VALU_DEP_1)
	v_add_min_u32_e64 v4, v5, -1, v4
	v_lshlrev_b64_e32 v[2:3], v4, v[2:3]
	s_delay_alu instid0(VALU_DEP_1) | instskip(NEXT) | instid1(VALU_DEP_1)
	v_min_u32_e32 v2, 1, v2
	v_dual_sub_nc_u32 v3, 32, v4 :: v_dual_bitop2_b32 v2, v3, v2 bitop3:0x54
	s_delay_alu instid0(VALU_DEP_1) | instskip(NEXT) | instid1(VALU_DEP_1)
	v_cvt_f32_i32_e32 v2, v2
	v_ldexp_f32 v2, v2, v3
	s_branch .LBB18_652
.LBB18_649:
	s_mov_b32 s20, -1
                                        ; implicit-def: $vgpr2
	s_branch .LBB18_658
.LBB18_650:
	s_mov_b32 s20, -1
                                        ; implicit-def: $vgpr2
	s_branch .LBB18_655
.LBB18_651:
	s_mov_b32 s20, -1
                                        ; implicit-def: $vgpr2
.LBB18_652:
	s_delay_alu instid0(SALU_CYCLE_1)
	s_and_not1_b32 vcc_lo, exec_lo, s20
	s_cbranch_vccnz .LBB18_654
; %bb.653:
	s_wait_loadcnt 0x0
	global_load_b32 v2, v[0:1], off
	s_wait_loadcnt 0x0
	v_cvt_f32_i32_e32 v2, v2
.LBB18_654:
	s_mov_b32 s20, 0
.LBB18_655:
	s_delay_alu instid0(SALU_CYCLE_1)
	s_and_not1_b32 vcc_lo, exec_lo, s20
	s_cbranch_vccnz .LBB18_657
; %bb.656:
	s_wait_loadcnt 0x0
	global_load_i16 v2, v[0:1], off
	s_wait_loadcnt 0x0
	v_cvt_f32_i32_e32 v2, v2
.LBB18_657:
	s_mov_b32 s20, 0
.LBB18_658:
	s_delay_alu instid0(SALU_CYCLE_1)
	s_and_not1_b32 vcc_lo, exec_lo, s20
	s_cbranch_vccnz .LBB18_664
; %bb.659:
	s_cmp_gt_i32 s0, 0
	s_mov_b32 s0, 0
	s_cbranch_scc0 .LBB18_661
; %bb.660:
	s_wait_loadcnt 0x0
	global_load_i8 v2, v[0:1], off
	s_wait_loadcnt 0x0
	v_cvt_f32_i32_e32 v2, v2
	s_branch .LBB18_662
.LBB18_661:
	s_mov_b32 s0, -1
                                        ; implicit-def: $vgpr2
.LBB18_662:
	s_delay_alu instid0(SALU_CYCLE_1)
	s_and_not1_b32 vcc_lo, exec_lo, s0
	s_cbranch_vccnz .LBB18_664
; %bb.663:
	global_load_u8 v0, v[0:1], off
	s_wait_loadcnt 0x0
	v_cvt_f32_ubyte0_e32 v2, v0
.LBB18_664:
	s_mov_b32 s20, -1
.LBB18_665:
	s_delay_alu instid0(SALU_CYCLE_1)
	s_and_not1_b32 vcc_lo, exec_lo, s20
	s_cbranch_vccnz .LBB18_681
; %bb.666:
	s_wait_xcnt 0x0
	v_mov_b32_e32 v0, 0x7f800000
	s_mov_b32 s20, exec_lo
	s_wait_loadcnt 0x0
	s_delay_alu instid0(VALU_DEP_2)
	v_cmpx_neq_f32_e32 0, v2
	s_cbranch_execz .LBB18_674
; %bb.667:
	v_mov_b32_e32 v0, 0x7fc00000
	s_mov_b32 s21, exec_lo
	v_cmpx_ngt_f32_e32 0, v2
	s_cbranch_execz .LBB18_673
; %bb.668:
                                        ; implicit-def: $vgpr0
	s_mov_b32 s0, exec_lo
	v_cmpx_ge_f32_e32 2.0, v2
	s_xor_b32 s22, exec_lo, s0
	s_cbranch_execz .LBB18_670
; %bb.669:
	s_mov_b32 s0, 0xa2a2e5b9
	v_mov_b32_e32 v3, 0.5
	v_mul_f32_e32 v11, 0x3fb8aa3b, v2
	v_mov_b64_e32 v[6:7], 0x3ad6e3ac293fd856
	v_mov_b64_e32 v[12:13], 0xbb8db2f12d3612e2
	;; [unrolled: 1-line block ×3, first 2 shown]
	v_pk_fma_f32 v[0:1], v[2:3], v[2:3], -2.0 op_sel_hi:[0,1,0]
	s_delay_alu instid0(VALU_DEP_1) | instskip(NEXT) | instid1(VALU_DEP_2)
	v_fmaak_f32 v4, s0, v1, 0x24199b15
	v_mul_f32_e32 v8, 0x251e770f, v0
	s_mov_b32 s0, 0xa51e770f
	v_pk_mul_f32 v[14:15], v[2:3], v[2:3] op_sel_hi:[0,1]
	s_delay_alu instid0(VALU_DEP_3) | instskip(NEXT) | instid1(VALU_DEP_2)
	v_fmaak_f32 v5, v1, v4, 0x22a2e5b9
	v_cmp_gt_f32_e32 vcc_lo, 0x800000, v15
	s_delay_alu instid0(VALU_DEP_2) | instskip(NEXT) | instid1(VALU_DEP_1)
	v_add_f32_e32 v5, 0xa58c275c, v5
	v_fma_f32 v4, v1, v5, -v4
	s_delay_alu instid0(VALU_DEP_1) | instskip(NEXT) | instid1(VALU_DEP_1)
	v_add_f32_e32 v4, 0x26f736c5, v4
	v_fma_f32 v5, v1, v4, -v5
	s_delay_alu instid0(VALU_DEP_1) | instskip(NEXT) | instid1(VALU_DEP_1)
	;; [unrolled: 3-line block ×18, first 2 shown]
	v_add_f32_e32 v5, 0xba1717e9, v5
	v_fma_f32 v9, v1, v5, -v4
	v_mov_b32_e32 v4, 0xa51e770f
	s_delay_alu instid0(VALU_DEP_2) | instskip(SKIP_2) | instid1(VALU_DEP_3)
	v_pk_add_f32 v[6:7], v[8:9], v[6:7]
	v_mov_b64_e32 v[8:9], s[0:1]
	v_cmp_ngt_f32_e64 s0, 0xc2ce8ed0, v2
	v_pk_fma_f32 v[4:5], v[0:1], v[6:7], v[4:5] neg_lo:[0,0,1] neg_hi:[0,0,1]
	s_delay_alu instid0(VALU_DEP_3) | instskip(NEXT) | instid1(VALU_DEP_2)
	v_pk_fma_f32 v[8:9], v[0:1], v[6:7], v[8:9]
	v_mov_b32_e32 v9, v5
	s_delay_alu instid0(VALU_DEP_1) | instskip(SKIP_2) | instid1(VALU_DEP_3)
	v_pk_add_f32 v[4:5], v[8:9], v[12:13]
	v_mov_b64_e32 v[8:9], 0x3c2ccb103102e09b
	v_mov_b64_e32 v[12:13], 0xc000000037bfc808
	v_pk_fma_f32 v[6:7], v[0:1], v[4:5], v[6:7] neg_lo:[0,0,1] neg_hi:[0,0,1]
	s_delay_alu instid0(VALU_DEP_1) | instskip(SKIP_1) | instid1(VALU_DEP_2)
	v_pk_add_f32 v[6:7], v[6:7], v[8:9]
	v_mov_b64_e32 v[8:9], 0xbcc274f8348815e7
	v_pk_fma_f32 v[4:5], v[0:1], v[6:7], v[4:5] neg_lo:[0,0,1] neg_hi:[0,0,1]
	s_delay_alu instid0(VALU_DEP_1) | instskip(SKIP_1) | instid1(VALU_DEP_2)
	v_pk_add_f32 v[4:5], v[4:5], v[8:9]
	v_mov_b64_e32 v[8:9], 0x3d49f45637bfc808
	v_pk_fma_f32 v[6:7], v[0:1], v[4:5], v[6:7] neg_lo:[0,0,1] neg_hi:[0,0,1]
	s_delay_alu instid0(VALU_DEP_1) | instskip(NEXT) | instid1(VALU_DEP_2)
	v_mov_b32_e32 v14, v6
	v_pk_add_f32 v[6:7], v[6:7], v[8:9]
	v_mov_b32_e32 v8, v0
	s_delay_alu instid0(VALU_DEP_3) | instskip(NEXT) | instid1(VALU_DEP_3)
	v_pk_add_f32 v[12:13], v[14:15], v[12:13]
	v_mov_b32_e32 v9, v7
	v_cndmask_b32_e64 v14, 0, 32, vcc_lo
	s_delay_alu instid0(VALU_DEP_2) | instskip(SKIP_3) | instid1(VALU_DEP_4)
	v_pk_fma_f32 v[4:5], v[12:13], v[8:9], v[4:5] neg_lo:[0,0,1] neg_hi:[0,0,1]
	v_mov_b64_e32 v[8:9], 0x3e2fbd643d135fb3
	v_rndne_f32_e32 v12, v11
	v_fma_f32 v13, 0x3fb8aa3b, v2, -v11
	v_pk_add_f32 v[4:5], v[4:5], v[16:17]
	s_delay_alu instid0(VALU_DEP_3) | instskip(NEXT) | instid1(VALU_DEP_3)
	v_sub_f32_e32 v11, v11, v12
	v_fmamk_f32 v13, v2, 0x32a5705f, v13
	s_delay_alu instid0(VALU_DEP_3) | instskip(NEXT) | instid1(VALU_DEP_1)
	v_pk_fma_f32 v[6:7], v[0:1], v[4:5], v[6:7] neg_lo:[0,0,1] neg_hi:[0,0,1]
	v_pk_add_f32 v[6:7], v[6:7], v[8:9]
	v_ldexp_f32 v8, v15, v14
	s_delay_alu instid0(VALU_DEP_4) | instskip(NEXT) | instid1(VALU_DEP_3)
	v_add_f32_e32 v9, v11, v13
	v_pk_fma_f32 v[4:5], v[0:1], v[6:7], v[4:5] neg_lo:[0,0,1] neg_hi:[0,0,1]
	s_delay_alu instid0(VALU_DEP_3) | instskip(NEXT) | instid1(VALU_DEP_2)
	v_log_f32_e32 v11, v8
	v_exp_f32_e32 v8, v9
	v_nop
	v_cvt_i32_f32_e32 v9, v12
	v_add_f32_e32 v5, 0xbe9bff5e, v5
	v_add_f32_e32 v4, 0x3eb046c4, v4
	s_delay_alu instid0(TRANS32_DEP_2) | instskip(NEXT) | instid1(VALU_DEP_3)
	v_mul_f32_e32 v12, 0x3f317217, v11
	v_fma_f32 v1, v1, v5, -v7
	v_ldexp_f32 v5, v8, v9
	s_delay_alu instid0(VALU_DEP_4) | instskip(NEXT) | instid1(VALU_DEP_4)
	v_mul_f32_e32 v0, v0, v4
	v_fma_f32 v8, 0x3f317217, v11, -v12
	v_mov_b32_e32 v4, 0xbf090b37
	v_add_f32_e32 v1, 0x3f2d4275, v1
	v_cndmask_b32_e64 v5, 0, v5, s0
	v_cmp_nlt_f32_e64 s0, 0x42b17218, v2
	v_fmamk_f32 v14, v11, 0x3377d1cf, v8
	v_mov_b32_e32 v8, v6
	v_pk_add_f32 v[0:1], v[0:1], v[6:7] neg_lo:[0,1] neg_hi:[0,1]
	s_delay_alu instid0(VALU_DEP_4) | instskip(NEXT) | instid1(VALU_DEP_4)
	v_cndmask_b32_e64 v9, 0x7f800000, v5, s0
	v_fmac_f32_e32 v14, 0x3f317217, v11
	s_delay_alu instid0(VALU_DEP_3) | instskip(SKIP_3) | instid1(VALU_DEP_4)
	v_pk_mul_f32 v[12:13], v[0:1], v[2:3]
	v_cndmask_b32_e64 v2, 0, 0x41b17218, vcc_lo
	v_cmp_gt_f32_e64 vcc_lo, 0x7f800000, |v11|
	v_pk_add_f32 v[0:1], v[0:1], v[4:5]
	v_pk_mul_f32 v[4:5], v[12:13], v[8:9]
	v_mov_b32_e32 v12, v3
	v_cndmask_b32_e32 v11, v11, v14, vcc_lo
	s_delay_alu instid0(VALU_DEP_4) | instskip(NEXT) | instid1(VALU_DEP_2)
	v_pk_add_f32 v[0:1], v[0:1], v[6:7] neg_lo:[0,1] neg_hi:[0,1]
	v_dual_mov_b32 v1, v5 :: v_dual_sub_f32 v13, v11, v2
                                        ; implicit-def: $vgpr2
	s_delay_alu instid0(VALU_DEP_1) | instskip(NEXT) | instid1(VALU_DEP_1)
	v_pk_mul_f32 v[0:1], v[12:13], v[0:1]
	v_sub_f32_e32 v0, v0, v1
	s_delay_alu instid0(VALU_DEP_1)
	v_mul_f32_e32 v0, v9, v0
.LBB18_670:
	s_and_not1_saveexec_b32 s22, s22
	s_cbranch_execz .LBB18_672
; %bb.671:
	v_div_scale_f32 v0, null, v2, v2, 0x41000000
	v_div_scale_f32 v4, vcc_lo, 0x41000000, v2, 0x41000000
	s_mov_b32 s0, 0x22c38d2e
	v_rcp_f32_e32 v1, v0
	v_nop
	s_delay_alu instid0(TRANS32_DEP_1) | instskip(NEXT) | instid1(VALU_DEP_1)
	v_fma_f32 v3, -v0, v1, 1.0
	v_fmac_f32_e32 v1, v3, v1
	s_delay_alu instid0(VALU_DEP_1) | instskip(NEXT) | instid1(VALU_DEP_1)
	v_mul_f32_e32 v3, v4, v1
	v_fma_f32 v5, -v0, v3, v4
	s_delay_alu instid0(VALU_DEP_1) | instskip(NEXT) | instid1(VALU_DEP_1)
	v_fmac_f32_e32 v3, v5, v1
	v_fma_f32 v0, -v0, v3, v4
	v_mul_f32_e32 v4, 0x4f800000, v2
	s_delay_alu instid0(VALU_DEP_2) | instskip(SKIP_1) | instid1(VALU_DEP_2)
	v_div_fmas_f32 v0, v0, v1, v3
	v_cmp_gt_f32_e32 vcc_lo, 0xf800000, v2
	v_div_fixup_f32 v0, v0, v2, 0x41000000
	s_delay_alu instid0(VALU_DEP_4) | instskip(NEXT) | instid1(VALU_DEP_2)
	v_cndmask_b32_e32 v2, v2, v4, vcc_lo
	v_add_f32_e32 v0, -2.0, v0
	s_delay_alu instid0(VALU_DEP_2) | instskip(NEXT) | instid1(VALU_DEP_1)
	v_sqrt_f32_e32 v4, v2
	v_fmaak_f32 v1, s0, v0, 0xa397f665
	s_delay_alu instid0(TRANS32_DEP_1) | instskip(NEXT) | instid1(VALU_DEP_2)
	v_dual_add_nc_u32 v6, 1, v4 :: v_dual_add_nc_u32 v5, -1, v4
	v_fmaak_f32 v3, v0, v1, 0xa2c38d2e
	s_delay_alu instid0(VALU_DEP_2) | instskip(NEXT) | instid1(VALU_DEP_2)
	v_dual_fma_f32 v8, -v6, v4, v2 :: v_dual_fma_f32 v7, -v5, v4, v2
	v_add_f32_e32 v3, 0x24704972, v3
	s_delay_alu instid0(VALU_DEP_2) | instskip(NEXT) | instid1(VALU_DEP_2)
	v_cmp_ge_f32_e64 s0, 0, v7
	v_fma_f32 v1, v0, v3, -v1
	s_delay_alu instid0(VALU_DEP_2) | instskip(NEXT) | instid1(VALU_DEP_2)
	v_cndmask_b32_e64 v4, v4, v5, s0
	v_add_f32_e32 v1, 0xa5417ca4, v1
	v_cmp_lt_f32_e64 s0, 0, v8
	s_delay_alu instid0(VALU_DEP_2) | instskip(NEXT) | instid1(VALU_DEP_2)
	v_fma_f32 v3, v0, v1, -v3
	v_cndmask_b32_e64 v4, v4, v6, s0
	s_delay_alu instid0(VALU_DEP_2) | instskip(NEXT) | instid1(VALU_DEP_1)
	v_add_f32_e32 v3, 0x261edfcb, v3
	v_fma_f32 v1, v0, v3, -v1
	s_delay_alu instid0(VALU_DEP_1) | instskip(NEXT) | instid1(VALU_DEP_1)
	v_add_f32_e32 v1, 0xa7053487, v1
	v_fma_f32 v3, v0, v1, -v3
	s_delay_alu instid0(VALU_DEP_1) | instskip(NEXT) | instid1(VALU_DEP_1)
	;; [unrolled: 3-line block ×19, first 2 shown]
	v_add_f32_e32 v1, 0xbd00cfb9, v1
	v_fma_f32 v0, v0, v1, -v3
	v_mul_f32_e32 v1, 0x37800000, v4
	s_delay_alu instid0(VALU_DEP_1) | instskip(SKIP_1) | instid1(VALU_DEP_2)
	v_dual_add_f32 v0, 0x401c2ded, v0 :: v_dual_cndmask_b32 v1, v4, v1
	v_cmp_class_f32_e64 vcc_lo, v2, 0x260
	v_dual_sub_f32 v0, v0, v3 :: v_dual_cndmask_b32 v1, v1, v2
	s_delay_alu instid0(VALU_DEP_1) | instskip(NEXT) | instid1(VALU_DEP_1)
	v_mul_f32_e32 v0, 0.5, v0
	v_div_scale_f32 v2, null, v1, v1, v0
	s_delay_alu instid0(VALU_DEP_1) | instskip(SKIP_1) | instid1(TRANS32_DEP_1)
	v_rcp_f32_e32 v3, v2
	v_nop
	v_fma_f32 v4, -v2, v3, 1.0
	s_delay_alu instid0(VALU_DEP_1) | instskip(SKIP_1) | instid1(VALU_DEP_1)
	v_fmac_f32_e32 v3, v4, v3
	v_div_scale_f32 v4, vcc_lo, v0, v1, v0
	v_mul_f32_e32 v5, v4, v3
	s_delay_alu instid0(VALU_DEP_1) | instskip(NEXT) | instid1(VALU_DEP_1)
	v_fma_f32 v6, -v2, v5, v4
	v_fmac_f32_e32 v5, v6, v3
	s_delay_alu instid0(VALU_DEP_1) | instskip(NEXT) | instid1(VALU_DEP_1)
	v_fma_f32 v2, -v2, v5, v4
	v_div_fmas_f32 v2, v2, v3, v5
	s_delay_alu instid0(VALU_DEP_1)
	v_div_fixup_f32 v0, v2, v1, v0
.LBB18_672:
	s_or_b32 exec_lo, exec_lo, s22
.LBB18_673:
	s_delay_alu instid0(SALU_CYCLE_1)
	s_or_b32 exec_lo, exec_lo, s21
.LBB18_674:
	s_delay_alu instid0(SALU_CYCLE_1) | instskip(SKIP_2) | instid1(SALU_CYCLE_1)
	s_or_b32 exec_lo, exec_lo, s20
	v_mul_lo_u32 v2, v10, s2
	s_and_b32 s20, s8, 0xff
	s_cmp_lt_i32 s20, 11
	s_delay_alu instid0(VALU_DEP_1) | instskip(NEXT) | instid1(VALU_DEP_1)
	v_ashrrev_i32_e32 v3, 31, v2
	v_add_nc_u64_e32 v[2:3], s[4:5], v[2:3]
	s_cbranch_scc1 .LBB18_682
; %bb.675:
	s_and_b32 s21, 0xffff, s20
	s_delay_alu instid0(SALU_CYCLE_1)
	s_cmp_gt_i32 s21, 25
	s_cbranch_scc0 .LBB18_683
; %bb.676:
	s_cmp_gt_i32 s21, 28
	s_cbranch_scc0 .LBB18_684
; %bb.677:
	;; [unrolled: 3-line block ×4, first 2 shown]
	s_mov_b32 s23, 0
	s_mov_b32 s0, -1
	s_cmp_eq_u32 s21, 46
	s_mov_b32 s22, 0
	s_cbranch_scc0 .LBB18_687
; %bb.680:
	v_bfe_u32 v1, v0, 16, 1
	v_cmp_o_f32_e32 vcc_lo, v0, v0
	s_mov_b32 s22, -1
	s_mov_b32 s0, 0
	s_delay_alu instid0(VALU_DEP_2) | instskip(NEXT) | instid1(VALU_DEP_1)
	v_add3_u32 v1, v0, v1, 0x7fff
	v_lshrrev_b32_e32 v1, 16, v1
	s_delay_alu instid0(VALU_DEP_1)
	v_cndmask_b32_e32 v1, 0x7fc0, v1, vcc_lo
	global_store_b32 v[2:3], v1, off
	s_branch .LBB18_687
.LBB18_681:
	s_mov_b32 s20, 0
	s_mov_b32 s0, s16
	s_branch .LBB18_798
.LBB18_682:
	s_mov_b32 s21, -1
	s_mov_b32 s22, 0
	s_mov_b32 s0, s16
	s_branch .LBB18_756
.LBB18_683:
	s_mov_b32 s23, -1
	s_mov_b32 s22, 0
	s_mov_b32 s0, s16
	s_branch .LBB18_714
.LBB18_684:
	s_mov_b32 s23, -1
	s_mov_b32 s22, 0
	s_mov_b32 s0, s16
	s_branch .LBB18_697
.LBB18_685:
	s_mov_b32 s23, -1
	s_mov_b32 s22, 0
	s_mov_b32 s0, s16
	s_branch .LBB18_693
.LBB18_686:
	s_mov_b32 s23, -1
	s_mov_b32 s22, 0
	s_mov_b32 s0, s16
.LBB18_687:
	s_and_b32 vcc_lo, exec_lo, s23
	s_cbranch_vccz .LBB18_692
; %bb.688:
	s_cmp_eq_u32 s21, 44
	s_mov_b32 s0, -1
	s_cbranch_scc0 .LBB18_692
; %bb.689:
	v_bfe_u32 v4, v0, 23, 8
	s_wait_xcnt 0x0
	v_mov_b32_e32 v1, 0xff
	s_mov_b32 s22, exec_lo
	s_delay_alu instid0(VALU_DEP_2)
	v_cmpx_ne_u32_e32 0xff, v4
	s_cbranch_execz .LBB18_691
; %bb.690:
	v_and_b32_e32 v1, 0x400000, v0
	v_and_or_b32 v4, 0x3fffff, v0, v4
	s_delay_alu instid0(VALU_DEP_2) | instskip(NEXT) | instid1(VALU_DEP_2)
	v_cmp_ne_u32_e32 vcc_lo, 0, v1
	v_cmp_ne_u32_e64 s0, 0, v4
	v_lshrrev_b32_e32 v1, 23, v0
	s_and_b32 s0, vcc_lo, s0
	s_delay_alu instid0(SALU_CYCLE_1) | instskip(NEXT) | instid1(VALU_DEP_1)
	v_cndmask_b32_e64 v4, 0, 1, s0
	v_add_nc_u32_e32 v1, v1, v4
.LBB18_691:
	s_or_b32 exec_lo, exec_lo, s22
	s_mov_b32 s22, -1
	s_mov_b32 s0, 0
	global_store_b8 v[2:3], v1, off
.LBB18_692:
	s_mov_b32 s23, 0
.LBB18_693:
	s_delay_alu instid0(SALU_CYCLE_1)
	s_and_b32 vcc_lo, exec_lo, s23
	s_cbranch_vccz .LBB18_696
; %bb.694:
	s_cmp_eq_u32 s21, 29
	s_mov_b32 s0, -1
	s_cbranch_scc0 .LBB18_696
; %bb.695:
	s_wait_xcnt 0x0
	v_trunc_f32_e32 v1, v0
	s_mov_b32 s22, -1
	s_mov_b32 s0, 0
	s_mov_b32 s23, 0
	s_delay_alu instid0(VALU_DEP_1) | instskip(NEXT) | instid1(VALU_DEP_1)
	v_mul_f32_e32 v4, 0x2f800000, v1
	v_floor_f32_e32 v4, v4
	s_delay_alu instid0(VALU_DEP_1) | instskip(SKIP_1) | instid1(VALU_DEP_2)
	v_fmamk_f32 v1, v4, 0xcf800000, v1
	v_cvt_u32_f32_e32 v5, v4
	v_cvt_u32_f32_e32 v4, v1
	global_store_b64 v[2:3], v[4:5], off
	s_branch .LBB18_697
.LBB18_696:
	s_mov_b32 s23, 0
.LBB18_697:
	s_delay_alu instid0(SALU_CYCLE_1)
	s_and_b32 vcc_lo, exec_lo, s23
	s_cbranch_vccz .LBB18_713
; %bb.698:
	s_cmp_lt_i32 s21, 27
	s_mov_b32 s22, -1
	s_cbranch_scc1 .LBB18_704
; %bb.699:
	s_wait_xcnt 0x0
	v_cvt_u32_f32_e32 v1, v0
	s_cmp_gt_i32 s21, 27
	s_cbranch_scc0 .LBB18_701
; %bb.700:
	s_mov_b32 s22, 0
	global_store_b32 v[2:3], v1, off
.LBB18_701:
	s_and_not1_b32 vcc_lo, exec_lo, s22
	s_cbranch_vccnz .LBB18_703
; %bb.702:
	global_store_b16 v[2:3], v1, off
.LBB18_703:
	s_mov_b32 s22, 0
.LBB18_704:
	s_delay_alu instid0(SALU_CYCLE_1)
	s_and_not1_b32 vcc_lo, exec_lo, s22
	s_cbranch_vccnz .LBB18_712
; %bb.705:
	s_wait_xcnt 0x0
	v_and_b32_e32 v1, 0x7fffffff, v0
	v_mov_b32_e32 v4, 0x80
	s_mov_b32 s22, exec_lo
	s_delay_alu instid0(VALU_DEP_2)
	v_cmpx_gt_u32_e32 0x43800000, v1
	s_cbranch_execz .LBB18_711
; %bb.706:
	v_cmp_lt_u32_e32 vcc_lo, 0x3bffffff, v1
	s_mov_b32 s23, 0
                                        ; implicit-def: $vgpr1
	s_and_saveexec_b32 s24, vcc_lo
	s_delay_alu instid0(SALU_CYCLE_1)
	s_xor_b32 s24, exec_lo, s24
	s_cbranch_execz .LBB18_813
; %bb.707:
	v_bfe_u32 v1, v0, 20, 1
	s_mov_b32 s23, exec_lo
	s_delay_alu instid0(VALU_DEP_1) | instskip(NEXT) | instid1(VALU_DEP_1)
	v_add3_u32 v1, v0, v1, 0x487ffff
	v_lshrrev_b32_e32 v1, 20, v1
	s_and_not1_saveexec_b32 s24, s24
	s_cbranch_execnz .LBB18_814
.LBB18_708:
	s_or_b32 exec_lo, exec_lo, s24
	v_mov_b32_e32 v4, 0
	s_and_saveexec_b32 s24, s23
.LBB18_709:
	v_lshrrev_b32_e32 v4, 24, v0
	s_delay_alu instid0(VALU_DEP_1)
	v_and_or_b32 v4, 0x80, v4, v1
.LBB18_710:
	s_or_b32 exec_lo, exec_lo, s24
.LBB18_711:
	s_delay_alu instid0(SALU_CYCLE_1)
	s_or_b32 exec_lo, exec_lo, s22
	global_store_b8 v[2:3], v4, off
.LBB18_712:
	s_mov_b32 s22, -1
.LBB18_713:
	s_mov_b32 s23, 0
.LBB18_714:
	s_delay_alu instid0(SALU_CYCLE_1)
	s_and_b32 vcc_lo, exec_lo, s23
	s_cbranch_vccz .LBB18_755
; %bb.715:
	s_cmp_gt_i32 s21, 22
	s_mov_b32 s23, -1
	s_cbranch_scc0 .LBB18_747
; %bb.716:
	s_cmp_lt_i32 s21, 24
	s_mov_b32 s22, -1
	s_cbranch_scc1 .LBB18_736
; %bb.717:
	s_cmp_gt_i32 s21, 24
	s_cbranch_scc0 .LBB18_725
; %bb.718:
	s_wait_xcnt 0x0
	v_and_b32_e32 v1, 0x7fffffff, v0
	v_mov_b32_e32 v4, 0x80
	s_mov_b32 s22, exec_lo
	s_delay_alu instid0(VALU_DEP_2)
	v_cmpx_gt_u32_e32 0x47800000, v1
	s_cbranch_execz .LBB18_724
; %bb.719:
	v_cmp_lt_u32_e32 vcc_lo, 0x37ffffff, v1
	s_mov_b32 s23, 0
                                        ; implicit-def: $vgpr1
	s_and_saveexec_b32 s24, vcc_lo
	s_delay_alu instid0(SALU_CYCLE_1)
	s_xor_b32 s24, exec_lo, s24
	s_cbranch_execz .LBB18_816
; %bb.720:
	v_bfe_u32 v1, v0, 21, 1
	s_mov_b32 s23, exec_lo
	s_delay_alu instid0(VALU_DEP_1) | instskip(NEXT) | instid1(VALU_DEP_1)
	v_add3_u32 v1, v0, v1, 0x88fffff
	v_lshrrev_b32_e32 v1, 21, v1
	s_and_not1_saveexec_b32 s24, s24
	s_cbranch_execnz .LBB18_817
.LBB18_721:
	s_or_b32 exec_lo, exec_lo, s24
	v_mov_b32_e32 v4, 0
	s_and_saveexec_b32 s24, s23
.LBB18_722:
	v_lshrrev_b32_e32 v4, 24, v0
	s_delay_alu instid0(VALU_DEP_1)
	v_and_or_b32 v4, 0x80, v4, v1
.LBB18_723:
	s_or_b32 exec_lo, exec_lo, s24
.LBB18_724:
	s_delay_alu instid0(SALU_CYCLE_1)
	s_or_b32 exec_lo, exec_lo, s22
	s_mov_b32 s22, 0
	global_store_b8 v[2:3], v4, off
.LBB18_725:
	s_and_b32 vcc_lo, exec_lo, s22
	s_cbranch_vccz .LBB18_735
; %bb.726:
	s_wait_xcnt 0x0
	v_and_b32_e32 v4, 0x7fffffff, v0
	s_mov_b32 s22, exec_lo
                                        ; implicit-def: $vgpr1
	s_delay_alu instid0(VALU_DEP_1)
	v_cmpx_gt_u32_e32 0x43f00000, v4
	s_xor_b32 s22, exec_lo, s22
	s_cbranch_execz .LBB18_732
; %bb.727:
	s_mov_b32 s23, exec_lo
                                        ; implicit-def: $vgpr1
	v_cmpx_lt_u32_e32 0x3c7fffff, v4
	s_xor_b32 s23, exec_lo, s23
; %bb.728:
	v_bfe_u32 v1, v0, 20, 1
	s_delay_alu instid0(VALU_DEP_1) | instskip(NEXT) | instid1(VALU_DEP_1)
	v_add3_u32 v1, v0, v1, 0x407ffff
	v_and_b32_e32 v4, 0xff00000, v1
	v_lshrrev_b32_e32 v1, 20, v1
	s_delay_alu instid0(VALU_DEP_2) | instskip(NEXT) | instid1(VALU_DEP_2)
	v_cmp_ne_u32_e32 vcc_lo, 0x7f00000, v4
	v_cndmask_b32_e32 v1, 0x7e, v1, vcc_lo
; %bb.729:
	s_and_not1_saveexec_b32 s23, s23
; %bb.730:
	v_add_f32_e64 v1, 0x46800000, |v0|
; %bb.731:
	s_or_b32 exec_lo, exec_lo, s23
                                        ; implicit-def: $vgpr4
.LBB18_732:
	s_and_not1_saveexec_b32 s22, s22
; %bb.733:
	v_mov_b32_e32 v1, 0x7f
	v_cmp_lt_u32_e32 vcc_lo, 0x7f800000, v4
	s_delay_alu instid0(VALU_DEP_2)
	v_cndmask_b32_e32 v1, 0x7e, v1, vcc_lo
; %bb.734:
	s_or_b32 exec_lo, exec_lo, s22
	v_lshrrev_b32_e32 v4, 24, v0
	s_delay_alu instid0(VALU_DEP_1)
	v_and_or_b32 v1, 0x80, v4, v1
	global_store_b8 v[2:3], v1, off
.LBB18_735:
	s_mov_b32 s22, 0
.LBB18_736:
	s_delay_alu instid0(SALU_CYCLE_1)
	s_and_not1_b32 vcc_lo, exec_lo, s22
	s_cbranch_vccnz .LBB18_746
; %bb.737:
	s_wait_xcnt 0x0
	v_and_b32_e32 v4, 0x7fffffff, v0
	s_mov_b32 s22, exec_lo
                                        ; implicit-def: $vgpr1
	s_delay_alu instid0(VALU_DEP_1)
	v_cmpx_gt_u32_e32 0x47800000, v4
	s_xor_b32 s22, exec_lo, s22
	s_cbranch_execz .LBB18_743
; %bb.738:
	s_mov_b32 s23, exec_lo
                                        ; implicit-def: $vgpr1
	v_cmpx_lt_u32_e32 0x387fffff, v4
	s_xor_b32 s23, exec_lo, s23
; %bb.739:
	v_bfe_u32 v1, v0, 21, 1
	s_delay_alu instid0(VALU_DEP_1) | instskip(NEXT) | instid1(VALU_DEP_1)
	v_add3_u32 v1, v0, v1, 0x80fffff
	v_lshrrev_b32_e32 v1, 21, v1
; %bb.740:
	s_and_not1_saveexec_b32 s23, s23
; %bb.741:
	v_add_f32_e64 v1, 0x43000000, |v0|
; %bb.742:
	s_or_b32 exec_lo, exec_lo, s23
                                        ; implicit-def: $vgpr4
.LBB18_743:
	s_and_not1_saveexec_b32 s22, s22
; %bb.744:
	v_mov_b32_e32 v1, 0x7f
	v_cmp_lt_u32_e32 vcc_lo, 0x7f800000, v4
	s_delay_alu instid0(VALU_DEP_2)
	v_cndmask_b32_e32 v1, 0x7c, v1, vcc_lo
; %bb.745:
	s_or_b32 exec_lo, exec_lo, s22
	v_lshrrev_b32_e32 v4, 24, v0
	s_delay_alu instid0(VALU_DEP_1)
	v_and_or_b32 v1, 0x80, v4, v1
	global_store_b8 v[2:3], v1, off
.LBB18_746:
	s_mov_b32 s23, 0
	s_mov_b32 s22, -1
.LBB18_747:
	s_and_not1_b32 vcc_lo, exec_lo, s23
	s_cbranch_vccnz .LBB18_755
; %bb.748:
	s_cmp_gt_i32 s21, 14
	s_mov_b32 s23, -1
	s_cbranch_scc0 .LBB18_752
; %bb.749:
	s_cmp_eq_u32 s21, 15
	s_mov_b32 s0, -1
	s_cbranch_scc0 .LBB18_751
; %bb.750:
	s_wait_xcnt 0x0
	v_bfe_u32 v1, v0, 16, 1
	v_cmp_o_f32_e32 vcc_lo, v0, v0
	s_mov_b32 s22, -1
	s_mov_b32 s0, 0
	s_delay_alu instid0(VALU_DEP_2) | instskip(NEXT) | instid1(VALU_DEP_1)
	v_add3_u32 v1, v0, v1, 0x7fff
	v_lshrrev_b32_e32 v1, 16, v1
	s_delay_alu instid0(VALU_DEP_1)
	v_cndmask_b32_e32 v1, 0x7fc0, v1, vcc_lo
	global_store_b16 v[2:3], v1, off
.LBB18_751:
	s_mov_b32 s23, 0
.LBB18_752:
	s_delay_alu instid0(SALU_CYCLE_1)
	s_and_b32 vcc_lo, exec_lo, s23
	s_cbranch_vccz .LBB18_755
; %bb.753:
	s_cmp_eq_u32 s21, 11
	s_mov_b32 s0, -1
	s_cbranch_scc0 .LBB18_755
; %bb.754:
	v_cmp_neq_f32_e32 vcc_lo, 0, v0
	s_mov_b32 s0, 0
	s_mov_b32 s22, -1
	s_wait_xcnt 0x0
	v_cndmask_b32_e64 v1, 0, 1, vcc_lo
	global_store_b8 v[2:3], v1, off
.LBB18_755:
	s_mov_b32 s21, 0
.LBB18_756:
	s_delay_alu instid0(SALU_CYCLE_1)
	s_and_b32 vcc_lo, exec_lo, s21
	s_cbranch_vccz .LBB18_795
; %bb.757:
	s_and_b32 s20, 0xffff, s20
	s_mov_b32 s21, -1
	s_cmp_lt_i32 s20, 5
	s_cbranch_scc1 .LBB18_778
; %bb.758:
	s_cmp_lt_i32 s20, 8
	s_cbranch_scc1 .LBB18_768
; %bb.759:
	;; [unrolled: 3-line block ×3, first 2 shown]
	s_cmp_gt_i32 s20, 9
	s_cbranch_scc0 .LBB18_762
; %bb.761:
	s_wait_xcnt 0x0
	v_cvt_f64_f32_e32 v[4:5], v0
	v_mov_b32_e32 v6, 0
	s_mov_b32 s21, 0
	s_delay_alu instid0(VALU_DEP_1)
	v_mov_b32_e32 v7, v6
	global_store_b128 v[2:3], v[4:7], off
.LBB18_762:
	s_and_not1_b32 vcc_lo, exec_lo, s21
	s_cbranch_vccnz .LBB18_764
; %bb.763:
	s_wait_xcnt 0x0
	v_mov_b32_e32 v1, 0
	global_store_b64 v[2:3], v[0:1], off
.LBB18_764:
	s_mov_b32 s21, 0
.LBB18_765:
	s_delay_alu instid0(SALU_CYCLE_1)
	s_and_not1_b32 vcc_lo, exec_lo, s21
	s_cbranch_vccnz .LBB18_767
; %bb.766:
	s_wait_xcnt 0x0
	v_cvt_f16_f32_e32 v1, v0
	s_delay_alu instid0(VALU_DEP_1)
	v_and_b32_e32 v1, 0xffff, v1
	global_store_b32 v[2:3], v1, off
.LBB18_767:
	s_mov_b32 s21, 0
.LBB18_768:
	s_delay_alu instid0(SALU_CYCLE_1)
	s_and_not1_b32 vcc_lo, exec_lo, s21
	s_cbranch_vccnz .LBB18_777
; %bb.769:
	s_cmp_lt_i32 s20, 6
	s_mov_b32 s21, -1
	s_cbranch_scc1 .LBB18_775
; %bb.770:
	s_cmp_gt_i32 s20, 6
	s_cbranch_scc0 .LBB18_772
; %bb.771:
	s_wait_xcnt 0x0
	v_cvt_f64_f32_e32 v[4:5], v0
	s_mov_b32 s21, 0
	global_store_b64 v[2:3], v[4:5], off
.LBB18_772:
	s_and_not1_b32 vcc_lo, exec_lo, s21
	s_cbranch_vccnz .LBB18_774
; %bb.773:
	global_store_b32 v[2:3], v0, off
.LBB18_774:
	s_mov_b32 s21, 0
.LBB18_775:
	s_delay_alu instid0(SALU_CYCLE_1)
	s_and_not1_b32 vcc_lo, exec_lo, s21
	s_cbranch_vccnz .LBB18_777
; %bb.776:
	s_wait_xcnt 0x0
	v_cvt_f16_f32_e32 v1, v0
	global_store_b16 v[2:3], v1, off
.LBB18_777:
	s_mov_b32 s21, 0
.LBB18_778:
	s_delay_alu instid0(SALU_CYCLE_1)
	s_and_not1_b32 vcc_lo, exec_lo, s21
	s_cbranch_vccnz .LBB18_794
; %bb.779:
	s_cmp_lt_i32 s20, 2
	s_mov_b32 s21, -1
	s_cbranch_scc1 .LBB18_789
; %bb.780:
	s_cmp_lt_i32 s20, 3
	s_cbranch_scc1 .LBB18_786
; %bb.781:
	s_cmp_gt_i32 s20, 3
	s_cbranch_scc0 .LBB18_783
; %bb.782:
	s_wait_xcnt 0x0
	v_trunc_f32_e32 v1, v0
	s_mov_b32 s21, 0
	s_delay_alu instid0(VALU_DEP_1) | instskip(NEXT) | instid1(VALU_DEP_1)
	v_mul_f32_e64 v4, 0x2f800000, |v1|
	v_floor_f32_e32 v5, v4
	v_ashrrev_i32_e32 v4, 31, v1
	s_delay_alu instid0(VALU_DEP_2) | instskip(SKIP_1) | instid1(VALU_DEP_3)
	v_fma_f32 v6, 0xcf800000, v5, |v1|
	v_cvt_u32_f32_e32 v1, v5
	v_mov_b32_e32 v5, v4
	s_delay_alu instid0(VALU_DEP_3) | instskip(NEXT) | instid1(VALU_DEP_3)
	v_cvt_u32_f32_e32 v6, v6
	v_xor_b32_e32 v7, v1, v4
	s_delay_alu instid0(VALU_DEP_2) | instskip(NEXT) | instid1(VALU_DEP_1)
	v_xor_b32_e32 v6, v6, v4
	v_sub_nc_u64_e32 v[4:5], v[6:7], v[4:5]
	global_store_b64 v[2:3], v[4:5], off
.LBB18_783:
	s_and_not1_b32 vcc_lo, exec_lo, s21
	s_cbranch_vccnz .LBB18_785
; %bb.784:
	s_wait_xcnt 0x0
	v_cvt_i32_f32_e32 v1, v0
	global_store_b32 v[2:3], v1, off
.LBB18_785:
	s_mov_b32 s21, 0
.LBB18_786:
	s_delay_alu instid0(SALU_CYCLE_1)
	s_and_not1_b32 vcc_lo, exec_lo, s21
	s_cbranch_vccnz .LBB18_788
; %bb.787:
	s_wait_xcnt 0x0
	v_cvt_i32_f32_e32 v1, v0
	global_store_b16 v[2:3], v1, off
.LBB18_788:
	s_mov_b32 s21, 0
.LBB18_789:
	s_delay_alu instid0(SALU_CYCLE_1)
	s_and_not1_b32 vcc_lo, exec_lo, s21
	s_cbranch_vccnz .LBB18_794
; %bb.790:
	s_cmp_gt_i32 s20, 0
	s_mov_b32 s20, -1
	s_cbranch_scc0 .LBB18_792
; %bb.791:
	s_wait_xcnt 0x0
	v_cvt_i32_f32_e32 v1, v0
	s_mov_b32 s20, 0
	global_store_b8 v[2:3], v1, off
.LBB18_792:
	s_and_not1_b32 vcc_lo, exec_lo, s20
	s_cbranch_vccnz .LBB18_794
; %bb.793:
	s_wait_xcnt 0x0
	v_trunc_f32_e32 v0, v0
	s_delay_alu instid0(VALU_DEP_1) | instskip(NEXT) | instid1(VALU_DEP_1)
	v_mul_f32_e64 v1, 0x2f800000, |v0|
	v_floor_f32_e32 v1, v1
	s_delay_alu instid0(VALU_DEP_1) | instskip(SKIP_1) | instid1(VALU_DEP_2)
	v_fma_f32 v1, 0xcf800000, v1, |v0|
	v_ashrrev_i32_e32 v0, 31, v0
	v_cvt_u32_f32_e32 v1, v1
	s_delay_alu instid0(VALU_DEP_1) | instskip(NEXT) | instid1(VALU_DEP_1)
	v_xor_b32_e32 v1, v1, v0
	v_sub_nc_u32_e32 v0, v1, v0
	global_store_b8 v[2:3], v0, off
.LBB18_794:
	s_mov_b32 s22, -1
.LBB18_795:
	s_delay_alu instid0(SALU_CYCLE_1)
	s_and_not1_b32 vcc_lo, exec_lo, s22
	s_cbranch_vccnz .LBB18_797
; %bb.796:
	v_add_nc_u32_e32 v10, 0x80, v10
	s_mov_b32 s20, -1
	s_branch .LBB18_799
.LBB18_797:
	s_mov_b32 s20, 0
.LBB18_798:
                                        ; implicit-def: $vgpr10
.LBB18_799:
	s_and_not1_b32 s21, s16, exec_lo
	s_and_b32 s0, s0, exec_lo
	s_and_not1_b32 s22, s15, exec_lo
	s_and_b32 s23, s19, exec_lo
	s_or_b32 s19, s21, s0
	s_or_b32 s0, s22, s23
	s_or_not1_b32 s20, s20, exec_lo
.LBB18_800:
	s_wait_xcnt 0x0
	s_or_b32 exec_lo, exec_lo, s18
	s_mov_b32 s21, 0
	s_mov_b32 s22, 0
	;; [unrolled: 1-line block ×3, first 2 shown]
                                        ; implicit-def: $vgpr0_vgpr1
                                        ; implicit-def: $vgpr2
	s_and_saveexec_b32 s18, s20
	s_cbranch_execz .LBB18_885
; %bb.801:
	v_cmp_gt_i32_e32 vcc_lo, s12, v10
	s_mov_b32 s20, 0
	s_mov_b32 s21, s0
	;; [unrolled: 1-line block ×3, first 2 shown]
                                        ; implicit-def: $vgpr0_vgpr1
                                        ; implicit-def: $vgpr2
	s_and_saveexec_b32 s12, vcc_lo
	s_cbranch_execz .LBB18_884
; %bb.802:
	v_mul_lo_u32 v0, v10, s3
	s_and_b32 s20, 0xffff, s9
	s_delay_alu instid0(SALU_CYCLE_1) | instskip(NEXT) | instid1(VALU_DEP_1)
	s_cmp_lt_i32 s20, 11
	v_ashrrev_i32_e32 v1, 31, v0
	s_delay_alu instid0(VALU_DEP_1)
	v_add_nc_u64_e32 v[0:1], s[6:7], v[0:1]
	s_cbranch_scc1 .LBB18_809
; %bb.803:
	s_cmp_gt_i32 s20, 25
	s_cbranch_scc0 .LBB18_810
; %bb.804:
	s_cmp_gt_i32 s20, 28
	s_cbranch_scc0 .LBB18_811
	;; [unrolled: 3-line block ×4, first 2 shown]
; %bb.807:
	s_cmp_eq_u32 s20, 46
	s_cbranch_scc0 .LBB18_818
; %bb.808:
	s_wait_loadcnt 0x0
	global_load_b32 v2, v[0:1], off
	s_mov_b32 s21, 0
	s_mov_b32 s23, -1
	s_wait_loadcnt 0x0
	v_lshlrev_b32_e32 v2, 16, v2
	s_branch .LBB18_820
.LBB18_809:
	s_mov_b32 s20, -1
	s_mov_b32 s21, s0
                                        ; implicit-def: $vgpr2
	s_branch .LBB18_883
.LBB18_810:
	s_mov_b32 s24, -1
	s_mov_b32 s21, s0
                                        ; implicit-def: $vgpr2
	s_branch .LBB18_849
.LBB18_811:
	s_mov_b32 s24, -1
	s_mov_b32 s21, s0
                                        ; implicit-def: $vgpr2
	s_branch .LBB18_830
.LBB18_812:
	s_mov_b32 s24, -1
	s_mov_b32 s21, s0
                                        ; implicit-def: $vgpr2
	s_branch .LBB18_825
.LBB18_813:
	s_and_not1_saveexec_b32 s24, s24
	s_cbranch_execz .LBB18_708
.LBB18_814:
	v_add_f32_e64 v1, 0x46000000, |v0|
	s_and_not1_b32 s23, s23, exec_lo
	s_delay_alu instid0(VALU_DEP_1) | instskip(NEXT) | instid1(VALU_DEP_1)
	v_and_b32_e32 v1, 0xff, v1
	v_cmp_ne_u32_e32 vcc_lo, 0, v1
	s_and_b32 s25, vcc_lo, exec_lo
	s_delay_alu instid0(SALU_CYCLE_1)
	s_or_b32 s23, s23, s25
	s_or_b32 exec_lo, exec_lo, s24
	v_mov_b32_e32 v4, 0
	s_and_saveexec_b32 s24, s23
	s_cbranch_execnz .LBB18_709
	s_branch .LBB18_710
.LBB18_815:
	s_mov_b32 s24, -1
	s_mov_b32 s21, s0
	s_branch .LBB18_819
.LBB18_816:
	s_and_not1_saveexec_b32 s24, s24
	s_cbranch_execz .LBB18_721
.LBB18_817:
	v_add_f32_e64 v1, 0x42800000, |v0|
	s_and_not1_b32 s23, s23, exec_lo
	s_delay_alu instid0(VALU_DEP_1) | instskip(NEXT) | instid1(VALU_DEP_1)
	v_and_b32_e32 v1, 0xff, v1
	v_cmp_ne_u32_e32 vcc_lo, 0, v1
	s_and_b32 s25, vcc_lo, exec_lo
	s_delay_alu instid0(SALU_CYCLE_1)
	s_or_b32 s23, s23, s25
	s_or_b32 exec_lo, exec_lo, s24
	v_mov_b32_e32 v4, 0
	s_and_saveexec_b32 s24, s23
	s_cbranch_execnz .LBB18_722
	s_branch .LBB18_723
.LBB18_818:
	s_mov_b32 s21, -1
.LBB18_819:
                                        ; implicit-def: $vgpr2
.LBB18_820:
	s_and_b32 vcc_lo, exec_lo, s24
	s_cbranch_vccz .LBB18_824
; %bb.821:
	s_cmp_eq_u32 s20, 44
	s_cbranch_scc0 .LBB18_823
; %bb.822:
	s_wait_loadcnt 0x0
	global_load_u8 v2, v[0:1], off
	s_mov_b32 s21, 0
	s_mov_b32 s23, -1
	s_wait_loadcnt 0x0
	v_lshlrev_b32_e32 v3, 23, v2
	v_cmp_ne_u32_e32 vcc_lo, 0xff, v2
	s_delay_alu instid0(VALU_DEP_2) | instskip(SKIP_1) | instid1(VALU_DEP_2)
	v_cndmask_b32_e32 v3, 0x7f800001, v3, vcc_lo
	v_cmp_ne_u32_e32 vcc_lo, 0, v2
	v_cndmask_b32_e32 v2, 0x400000, v3, vcc_lo
	s_branch .LBB18_824
.LBB18_823:
	s_mov_b32 s21, -1
                                        ; implicit-def: $vgpr2
.LBB18_824:
	s_mov_b32 s24, 0
.LBB18_825:
	s_delay_alu instid0(SALU_CYCLE_1)
	s_and_b32 vcc_lo, exec_lo, s24
	s_cbranch_vccz .LBB18_829
; %bb.826:
	s_cmp_eq_u32 s20, 29
	s_cbranch_scc0 .LBB18_828
; %bb.827:
	s_wait_loadcnt 0x0
	global_load_b64 v[2:3], v[0:1], off
	s_mov_b32 s21, 0
	s_mov_b32 s23, -1
	s_mov_b32 s24, 0
	s_wait_loadcnt 0x0
	v_clz_i32_u32_e32 v4, v3
	s_delay_alu instid0(VALU_DEP_1) | instskip(NEXT) | instid1(VALU_DEP_1)
	v_min_u32_e32 v4, 32, v4
	v_lshlrev_b64_e32 v[2:3], v4, v[2:3]
	s_delay_alu instid0(VALU_DEP_1) | instskip(NEXT) | instid1(VALU_DEP_1)
	v_min_u32_e32 v2, 1, v2
	v_dual_sub_nc_u32 v3, 32, v4 :: v_dual_bitop2_b32 v2, v3, v2 bitop3:0x54
	s_delay_alu instid0(VALU_DEP_1) | instskip(NEXT) | instid1(VALU_DEP_1)
	v_cvt_f32_u32_e32 v2, v2
	v_ldexp_f32 v2, v2, v3
	s_branch .LBB18_830
.LBB18_828:
	s_mov_b32 s21, -1
                                        ; implicit-def: $vgpr2
.LBB18_829:
	s_mov_b32 s24, 0
.LBB18_830:
	s_delay_alu instid0(SALU_CYCLE_1)
	s_and_b32 vcc_lo, exec_lo, s24
	s_cbranch_vccz .LBB18_848
; %bb.831:
	s_cmp_lt_i32 s20, 27
	s_cbranch_scc1 .LBB18_834
; %bb.832:
	s_cmp_gt_i32 s20, 27
	s_cbranch_scc0 .LBB18_835
; %bb.833:
	s_wait_loadcnt 0x0
	global_load_b32 v2, v[0:1], off
	s_mov_b32 s23, 0
	s_wait_loadcnt 0x0
	v_cvt_f32_u32_e32 v2, v2
	s_branch .LBB18_836
.LBB18_834:
	s_mov_b32 s23, -1
                                        ; implicit-def: $vgpr2
	s_branch .LBB18_839
.LBB18_835:
	s_mov_b32 s23, -1
                                        ; implicit-def: $vgpr2
.LBB18_836:
	s_delay_alu instid0(SALU_CYCLE_1)
	s_and_not1_b32 vcc_lo, exec_lo, s23
	s_cbranch_vccnz .LBB18_838
; %bb.837:
	s_wait_loadcnt 0x0
	global_load_u16 v2, v[0:1], off
	s_wait_loadcnt 0x0
	v_cvt_f32_u32_e32 v2, v2
.LBB18_838:
	s_mov_b32 s23, 0
.LBB18_839:
	s_delay_alu instid0(SALU_CYCLE_1)
	s_and_not1_b32 vcc_lo, exec_lo, s23
	s_cbranch_vccnz .LBB18_847
; %bb.840:
	global_load_u8 v3, v[0:1], off
	s_mov_b32 s23, 0
	s_mov_b32 s24, exec_lo
	s_wait_loadcnt 0x0
	v_cmpx_lt_i16_e32 0x7f, v3
	s_xor_b32 s24, exec_lo, s24
	s_cbranch_execz .LBB18_861
; %bb.841:
	s_mov_b32 s23, -1
	s_mov_b32 s25, exec_lo
	v_cmpx_eq_u16_e32 0x80, v3
; %bb.842:
	s_xor_b32 s23, exec_lo, -1
; %bb.843:
	s_or_b32 exec_lo, exec_lo, s25
	s_delay_alu instid0(SALU_CYCLE_1)
	s_and_b32 s23, s23, exec_lo
	s_or_saveexec_b32 s24, s24
	v_mov_b32_e32 v2, 0x7f800001
	s_xor_b32 exec_lo, exec_lo, s24
	s_cbranch_execnz .LBB18_862
.LBB18_844:
	s_or_b32 exec_lo, exec_lo, s24
	s_and_saveexec_b32 s24, s23
	s_cbranch_execz .LBB18_846
.LBB18_845:
	v_and_b32_e32 v2, 0xffff, v3
	s_delay_alu instid0(VALU_DEP_1) | instskip(SKIP_1) | instid1(VALU_DEP_2)
	v_and_b32_e32 v4, 7, v2
	v_bfe_u32 v7, v2, 3, 4
	v_clz_i32_u32_e32 v5, v4
	s_delay_alu instid0(VALU_DEP_2) | instskip(NEXT) | instid1(VALU_DEP_2)
	v_cmp_eq_u32_e32 vcc_lo, 0, v7
	v_min_u32_e32 v5, 32, v5
	s_delay_alu instid0(VALU_DEP_1) | instskip(NEXT) | instid1(VALU_DEP_1)
	v_subrev_nc_u32_e32 v6, 28, v5
	v_dual_lshlrev_b32 v2, v6, v2 :: v_dual_sub_nc_u32 v5, 29, v5
	s_delay_alu instid0(VALU_DEP_1) | instskip(NEXT) | instid1(VALU_DEP_1)
	v_dual_lshlrev_b32 v3, 24, v3 :: v_dual_bitop2_b32 v2, 7, v2 bitop3:0x40
	v_dual_cndmask_b32 v5, v7, v5 :: v_dual_cndmask_b32 v2, v4, v2
	s_delay_alu instid0(VALU_DEP_2) | instskip(NEXT) | instid1(VALU_DEP_2)
	v_and_b32_e32 v3, 0x80000000, v3
	v_lshl_add_u32 v4, v5, 23, 0x3b800000
	s_delay_alu instid0(VALU_DEP_3) | instskip(NEXT) | instid1(VALU_DEP_1)
	v_lshlrev_b32_e32 v2, 20, v2
	v_or3_b32 v2, v3, v4, v2
.LBB18_846:
	s_or_b32 exec_lo, exec_lo, s24
.LBB18_847:
	s_mov_b32 s23, -1
.LBB18_848:
	s_mov_b32 s24, 0
.LBB18_849:
	s_delay_alu instid0(SALU_CYCLE_1)
	s_and_b32 vcc_lo, exec_lo, s24
	s_cbranch_vccz .LBB18_882
; %bb.850:
	s_cmp_gt_i32 s20, 22
	s_cbranch_scc0 .LBB18_860
; %bb.851:
	s_cmp_lt_i32 s20, 24
	s_cbranch_scc1 .LBB18_863
; %bb.852:
	s_cmp_gt_i32 s20, 24
	s_cbranch_scc0 .LBB18_864
; %bb.853:
	global_load_u8 v3, v[0:1], off
	s_mov_b32 s23, exec_lo
	s_wait_loadcnt 0x0
	v_cmpx_lt_i16_e32 0x7f, v3
	s_xor_b32 s23, exec_lo, s23
	s_cbranch_execz .LBB18_876
; %bb.854:
	s_mov_b32 s22, -1
	s_mov_b32 s24, exec_lo
	v_cmpx_eq_u16_e32 0x80, v3
; %bb.855:
	s_xor_b32 s22, exec_lo, -1
; %bb.856:
	s_or_b32 exec_lo, exec_lo, s24
	s_delay_alu instid0(SALU_CYCLE_1)
	s_and_b32 s22, s22, exec_lo
	s_or_saveexec_b32 s23, s23
	v_mov_b32_e32 v2, 0x7f800001
	s_xor_b32 exec_lo, exec_lo, s23
	s_cbranch_execnz .LBB18_877
.LBB18_857:
	s_or_b32 exec_lo, exec_lo, s23
	s_and_saveexec_b32 s23, s22
	s_cbranch_execz .LBB18_859
.LBB18_858:
	v_and_b32_e32 v2, 0xffff, v3
	s_delay_alu instid0(VALU_DEP_1) | instskip(SKIP_1) | instid1(VALU_DEP_2)
	v_and_b32_e32 v4, 3, v2
	v_bfe_u32 v7, v2, 2, 5
	v_clz_i32_u32_e32 v5, v4
	s_delay_alu instid0(VALU_DEP_2) | instskip(NEXT) | instid1(VALU_DEP_2)
	v_cmp_eq_u32_e32 vcc_lo, 0, v7
	v_min_u32_e32 v5, 32, v5
	s_delay_alu instid0(VALU_DEP_1) | instskip(NEXT) | instid1(VALU_DEP_1)
	v_subrev_nc_u32_e32 v6, 29, v5
	v_dual_lshlrev_b32 v2, v6, v2 :: v_dual_sub_nc_u32 v5, 30, v5
	s_delay_alu instid0(VALU_DEP_1) | instskip(NEXT) | instid1(VALU_DEP_1)
	v_dual_lshlrev_b32 v3, 24, v3 :: v_dual_bitop2_b32 v2, 3, v2 bitop3:0x40
	v_dual_cndmask_b32 v5, v7, v5 :: v_dual_cndmask_b32 v2, v4, v2
	s_delay_alu instid0(VALU_DEP_2) | instskip(NEXT) | instid1(VALU_DEP_2)
	v_and_b32_e32 v3, 0x80000000, v3
	v_lshl_add_u32 v4, v5, 23, 0x37800000
	s_delay_alu instid0(VALU_DEP_3) | instskip(NEXT) | instid1(VALU_DEP_1)
	v_lshlrev_b32_e32 v2, 21, v2
	v_or3_b32 v2, v3, v4, v2
.LBB18_859:
	s_or_b32 exec_lo, exec_lo, s23
	s_mov_b32 s22, 0
	s_branch .LBB18_865
.LBB18_860:
	s_mov_b32 s22, -1
                                        ; implicit-def: $vgpr2
	s_branch .LBB18_871
.LBB18_861:
	s_or_saveexec_b32 s24, s24
	v_mov_b32_e32 v2, 0x7f800001
	s_xor_b32 exec_lo, exec_lo, s24
	s_cbranch_execz .LBB18_844
.LBB18_862:
	v_cmp_ne_u16_e32 vcc_lo, 0, v3
	v_mov_b32_e32 v2, 0
	s_and_not1_b32 s23, s23, exec_lo
	s_and_b32 s25, vcc_lo, exec_lo
	s_delay_alu instid0(SALU_CYCLE_1)
	s_or_b32 s23, s23, s25
	s_or_b32 exec_lo, exec_lo, s24
	s_and_saveexec_b32 s24, s23
	s_cbranch_execnz .LBB18_845
	s_branch .LBB18_846
.LBB18_863:
	s_mov_b32 s22, -1
                                        ; implicit-def: $vgpr2
	s_branch .LBB18_868
.LBB18_864:
	s_mov_b32 s22, -1
                                        ; implicit-def: $vgpr2
.LBB18_865:
	s_delay_alu instid0(SALU_CYCLE_1)
	s_and_b32 vcc_lo, exec_lo, s22
	s_cbranch_vccz .LBB18_867
; %bb.866:
	s_wait_loadcnt 0x0
	global_load_u8 v2, v[0:1], off
	s_wait_loadcnt 0x0
	v_lshlrev_b32_e32 v2, 24, v2
	s_delay_alu instid0(VALU_DEP_1) | instskip(NEXT) | instid1(VALU_DEP_1)
	v_and_b32_e32 v3, 0x7f000000, v2
	v_clz_i32_u32_e32 v4, v3
	v_cmp_ne_u32_e32 vcc_lo, 0, v3
	v_add_nc_u32_e32 v6, 0x1000000, v3
	s_delay_alu instid0(VALU_DEP_3) | instskip(NEXT) | instid1(VALU_DEP_1)
	v_min_u32_e32 v4, 32, v4
	v_sub_nc_u32_e64 v4, v4, 4 clamp
	s_delay_alu instid0(VALU_DEP_1) | instskip(NEXT) | instid1(VALU_DEP_1)
	v_dual_lshlrev_b32 v5, v4, v3 :: v_dual_lshlrev_b32 v4, 23, v4
	v_lshrrev_b32_e32 v5, 4, v5
	s_delay_alu instid0(VALU_DEP_1) | instskip(NEXT) | instid1(VALU_DEP_1)
	v_dual_sub_nc_u32 v4, v5, v4 :: v_dual_ashrrev_i32 v5, 8, v6
	v_add_nc_u32_e32 v4, 0x3c000000, v4
	s_delay_alu instid0(VALU_DEP_1) | instskip(NEXT) | instid1(VALU_DEP_1)
	v_and_or_b32 v4, 0x7f800000, v5, v4
	v_cndmask_b32_e32 v3, 0, v4, vcc_lo
	s_delay_alu instid0(VALU_DEP_1)
	v_and_or_b32 v2, 0x80000000, v2, v3
.LBB18_867:
	s_mov_b32 s22, 0
.LBB18_868:
	s_delay_alu instid0(SALU_CYCLE_1)
	s_and_not1_b32 vcc_lo, exec_lo, s22
	s_cbranch_vccnz .LBB18_870
; %bb.869:
	s_wait_loadcnt 0x0
	global_load_u8 v2, v[0:1], off
	s_wait_loadcnt 0x0
	v_lshlrev_b32_e32 v3, 25, v2
	v_lshlrev_b16 v2, 8, v2
	s_delay_alu instid0(VALU_DEP_1) | instskip(SKIP_1) | instid1(VALU_DEP_2)
	v_and_or_b32 v5, 0x7f00, v2, 0.5
	v_bfe_i32 v2, v2, 0, 16
	v_dual_add_f32 v5, -0.5, v5 :: v_dual_lshrrev_b32 v4, 4, v3
	v_cmp_gt_u32_e32 vcc_lo, 0x8000000, v3
	s_delay_alu instid0(VALU_DEP_2) | instskip(NEXT) | instid1(VALU_DEP_1)
	v_or_b32_e32 v4, 0x70000000, v4
	v_mul_f32_e32 v4, 0x7800000, v4
	s_delay_alu instid0(VALU_DEP_1) | instskip(NEXT) | instid1(VALU_DEP_1)
	v_cndmask_b32_e32 v3, v4, v5, vcc_lo
	v_and_or_b32 v2, 0x80000000, v2, v3
.LBB18_870:
	s_mov_b32 s22, 0
	s_mov_b32 s23, -1
.LBB18_871:
	s_and_not1_b32 vcc_lo, exec_lo, s22
	s_mov_b32 s22, 0
	s_cbranch_vccnz .LBB18_882
; %bb.872:
	s_cmp_gt_i32 s20, 14
	s_cbranch_scc0 .LBB18_875
; %bb.873:
	s_cmp_eq_u32 s20, 15
	s_cbranch_scc0 .LBB18_878
; %bb.874:
	s_wait_loadcnt 0x0
	global_load_u16 v2, v[0:1], off
	s_mov_b32 s21, 0
	s_mov_b32 s23, -1
	s_wait_loadcnt 0x0
	v_lshlrev_b32_e32 v2, 16, v2
	s_branch .LBB18_880
.LBB18_875:
	s_mov_b32 s22, -1
	s_branch .LBB18_879
.LBB18_876:
	s_or_saveexec_b32 s23, s23
	v_mov_b32_e32 v2, 0x7f800001
	s_xor_b32 exec_lo, exec_lo, s23
	s_cbranch_execz .LBB18_857
.LBB18_877:
	v_cmp_ne_u16_e32 vcc_lo, 0, v3
	v_mov_b32_e32 v2, 0
	s_and_not1_b32 s22, s22, exec_lo
	s_and_b32 s24, vcc_lo, exec_lo
	s_delay_alu instid0(SALU_CYCLE_1)
	s_or_b32 s22, s22, s24
	s_or_b32 exec_lo, exec_lo, s23
	s_and_saveexec_b32 s23, s22
	s_cbranch_execnz .LBB18_858
	s_branch .LBB18_859
.LBB18_878:
	s_mov_b32 s21, -1
.LBB18_879:
                                        ; implicit-def: $vgpr2
.LBB18_880:
	s_and_b32 vcc_lo, exec_lo, s22
	s_mov_b32 s22, 0
	s_cbranch_vccz .LBB18_882
; %bb.881:
	s_cmp_lg_u32 s20, 11
	s_mov_b32 s22, -1
	s_cselect_b32 s20, -1, 0
	s_and_not1_b32 s21, s21, exec_lo
	s_and_b32 s20, s20, exec_lo
	s_delay_alu instid0(SALU_CYCLE_1)
	s_or_b32 s21, s21, s20
.LBB18_882:
	s_mov_b32 s20, 0
.LBB18_883:
	s_and_not1_b32 s25, s0, exec_lo
	s_and_b32 s21, s21, exec_lo
	s_and_b32 s23, s23, exec_lo
	s_and_b32 s24, s20, exec_lo
	s_and_b32 s20, s22, exec_lo
	s_or_b32 s21, s25, s21
.LBB18_884:
	s_wait_xcnt 0x0
	s_or_b32 exec_lo, exec_lo, s12
	s_delay_alu instid0(SALU_CYCLE_1)
	s_and_not1_b32 s0, s0, exec_lo
	s_and_b32 s12, s21, exec_lo
	s_and_b32 s23, s23, exec_lo
	;; [unrolled: 1-line block ×4, first 2 shown]
	s_or_b32 s0, s0, s12
.LBB18_885:
	s_or_b32 exec_lo, exec_lo, s18
	s_delay_alu instid0(SALU_CYCLE_1)
	s_and_not1_b32 s12, s16, exec_lo
	s_and_b32 s16, s19, exec_lo
	s_and_b32 s0, s0, exec_lo
	s_or_b32 s16, s12, s16
	s_and_not1_b32 s12, s15, exec_lo
	s_and_b32 s20, s23, exec_lo
	s_and_b32 s19, s22, exec_lo
	;; [unrolled: 1-line block ×3, first 2 shown]
	s_or_b32 s15, s12, s0
.LBB18_886:
	s_or_b32 exec_lo, exec_lo, s17
	s_delay_alu instid0(SALU_CYCLE_1)
	s_and_not1_b32 s0, s11, exec_lo
	s_and_b32 s11, s16, exec_lo
	s_and_not1_b32 s12, s13, exec_lo
	s_and_b32 s13, s15, exec_lo
	s_or_b32 s11, s0, s11
	s_and_b32 s0, s20, exec_lo
	s_and_b32 s16, s19, exec_lo
	;; [unrolled: 1-line block ×3, first 2 shown]
	s_or_b32 s13, s12, s13
	s_or_b32 exec_lo, exec_lo, s14
	s_mov_b32 s12, 0
	s_and_saveexec_b32 s14, s13
	s_cbranch_execz .LBB18_270
.LBB18_887:
	s_mov_b32 s12, exec_lo
	s_and_not1_b32 s15, s15, exec_lo
	s_trap 2
	s_or_b32 exec_lo, exec_lo, s14
	s_and_saveexec_b32 s13, s15
	s_delay_alu instid0(SALU_CYCLE_1)
	s_xor_b32 s13, exec_lo, s13
	s_cbranch_execnz .LBB18_271
.LBB18_888:
	s_or_b32 exec_lo, exec_lo, s13
	s_and_saveexec_b32 s13, s16
	s_cbranch_execz .LBB18_934
.LBB18_889:
	s_sext_i32_i16 s14, s9
	s_delay_alu instid0(SALU_CYCLE_1)
	s_cmp_lt_i32 s14, 5
	s_cbranch_scc1 .LBB18_894
; %bb.890:
	s_cmp_lt_i32 s14, 8
	s_cbranch_scc1 .LBB18_895
; %bb.891:
	;; [unrolled: 3-line block ×3, first 2 shown]
	s_cmp_gt_i32 s14, 9
	s_cbranch_scc0 .LBB18_897
; %bb.893:
	s_wait_loadcnt 0x0
	global_load_b64 v[2:3], v[0:1], off
	s_mov_b32 s14, 0
	s_wait_loadcnt 0x0
	v_cvt_f32_f64_e32 v2, v[2:3]
	s_branch .LBB18_898
.LBB18_894:
                                        ; implicit-def: $vgpr2
	s_branch .LBB18_915
.LBB18_895:
                                        ; implicit-def: $vgpr2
	s_branch .LBB18_904
.LBB18_896:
	s_mov_b32 s14, -1
                                        ; implicit-def: $vgpr2
	s_branch .LBB18_901
.LBB18_897:
	s_mov_b32 s14, -1
                                        ; implicit-def: $vgpr2
.LBB18_898:
	s_delay_alu instid0(SALU_CYCLE_1)
	s_and_not1_b32 vcc_lo, exec_lo, s14
	s_cbranch_vccnz .LBB18_900
; %bb.899:
	s_wait_loadcnt 0x0
	global_load_b32 v2, v[0:1], off
.LBB18_900:
	s_mov_b32 s14, 0
.LBB18_901:
	s_delay_alu instid0(SALU_CYCLE_1)
	s_and_not1_b32 vcc_lo, exec_lo, s14
	s_cbranch_vccnz .LBB18_903
; %bb.902:
	s_wait_loadcnt 0x0
	global_load_b32 v2, v[0:1], off
	s_wait_loadcnt 0x0
	v_cvt_f32_f16_e32 v2, v2
.LBB18_903:
	s_cbranch_execnz .LBB18_914
.LBB18_904:
	s_sext_i32_i16 s14, s9
	s_delay_alu instid0(SALU_CYCLE_1)
	s_cmp_lt_i32 s14, 6
	s_cbranch_scc1 .LBB18_907
; %bb.905:
	s_cmp_gt_i32 s14, 6
	s_cbranch_scc0 .LBB18_908
; %bb.906:
	s_wait_loadcnt 0x0
	global_load_b64 v[2:3], v[0:1], off
	s_mov_b32 s14, 0
	s_wait_loadcnt 0x0
	v_cvt_f32_f64_e32 v2, v[2:3]
	s_branch .LBB18_909
.LBB18_907:
	s_mov_b32 s14, -1
                                        ; implicit-def: $vgpr2
	s_branch .LBB18_912
.LBB18_908:
	s_mov_b32 s14, -1
                                        ; implicit-def: $vgpr2
.LBB18_909:
	s_delay_alu instid0(SALU_CYCLE_1)
	s_and_not1_b32 vcc_lo, exec_lo, s14
	s_cbranch_vccnz .LBB18_911
; %bb.910:
	s_wait_loadcnt 0x0
	global_load_b32 v2, v[0:1], off
.LBB18_911:
	s_mov_b32 s14, 0
.LBB18_912:
	s_delay_alu instid0(SALU_CYCLE_1)
	s_and_not1_b32 vcc_lo, exec_lo, s14
	s_cbranch_vccnz .LBB18_914
; %bb.913:
	s_wait_loadcnt 0x0
	global_load_u16 v2, v[0:1], off
	s_wait_loadcnt 0x0
	v_cvt_f32_f16_e32 v2, v2
.LBB18_914:
	s_cbranch_execnz .LBB18_933
.LBB18_915:
	s_sext_i32_i16 s14, s9
	s_delay_alu instid0(SALU_CYCLE_1)
	s_cmp_lt_i32 s14, 2
	s_cbranch_scc1 .LBB18_919
; %bb.916:
	s_cmp_lt_i32 s14, 3
	s_cbranch_scc1 .LBB18_920
; %bb.917:
	s_cmp_gt_i32 s14, 3
	s_cbranch_scc0 .LBB18_921
; %bb.918:
	s_wait_loadcnt 0x0
	global_load_b64 v[2:3], v[0:1], off
	s_mov_b32 s14, 0
	s_wait_loadcnt 0x0
	v_xor_b32_e32 v4, v2, v3
	v_cls_i32_e32 v5, v3
	s_delay_alu instid0(VALU_DEP_2) | instskip(NEXT) | instid1(VALU_DEP_1)
	v_ashrrev_i32_e32 v4, 31, v4
	v_add_nc_u32_e32 v4, 32, v4
	s_delay_alu instid0(VALU_DEP_1) | instskip(NEXT) | instid1(VALU_DEP_1)
	v_add_min_u32_e64 v4, v5, -1, v4
	v_lshlrev_b64_e32 v[2:3], v4, v[2:3]
	s_delay_alu instid0(VALU_DEP_1) | instskip(NEXT) | instid1(VALU_DEP_1)
	v_min_u32_e32 v2, 1, v2
	v_dual_sub_nc_u32 v3, 32, v4 :: v_dual_bitop2_b32 v2, v3, v2 bitop3:0x54
	s_delay_alu instid0(VALU_DEP_1) | instskip(NEXT) | instid1(VALU_DEP_1)
	v_cvt_f32_i32_e32 v2, v2
	v_ldexp_f32 v2, v2, v3
	s_branch .LBB18_922
.LBB18_919:
                                        ; implicit-def: $vgpr2
	s_branch .LBB18_928
.LBB18_920:
	s_mov_b32 s14, -1
                                        ; implicit-def: $vgpr2
	s_branch .LBB18_925
.LBB18_921:
	s_mov_b32 s14, -1
                                        ; implicit-def: $vgpr2
.LBB18_922:
	s_delay_alu instid0(SALU_CYCLE_1)
	s_and_not1_b32 vcc_lo, exec_lo, s14
	s_cbranch_vccnz .LBB18_924
; %bb.923:
	s_wait_loadcnt 0x0
	global_load_b32 v2, v[0:1], off
	s_wait_loadcnt 0x0
	v_cvt_f32_i32_e32 v2, v2
.LBB18_924:
	s_mov_b32 s14, 0
.LBB18_925:
	s_delay_alu instid0(SALU_CYCLE_1)
	s_and_not1_b32 vcc_lo, exec_lo, s14
	s_cbranch_vccnz .LBB18_927
; %bb.926:
	s_wait_loadcnt 0x0
	global_load_i16 v2, v[0:1], off
	s_wait_loadcnt 0x0
	v_cvt_f32_i32_e32 v2, v2
.LBB18_927:
	s_cbranch_execnz .LBB18_933
.LBB18_928:
	s_sext_i32_i16 s14, s9
	s_delay_alu instid0(SALU_CYCLE_1)
	s_cmp_gt_i32 s14, 0
	s_mov_b32 s14, 0
	s_cbranch_scc0 .LBB18_930
; %bb.929:
	s_wait_loadcnt 0x0
	global_load_i8 v2, v[0:1], off
	s_wait_loadcnt 0x0
	v_cvt_f32_i32_e32 v2, v2
	s_branch .LBB18_931
.LBB18_930:
	s_mov_b32 s14, -1
                                        ; implicit-def: $vgpr2
.LBB18_931:
	s_delay_alu instid0(SALU_CYCLE_1)
	s_and_not1_b32 vcc_lo, exec_lo, s14
	s_cbranch_vccnz .LBB18_933
; %bb.932:
	global_load_u8 v0, v[0:1], off
	s_wait_loadcnt 0x0
	v_cvt_f32_ubyte0_e32 v2, v0
.LBB18_933:
	s_or_b32 s0, s0, exec_lo
.LBB18_934:
	s_wait_xcnt 0x0
	s_or_b32 exec_lo, exec_lo, s13
	s_mov_b32 s16, 0
	s_mov_b32 s15, 0
                                        ; implicit-def: $sgpr14
                                        ; implicit-def: $vgpr4_vgpr5
                                        ; implicit-def: $vgpr0
	s_and_saveexec_b32 s13, s0
	s_cbranch_execz .LBB18_950
; %bb.935:
	v_mov_b32_e32 v0, 0x7f800000
	s_mov_b32 s14, exec_lo
	s_wait_loadcnt 0x0
	s_delay_alu instid0(VALU_DEP_2)
	v_cmpx_neq_f32_e32 0, v2
	s_cbranch_execz .LBB18_943
; %bb.936:
	v_mov_b32_e32 v0, 0x7fc00000
	s_mov_b32 s15, exec_lo
	v_cmpx_ngt_f32_e32 0, v2
	s_cbranch_execz .LBB18_942
; %bb.937:
                                        ; implicit-def: $vgpr0
	s_mov_b32 s0, exec_lo
	v_cmpx_ge_f32_e32 2.0, v2
	s_xor_b32 s16, exec_lo, s0
	s_cbranch_execz .LBB18_939
; %bb.938:
	s_mov_b32 s0, 0xa2a2e5b9
	v_mov_b32_e32 v3, 0.5
	v_mul_f32_e32 v11, 0x3fb8aa3b, v2
	v_mov_b64_e32 v[6:7], 0x3ad6e3ac293fd856
	v_mov_b64_e32 v[12:13], 0xbb8db2f12d3612e2
	;; [unrolled: 1-line block ×3, first 2 shown]
	v_pk_fma_f32 v[0:1], v[2:3], v[2:3], -2.0 op_sel_hi:[0,1,0]
	s_delay_alu instid0(VALU_DEP_1) | instskip(NEXT) | instid1(VALU_DEP_2)
	v_fmaak_f32 v4, s0, v1, 0x24199b15
	v_mul_f32_e32 v8, 0x251e770f, v0
	s_mov_b32 s0, 0xa51e770f
	v_pk_mul_f32 v[14:15], v[2:3], v[2:3] op_sel_hi:[0,1]
	s_delay_alu instid0(VALU_DEP_3) | instskip(NEXT) | instid1(VALU_DEP_2)
	v_fmaak_f32 v5, v1, v4, 0x22a2e5b9
	v_cmp_gt_f32_e32 vcc_lo, 0x800000, v15
	s_delay_alu instid0(VALU_DEP_2) | instskip(NEXT) | instid1(VALU_DEP_1)
	v_add_f32_e32 v5, 0xa58c275c, v5
	v_fma_f32 v4, v1, v5, -v4
	s_delay_alu instid0(VALU_DEP_1) | instskip(NEXT) | instid1(VALU_DEP_1)
	v_add_f32_e32 v4, 0x26f736c5, v4
	v_fma_f32 v5, v1, v4, -v5
	s_delay_alu instid0(VALU_DEP_1) | instskip(NEXT) | instid1(VALU_DEP_1)
	;; [unrolled: 3-line block ×18, first 2 shown]
	v_add_f32_e32 v5, 0xba1717e9, v5
	v_fma_f32 v9, v1, v5, -v4
	v_mov_b32_e32 v4, 0xa51e770f
	s_delay_alu instid0(VALU_DEP_2) | instskip(SKIP_2) | instid1(VALU_DEP_3)
	v_pk_add_f32 v[6:7], v[8:9], v[6:7]
	v_mov_b64_e32 v[8:9], s[0:1]
	v_cmp_ngt_f32_e64 s0, 0xc2ce8ed0, v2
	v_pk_fma_f32 v[4:5], v[0:1], v[6:7], v[4:5] neg_lo:[0,0,1] neg_hi:[0,0,1]
	s_delay_alu instid0(VALU_DEP_3) | instskip(NEXT) | instid1(VALU_DEP_2)
	v_pk_fma_f32 v[8:9], v[0:1], v[6:7], v[8:9]
	v_mov_b32_e32 v9, v5
	s_delay_alu instid0(VALU_DEP_1) | instskip(SKIP_2) | instid1(VALU_DEP_3)
	v_pk_add_f32 v[4:5], v[8:9], v[12:13]
	v_mov_b64_e32 v[8:9], 0x3c2ccb103102e09b
	v_mov_b64_e32 v[12:13], 0xc000000037bfc808
	v_pk_fma_f32 v[6:7], v[0:1], v[4:5], v[6:7] neg_lo:[0,0,1] neg_hi:[0,0,1]
	s_delay_alu instid0(VALU_DEP_1) | instskip(SKIP_1) | instid1(VALU_DEP_2)
	v_pk_add_f32 v[6:7], v[6:7], v[8:9]
	v_mov_b64_e32 v[8:9], 0xbcc274f8348815e7
	v_pk_fma_f32 v[4:5], v[0:1], v[6:7], v[4:5] neg_lo:[0,0,1] neg_hi:[0,0,1]
	s_delay_alu instid0(VALU_DEP_1) | instskip(SKIP_1) | instid1(VALU_DEP_2)
	v_pk_add_f32 v[4:5], v[4:5], v[8:9]
	v_mov_b64_e32 v[8:9], 0x3d49f45637bfc808
	v_pk_fma_f32 v[6:7], v[0:1], v[4:5], v[6:7] neg_lo:[0,0,1] neg_hi:[0,0,1]
	s_delay_alu instid0(VALU_DEP_1) | instskip(NEXT) | instid1(VALU_DEP_2)
	v_mov_b32_e32 v14, v6
	v_pk_add_f32 v[6:7], v[6:7], v[8:9]
	v_mov_b32_e32 v8, v0
	s_delay_alu instid0(VALU_DEP_3) | instskip(NEXT) | instid1(VALU_DEP_3)
	v_pk_add_f32 v[12:13], v[14:15], v[12:13]
	v_mov_b32_e32 v9, v7
	v_cndmask_b32_e64 v14, 0, 32, vcc_lo
	s_delay_alu instid0(VALU_DEP_2) | instskip(SKIP_3) | instid1(VALU_DEP_4)
	v_pk_fma_f32 v[4:5], v[12:13], v[8:9], v[4:5] neg_lo:[0,0,1] neg_hi:[0,0,1]
	v_mov_b64_e32 v[8:9], 0x3e2fbd643d135fb3
	v_rndne_f32_e32 v12, v11
	v_fma_f32 v13, 0x3fb8aa3b, v2, -v11
	v_pk_add_f32 v[4:5], v[4:5], v[16:17]
	s_delay_alu instid0(VALU_DEP_3) | instskip(NEXT) | instid1(VALU_DEP_3)
	v_sub_f32_e32 v11, v11, v12
	v_fmamk_f32 v13, v2, 0x32a5705f, v13
	s_delay_alu instid0(VALU_DEP_3) | instskip(NEXT) | instid1(VALU_DEP_1)
	v_pk_fma_f32 v[6:7], v[0:1], v[4:5], v[6:7] neg_lo:[0,0,1] neg_hi:[0,0,1]
	v_pk_add_f32 v[6:7], v[6:7], v[8:9]
	v_ldexp_f32 v8, v15, v14
	s_delay_alu instid0(VALU_DEP_4) | instskip(NEXT) | instid1(VALU_DEP_3)
	v_add_f32_e32 v9, v11, v13
	v_pk_fma_f32 v[4:5], v[0:1], v[6:7], v[4:5] neg_lo:[0,0,1] neg_hi:[0,0,1]
	s_delay_alu instid0(VALU_DEP_3) | instskip(NEXT) | instid1(VALU_DEP_2)
	v_log_f32_e32 v11, v8
	v_exp_f32_e32 v8, v9
	v_nop
	v_cvt_i32_f32_e32 v9, v12
	v_add_f32_e32 v5, 0xbe9bff5e, v5
	v_add_f32_e32 v4, 0x3eb046c4, v4
	s_delay_alu instid0(TRANS32_DEP_2) | instskip(NEXT) | instid1(VALU_DEP_3)
	v_mul_f32_e32 v12, 0x3f317217, v11
	v_fma_f32 v1, v1, v5, -v7
	v_ldexp_f32 v5, v8, v9
	s_delay_alu instid0(VALU_DEP_4) | instskip(NEXT) | instid1(VALU_DEP_4)
	v_mul_f32_e32 v0, v0, v4
	v_fma_f32 v8, 0x3f317217, v11, -v12
	v_mov_b32_e32 v4, 0xbf090b37
	v_add_f32_e32 v1, 0x3f2d4275, v1
	v_cndmask_b32_e64 v5, 0, v5, s0
	v_cmp_nlt_f32_e64 s0, 0x42b17218, v2
	v_fmamk_f32 v14, v11, 0x3377d1cf, v8
	v_mov_b32_e32 v8, v6
	v_pk_add_f32 v[0:1], v[0:1], v[6:7] neg_lo:[0,1] neg_hi:[0,1]
	s_delay_alu instid0(VALU_DEP_4) | instskip(NEXT) | instid1(VALU_DEP_4)
	v_cndmask_b32_e64 v9, 0x7f800000, v5, s0
	v_fmac_f32_e32 v14, 0x3f317217, v11
	s_delay_alu instid0(VALU_DEP_3) | instskip(SKIP_3) | instid1(VALU_DEP_4)
	v_pk_mul_f32 v[12:13], v[0:1], v[2:3]
	v_cndmask_b32_e64 v2, 0, 0x41b17218, vcc_lo
	v_cmp_gt_f32_e64 vcc_lo, 0x7f800000, |v11|
	v_pk_add_f32 v[0:1], v[0:1], v[4:5]
	v_pk_mul_f32 v[4:5], v[12:13], v[8:9]
	v_mov_b32_e32 v12, v3
	v_cndmask_b32_e32 v11, v11, v14, vcc_lo
	s_delay_alu instid0(VALU_DEP_4) | instskip(NEXT) | instid1(VALU_DEP_2)
	v_pk_add_f32 v[0:1], v[0:1], v[6:7] neg_lo:[0,1] neg_hi:[0,1]
	v_dual_mov_b32 v1, v5 :: v_dual_sub_f32 v13, v11, v2
                                        ; implicit-def: $vgpr2
	s_delay_alu instid0(VALU_DEP_1) | instskip(NEXT) | instid1(VALU_DEP_1)
	v_pk_mul_f32 v[0:1], v[12:13], v[0:1]
	v_sub_f32_e32 v0, v0, v1
	s_delay_alu instid0(VALU_DEP_1)
	v_mul_f32_e32 v0, v9, v0
.LBB18_939:
	s_and_not1_saveexec_b32 s16, s16
	s_cbranch_execz .LBB18_941
; %bb.940:
	v_div_scale_f32 v0, null, v2, v2, 0x41000000
	v_div_scale_f32 v4, vcc_lo, 0x41000000, v2, 0x41000000
	s_mov_b32 s0, 0x22c38d2e
	v_rcp_f32_e32 v1, v0
	v_nop
	s_delay_alu instid0(TRANS32_DEP_1) | instskip(NEXT) | instid1(VALU_DEP_1)
	v_fma_f32 v3, -v0, v1, 1.0
	v_fmac_f32_e32 v1, v3, v1
	s_delay_alu instid0(VALU_DEP_1) | instskip(NEXT) | instid1(VALU_DEP_1)
	v_mul_f32_e32 v3, v4, v1
	v_fma_f32 v5, -v0, v3, v4
	s_delay_alu instid0(VALU_DEP_1) | instskip(NEXT) | instid1(VALU_DEP_1)
	v_fmac_f32_e32 v3, v5, v1
	v_fma_f32 v0, -v0, v3, v4
	v_mul_f32_e32 v4, 0x4f800000, v2
	s_delay_alu instid0(VALU_DEP_2) | instskip(SKIP_1) | instid1(VALU_DEP_2)
	v_div_fmas_f32 v0, v0, v1, v3
	v_cmp_gt_f32_e32 vcc_lo, 0xf800000, v2
	v_div_fixup_f32 v0, v0, v2, 0x41000000
	s_delay_alu instid0(VALU_DEP_4) | instskip(NEXT) | instid1(VALU_DEP_2)
	v_cndmask_b32_e32 v2, v2, v4, vcc_lo
	v_add_f32_e32 v0, -2.0, v0
	s_delay_alu instid0(VALU_DEP_2) | instskip(NEXT) | instid1(VALU_DEP_1)
	v_sqrt_f32_e32 v4, v2
	v_fmaak_f32 v1, s0, v0, 0xa397f665
	s_delay_alu instid0(TRANS32_DEP_1) | instskip(NEXT) | instid1(VALU_DEP_2)
	v_dual_add_nc_u32 v6, 1, v4 :: v_dual_add_nc_u32 v5, -1, v4
	v_fmaak_f32 v3, v0, v1, 0xa2c38d2e
	s_delay_alu instid0(VALU_DEP_2) | instskip(NEXT) | instid1(VALU_DEP_2)
	v_dual_fma_f32 v8, -v6, v4, v2 :: v_dual_fma_f32 v7, -v5, v4, v2
	v_add_f32_e32 v3, 0x24704972, v3
	s_delay_alu instid0(VALU_DEP_2) | instskip(NEXT) | instid1(VALU_DEP_2)
	v_cmp_ge_f32_e64 s0, 0, v7
	v_fma_f32 v1, v0, v3, -v1
	s_delay_alu instid0(VALU_DEP_2) | instskip(NEXT) | instid1(VALU_DEP_2)
	v_cndmask_b32_e64 v4, v4, v5, s0
	v_add_f32_e32 v1, 0xa5417ca4, v1
	v_cmp_lt_f32_e64 s0, 0, v8
	s_delay_alu instid0(VALU_DEP_2) | instskip(NEXT) | instid1(VALU_DEP_2)
	v_fma_f32 v3, v0, v1, -v3
	v_cndmask_b32_e64 v4, v4, v6, s0
	s_delay_alu instid0(VALU_DEP_2) | instskip(NEXT) | instid1(VALU_DEP_1)
	v_add_f32_e32 v3, 0x261edfcb, v3
	v_fma_f32 v1, v0, v3, -v1
	s_delay_alu instid0(VALU_DEP_1) | instskip(NEXT) | instid1(VALU_DEP_1)
	v_add_f32_e32 v1, 0xa7053487, v1
	v_fma_f32 v3, v0, v1, -v3
	s_delay_alu instid0(VALU_DEP_1) | instskip(NEXT) | instid1(VALU_DEP_1)
	;; [unrolled: 3-line block ×19, first 2 shown]
	v_add_f32_e32 v1, 0xbd00cfb9, v1
	v_fma_f32 v0, v0, v1, -v3
	v_mul_f32_e32 v1, 0x37800000, v4
	s_delay_alu instid0(VALU_DEP_1) | instskip(SKIP_1) | instid1(VALU_DEP_2)
	v_dual_add_f32 v0, 0x401c2ded, v0 :: v_dual_cndmask_b32 v1, v4, v1
	v_cmp_class_f32_e64 vcc_lo, v2, 0x260
	v_dual_sub_f32 v0, v0, v3 :: v_dual_cndmask_b32 v1, v1, v2
	s_delay_alu instid0(VALU_DEP_1) | instskip(NEXT) | instid1(VALU_DEP_1)
	v_mul_f32_e32 v0, 0.5, v0
	v_div_scale_f32 v2, null, v1, v1, v0
	s_delay_alu instid0(VALU_DEP_1) | instskip(SKIP_1) | instid1(TRANS32_DEP_1)
	v_rcp_f32_e32 v3, v2
	v_nop
	v_fma_f32 v4, -v2, v3, 1.0
	s_delay_alu instid0(VALU_DEP_1) | instskip(SKIP_1) | instid1(VALU_DEP_1)
	v_fmac_f32_e32 v3, v4, v3
	v_div_scale_f32 v4, vcc_lo, v0, v1, v0
	v_mul_f32_e32 v5, v4, v3
	s_delay_alu instid0(VALU_DEP_1) | instskip(NEXT) | instid1(VALU_DEP_1)
	v_fma_f32 v6, -v2, v5, v4
	v_fmac_f32_e32 v5, v6, v3
	s_delay_alu instid0(VALU_DEP_1) | instskip(NEXT) | instid1(VALU_DEP_1)
	v_fma_f32 v2, -v2, v5, v4
	v_div_fmas_f32 v2, v2, v3, v5
	s_delay_alu instid0(VALU_DEP_1)
	v_div_fixup_f32 v0, v2, v1, v0
.LBB18_941:
	s_or_b32 exec_lo, exec_lo, s16
.LBB18_942:
	s_delay_alu instid0(SALU_CYCLE_1)
	s_or_b32 exec_lo, exec_lo, s15
.LBB18_943:
	s_delay_alu instid0(SALU_CYCLE_1) | instskip(SKIP_2) | instid1(SALU_CYCLE_1)
	s_or_b32 exec_lo, exec_lo, s14
	v_mul_lo_u32 v2, v10, s2
	s_and_b32 s14, s8, 0xff
	s_cmp_lt_i32 s14, 11
	s_delay_alu instid0(VALU_DEP_1) | instskip(NEXT) | instid1(VALU_DEP_1)
	v_ashrrev_i32_e32 v3, 31, v2
	v_add_nc_u64_e32 v[4:5], s[4:5], v[2:3]
	s_cbranch_scc1 .LBB18_953
; %bb.944:
	s_and_b32 s15, 0xffff, s14
	s_mov_b32 s16, -1
	s_cmp_gt_i32 s15, 25
	s_mov_b32 s0, s11
	s_cbranch_scc0 .LBB18_981
; %bb.945:
	s_cmp_gt_i32 s15, 28
	s_mov_b32 s0, s11
	s_cbranch_scc0 .LBB18_965
; %bb.946:
	;; [unrolled: 4-line block ×4, first 2 shown]
	s_cmp_eq_u32 s15, 46
	s_mov_b32 s0, -1
	s_cbranch_scc0 .LBB18_954
; %bb.949:
	v_bfe_u32 v1, v0, 16, 1
	v_cmp_o_f32_e32 vcc_lo, v0, v0
	s_mov_b32 s0, 0
	s_mov_b32 s16, 0
	s_delay_alu instid0(VALU_DEP_2) | instskip(NEXT) | instid1(VALU_DEP_1)
	v_add3_u32 v1, v0, v1, 0x7fff
	v_lshrrev_b32_e32 v1, 16, v1
	s_delay_alu instid0(VALU_DEP_1)
	v_cndmask_b32_e32 v1, 0x7fc0, v1, vcc_lo
	global_store_b32 v[4:5], v1, off
	s_branch .LBB18_955
.LBB18_950:
	s_or_b32 exec_lo, exec_lo, s13
	s_and_saveexec_b32 s0, s11
	s_cbranch_execnz .LBB18_1023
.LBB18_951:
	s_or_b32 exec_lo, exec_lo, s0
	s_and_saveexec_b32 s0, s16
	s_delay_alu instid0(SALU_CYCLE_1)
	s_xor_b32 s0, exec_lo, s0
	s_cbranch_execz .LBB18_1024
.LBB18_952:
	v_cmp_neq_f32_e32 vcc_lo, 0, v0
	v_cndmask_b32_e64 v1, 0, 1, vcc_lo
	global_store_b8 v[4:5], v1, off
	s_wait_xcnt 0x0
	s_or_b32 exec_lo, exec_lo, s0
	s_and_saveexec_b32 s0, s15
	s_delay_alu instid0(SALU_CYCLE_1)
	s_xor_b32 s0, exec_lo, s0
	s_cbranch_execz .LBB18_1062
	s_branch .LBB18_1025
.LBB18_953:
	s_mov_b32 s17, 0
	s_mov_b32 s16, -1
	s_mov_b32 s0, s11
	s_branch .LBB18_1022
.LBB18_954:
	s_mov_b32 s16, 0
.LBB18_955:
	s_delay_alu instid0(SALU_CYCLE_1)
	s_and_b32 vcc_lo, exec_lo, s16
	s_cbranch_vccz .LBB18_960
; %bb.956:
	s_cmp_eq_u32 s15, 44
	s_mov_b32 s0, -1
	s_cbranch_scc0 .LBB18_960
; %bb.957:
	v_bfe_u32 v2, v0, 23, 8
	s_wait_xcnt 0x0
	v_mov_b32_e32 v1, 0xff
	s_mov_b32 s16, exec_lo
	s_delay_alu instid0(VALU_DEP_2)
	v_cmpx_ne_u32_e32 0xff, v2
	s_cbranch_execz .LBB18_959
; %bb.958:
	v_and_b32_e32 v1, 0x400000, v0
	v_and_or_b32 v2, 0x3fffff, v0, v2
	s_delay_alu instid0(VALU_DEP_2) | instskip(NEXT) | instid1(VALU_DEP_2)
	v_cmp_ne_u32_e32 vcc_lo, 0, v1
	v_cmp_ne_u32_e64 s0, 0, v2
	v_lshrrev_b32_e32 v1, 23, v0
	s_and_b32 s0, vcc_lo, s0
	s_delay_alu instid0(SALU_CYCLE_1) | instskip(NEXT) | instid1(VALU_DEP_1)
	v_cndmask_b32_e64 v2, 0, 1, s0
	v_add_nc_u32_e32 v1, v1, v2
.LBB18_959:
	s_or_b32 exec_lo, exec_lo, s16
	s_mov_b32 s0, 0
	global_store_b8 v[4:5], v1, off
.LBB18_960:
	s_mov_b32 s16, 0
.LBB18_961:
	s_delay_alu instid0(SALU_CYCLE_1)
	s_and_b32 vcc_lo, exec_lo, s16
	s_cbranch_vccz .LBB18_964
; %bb.962:
	s_cmp_eq_u32 s15, 29
	s_mov_b32 s0, -1
	s_cbranch_scc0 .LBB18_964
; %bb.963:
	s_wait_xcnt 0x0
	v_trunc_f32_e32 v1, v0
	s_mov_b32 s0, 0
	s_mov_b32 s16, 0
	s_delay_alu instid0(VALU_DEP_1) | instskip(NEXT) | instid1(VALU_DEP_1)
	v_mul_f32_e32 v2, 0x2f800000, v1
	v_floor_f32_e32 v2, v2
	s_delay_alu instid0(VALU_DEP_1) | instskip(SKIP_1) | instid1(VALU_DEP_2)
	v_fmamk_f32 v1, v2, 0xcf800000, v1
	v_cvt_u32_f32_e32 v3, v2
	v_cvt_u32_f32_e32 v2, v1
	global_store_b64 v[4:5], v[2:3], off
	s_branch .LBB18_965
.LBB18_964:
	s_mov_b32 s16, 0
.LBB18_965:
	s_delay_alu instid0(SALU_CYCLE_1)
	s_and_b32 vcc_lo, exec_lo, s16
	s_cbranch_vccz .LBB18_980
; %bb.966:
	s_cmp_lt_i32 s15, 27
	s_mov_b32 s16, -1
	s_cbranch_scc1 .LBB18_972
; %bb.967:
	s_wait_xcnt 0x0
	v_cvt_u32_f32_e32 v1, v0
	s_cmp_gt_i32 s15, 27
	s_cbranch_scc0 .LBB18_969
; %bb.968:
	s_mov_b32 s16, 0
	global_store_b32 v[4:5], v1, off
.LBB18_969:
	s_and_not1_b32 vcc_lo, exec_lo, s16
	s_cbranch_vccnz .LBB18_971
; %bb.970:
	global_store_b16 v[4:5], v1, off
.LBB18_971:
	s_mov_b32 s16, 0
.LBB18_972:
	s_delay_alu instid0(SALU_CYCLE_1)
	s_and_not1_b32 vcc_lo, exec_lo, s16
	s_cbranch_vccnz .LBB18_980
; %bb.973:
	s_wait_xcnt 0x0
	v_and_b32_e32 v1, 0x7fffffff, v0
	v_mov_b32_e32 v2, 0x80
	s_mov_b32 s16, exec_lo
	s_delay_alu instid0(VALU_DEP_2)
	v_cmpx_gt_u32_e32 0x43800000, v1
	s_cbranch_execz .LBB18_979
; %bb.974:
	v_cmp_lt_u32_e32 vcc_lo, 0x3bffffff, v1
	s_mov_b32 s17, 0
                                        ; implicit-def: $vgpr1
	s_and_saveexec_b32 s18, vcc_lo
	s_delay_alu instid0(SALU_CYCLE_1)
	s_xor_b32 s18, exec_lo, s18
	s_cbranch_execz .LBB18_1077
; %bb.975:
	v_bfe_u32 v1, v0, 20, 1
	s_mov_b32 s17, exec_lo
	s_delay_alu instid0(VALU_DEP_1) | instskip(NEXT) | instid1(VALU_DEP_1)
	v_add3_u32 v1, v0, v1, 0x487ffff
	v_lshrrev_b32_e32 v1, 20, v1
	s_and_not1_saveexec_b32 s18, s18
	s_cbranch_execnz .LBB18_1078
.LBB18_976:
	s_or_b32 exec_lo, exec_lo, s18
	v_mov_b32_e32 v2, 0
	s_and_saveexec_b32 s18, s17
.LBB18_977:
	v_lshrrev_b32_e32 v2, 24, v0
	s_delay_alu instid0(VALU_DEP_1)
	v_and_or_b32 v2, 0x80, v2, v1
.LBB18_978:
	s_or_b32 exec_lo, exec_lo, s18
.LBB18_979:
	s_delay_alu instid0(SALU_CYCLE_1)
	s_or_b32 exec_lo, exec_lo, s16
	global_store_b8 v[4:5], v2, off
.LBB18_980:
	s_mov_b32 s16, 0
.LBB18_981:
	s_delay_alu instid0(SALU_CYCLE_1)
	s_and_b32 vcc_lo, exec_lo, s16
	s_mov_b32 s16, 0
	s_cbranch_vccz .LBB18_1021
; %bb.982:
	s_cmp_gt_i32 s15, 22
	s_mov_b32 s17, -1
	s_cbranch_scc0 .LBB18_1014
; %bb.983:
	s_cmp_lt_i32 s15, 24
	s_cbranch_scc1 .LBB18_1003
; %bb.984:
	s_cmp_gt_i32 s15, 24
	s_cbranch_scc0 .LBB18_992
; %bb.985:
	s_wait_xcnt 0x0
	v_and_b32_e32 v1, 0x7fffffff, v0
	v_mov_b32_e32 v2, 0x80
	s_mov_b32 s17, exec_lo
	s_delay_alu instid0(VALU_DEP_2)
	v_cmpx_gt_u32_e32 0x47800000, v1
	s_cbranch_execz .LBB18_991
; %bb.986:
	v_cmp_lt_u32_e32 vcc_lo, 0x37ffffff, v1
	s_mov_b32 s18, 0
                                        ; implicit-def: $vgpr1
	s_and_saveexec_b32 s19, vcc_lo
	s_delay_alu instid0(SALU_CYCLE_1)
	s_xor_b32 s19, exec_lo, s19
	s_cbranch_execz .LBB18_1211
; %bb.987:
	v_bfe_u32 v1, v0, 21, 1
	s_mov_b32 s18, exec_lo
	s_delay_alu instid0(VALU_DEP_1) | instskip(NEXT) | instid1(VALU_DEP_1)
	v_add3_u32 v1, v0, v1, 0x88fffff
	v_lshrrev_b32_e32 v1, 21, v1
	s_and_not1_saveexec_b32 s19, s19
	s_cbranch_execnz .LBB18_1212
.LBB18_988:
	s_or_b32 exec_lo, exec_lo, s19
	v_mov_b32_e32 v2, 0
	s_and_saveexec_b32 s19, s18
.LBB18_989:
	v_lshrrev_b32_e32 v2, 24, v0
	s_delay_alu instid0(VALU_DEP_1)
	v_and_or_b32 v2, 0x80, v2, v1
.LBB18_990:
	s_or_b32 exec_lo, exec_lo, s19
.LBB18_991:
	s_delay_alu instid0(SALU_CYCLE_1)
	s_or_b32 exec_lo, exec_lo, s17
	s_mov_b32 s17, 0
	global_store_b8 v[4:5], v2, off
.LBB18_992:
	s_and_b32 vcc_lo, exec_lo, s17
	s_cbranch_vccz .LBB18_1002
; %bb.993:
	s_wait_xcnt 0x0
	v_and_b32_e32 v2, 0x7fffffff, v0
	s_mov_b32 s17, exec_lo
                                        ; implicit-def: $vgpr1
	s_delay_alu instid0(VALU_DEP_1)
	v_cmpx_gt_u32_e32 0x43f00000, v2
	s_xor_b32 s17, exec_lo, s17
	s_cbranch_execz .LBB18_999
; %bb.994:
	s_mov_b32 s18, exec_lo
                                        ; implicit-def: $vgpr1
	v_cmpx_lt_u32_e32 0x3c7fffff, v2
	s_xor_b32 s18, exec_lo, s18
; %bb.995:
	v_bfe_u32 v1, v0, 20, 1
	s_delay_alu instid0(VALU_DEP_1) | instskip(NEXT) | instid1(VALU_DEP_1)
	v_add3_u32 v1, v0, v1, 0x407ffff
	v_and_b32_e32 v2, 0xff00000, v1
	v_lshrrev_b32_e32 v1, 20, v1
	s_delay_alu instid0(VALU_DEP_2) | instskip(NEXT) | instid1(VALU_DEP_2)
	v_cmp_ne_u32_e32 vcc_lo, 0x7f00000, v2
	v_cndmask_b32_e32 v1, 0x7e, v1, vcc_lo
; %bb.996:
	s_and_not1_saveexec_b32 s18, s18
; %bb.997:
	v_add_f32_e64 v1, 0x46800000, |v0|
; %bb.998:
	s_or_b32 exec_lo, exec_lo, s18
                                        ; implicit-def: $vgpr2
.LBB18_999:
	s_and_not1_saveexec_b32 s17, s17
; %bb.1000:
	v_mov_b32_e32 v1, 0x7f
	v_cmp_lt_u32_e32 vcc_lo, 0x7f800000, v2
	s_delay_alu instid0(VALU_DEP_2)
	v_cndmask_b32_e32 v1, 0x7e, v1, vcc_lo
; %bb.1001:
	s_or_b32 exec_lo, exec_lo, s17
	v_lshrrev_b32_e32 v2, 24, v0
	s_delay_alu instid0(VALU_DEP_1)
	v_and_or_b32 v1, 0x80, v2, v1
	global_store_b8 v[4:5], v1, off
.LBB18_1002:
	s_mov_b32 s17, 0
.LBB18_1003:
	s_delay_alu instid0(SALU_CYCLE_1)
	s_and_not1_b32 vcc_lo, exec_lo, s17
	s_cbranch_vccnz .LBB18_1013
; %bb.1004:
	s_wait_xcnt 0x0
	v_and_b32_e32 v2, 0x7fffffff, v0
	s_mov_b32 s17, exec_lo
                                        ; implicit-def: $vgpr1
	s_delay_alu instid0(VALU_DEP_1)
	v_cmpx_gt_u32_e32 0x47800000, v2
	s_xor_b32 s17, exec_lo, s17
	s_cbranch_execz .LBB18_1010
; %bb.1005:
	s_mov_b32 s18, exec_lo
                                        ; implicit-def: $vgpr1
	v_cmpx_lt_u32_e32 0x387fffff, v2
	s_xor_b32 s18, exec_lo, s18
; %bb.1006:
	v_bfe_u32 v1, v0, 21, 1
	s_delay_alu instid0(VALU_DEP_1) | instskip(NEXT) | instid1(VALU_DEP_1)
	v_add3_u32 v1, v0, v1, 0x80fffff
	v_lshrrev_b32_e32 v1, 21, v1
; %bb.1007:
	s_and_not1_saveexec_b32 s18, s18
; %bb.1008:
	v_add_f32_e64 v1, 0x43000000, |v0|
; %bb.1009:
	s_or_b32 exec_lo, exec_lo, s18
                                        ; implicit-def: $vgpr2
.LBB18_1010:
	s_and_not1_saveexec_b32 s17, s17
; %bb.1011:
	v_mov_b32_e32 v1, 0x7f
	v_cmp_lt_u32_e32 vcc_lo, 0x7f800000, v2
	s_delay_alu instid0(VALU_DEP_2)
	v_cndmask_b32_e32 v1, 0x7c, v1, vcc_lo
; %bb.1012:
	s_or_b32 exec_lo, exec_lo, s17
	v_lshrrev_b32_e32 v2, 24, v0
	s_delay_alu instid0(VALU_DEP_1)
	v_and_or_b32 v1, 0x80, v2, v1
	global_store_b8 v[4:5], v1, off
.LBB18_1013:
	s_mov_b32 s17, 0
.LBB18_1014:
	s_delay_alu instid0(SALU_CYCLE_1)
	s_and_not1_b32 vcc_lo, exec_lo, s17
	s_mov_b32 s17, 0
	s_cbranch_vccnz .LBB18_1022
; %bb.1015:
	s_cmp_gt_i32 s15, 14
	s_mov_b32 s17, -1
	s_cbranch_scc0 .LBB18_1019
; %bb.1016:
	s_cmp_eq_u32 s15, 15
	s_mov_b32 s0, -1
	s_cbranch_scc0 .LBB18_1018
; %bb.1017:
	s_wait_xcnt 0x0
	v_bfe_u32 v1, v0, 16, 1
	v_cmp_o_f32_e32 vcc_lo, v0, v0
	s_mov_b32 s0, 0
	s_delay_alu instid0(VALU_DEP_2) | instskip(NEXT) | instid1(VALU_DEP_1)
	v_add3_u32 v1, v0, v1, 0x7fff
	v_lshrrev_b32_e32 v1, 16, v1
	s_delay_alu instid0(VALU_DEP_1)
	v_cndmask_b32_e32 v1, 0x7fc0, v1, vcc_lo
	global_store_b16 v[4:5], v1, off
.LBB18_1018:
	s_mov_b32 s17, 0
.LBB18_1019:
	s_delay_alu instid0(SALU_CYCLE_1)
	s_and_b32 vcc_lo, exec_lo, s17
	s_mov_b32 s17, 0
	s_cbranch_vccz .LBB18_1022
; %bb.1020:
	s_cmp_lg_u32 s15, 11
	s_mov_b32 s17, -1
	s_cselect_b32 s15, -1, 0
	s_and_not1_b32 s0, s0, exec_lo
	s_and_b32 s15, s15, exec_lo
	s_delay_alu instid0(SALU_CYCLE_1)
	s_or_b32 s0, s0, s15
	s_branch .LBB18_1022
.LBB18_1021:
	s_mov_b32 s17, 0
.LBB18_1022:
	s_and_not1_b32 s11, s11, exec_lo
	s_and_b32 s0, s0, exec_lo
	s_and_b32 s15, s16, exec_lo
	;; [unrolled: 1-line block ×3, first 2 shown]
	s_or_b32 s11, s11, s0
	s_wait_xcnt 0x0
	s_or_b32 exec_lo, exec_lo, s13
	s_and_saveexec_b32 s0, s11
	s_cbranch_execz .LBB18_951
.LBB18_1023:
	s_or_b32 s12, s12, exec_lo
	s_and_not1_b32 s16, s16, exec_lo
	s_trap 2
	s_or_b32 exec_lo, exec_lo, s0
	s_and_saveexec_b32 s0, s16
	s_delay_alu instid0(SALU_CYCLE_1)
	s_xor_b32 s0, exec_lo, s0
	s_cbranch_execnz .LBB18_952
.LBB18_1024:
	s_or_b32 exec_lo, exec_lo, s0
	s_and_saveexec_b32 s0, s15
	s_delay_alu instid0(SALU_CYCLE_1)
	s_xor_b32 s0, exec_lo, s0
	s_cbranch_execz .LBB18_1062
.LBB18_1025:
	s_sext_i32_i16 s13, s14
	s_mov_b32 s11, -1
	s_cmp_lt_i32 s13, 5
	s_cbranch_scc1 .LBB18_1046
; %bb.1026:
	s_cmp_lt_i32 s13, 8
	s_cbranch_scc1 .LBB18_1036
; %bb.1027:
	;; [unrolled: 3-line block ×3, first 2 shown]
	s_cmp_gt_i32 s13, 9
	s_cbranch_scc0 .LBB18_1030
; %bb.1029:
	v_cvt_f64_f32_e32 v[6:7], v0
	v_mov_b32_e32 v8, 0
	s_mov_b32 s11, 0
	s_delay_alu instid0(VALU_DEP_1)
	v_mov_b32_e32 v9, v8
	global_store_b128 v[4:5], v[6:9], off
.LBB18_1030:
	s_and_not1_b32 vcc_lo, exec_lo, s11
	s_cbranch_vccnz .LBB18_1032
; %bb.1031:
	v_mov_b32_e32 v1, 0
	global_store_b64 v[4:5], v[0:1], off
.LBB18_1032:
	s_mov_b32 s11, 0
.LBB18_1033:
	s_delay_alu instid0(SALU_CYCLE_1)
	s_and_not1_b32 vcc_lo, exec_lo, s11
	s_cbranch_vccnz .LBB18_1035
; %bb.1034:
	s_wait_xcnt 0x0
	v_cvt_f16_f32_e32 v1, v0
	s_delay_alu instid0(VALU_DEP_1)
	v_and_b32_e32 v1, 0xffff, v1
	global_store_b32 v[4:5], v1, off
.LBB18_1035:
	s_mov_b32 s11, 0
.LBB18_1036:
	s_delay_alu instid0(SALU_CYCLE_1)
	s_and_not1_b32 vcc_lo, exec_lo, s11
	s_cbranch_vccnz .LBB18_1045
; %bb.1037:
	s_sext_i32_i16 s13, s14
	s_mov_b32 s11, -1
	s_cmp_lt_i32 s13, 6
	s_cbranch_scc1 .LBB18_1043
; %bb.1038:
	s_cmp_gt_i32 s13, 6
	s_cbranch_scc0 .LBB18_1040
; %bb.1039:
	s_wait_loadcnt 0x0
	v_cvt_f64_f32_e32 v[2:3], v0
	s_mov_b32 s11, 0
	global_store_b64 v[4:5], v[2:3], off
.LBB18_1040:
	s_and_not1_b32 vcc_lo, exec_lo, s11
	s_cbranch_vccnz .LBB18_1042
; %bb.1041:
	global_store_b32 v[4:5], v0, off
.LBB18_1042:
	s_mov_b32 s11, 0
.LBB18_1043:
	s_delay_alu instid0(SALU_CYCLE_1)
	s_and_not1_b32 vcc_lo, exec_lo, s11
	s_cbranch_vccnz .LBB18_1045
; %bb.1044:
	s_wait_xcnt 0x0
	v_cvt_f16_f32_e32 v1, v0
	global_store_b16 v[4:5], v1, off
.LBB18_1045:
	s_mov_b32 s11, 0
.LBB18_1046:
	s_delay_alu instid0(SALU_CYCLE_1)
	s_and_not1_b32 vcc_lo, exec_lo, s11
	s_cbranch_vccnz .LBB18_1062
; %bb.1047:
	s_sext_i32_i16 s13, s14
	s_mov_b32 s11, -1
	s_cmp_lt_i32 s13, 2
	s_cbranch_scc1 .LBB18_1057
; %bb.1048:
	s_cmp_lt_i32 s13, 3
	s_cbranch_scc1 .LBB18_1054
; %bb.1049:
	s_cmp_gt_i32 s13, 3
	s_cbranch_scc0 .LBB18_1051
; %bb.1050:
	s_wait_xcnt 0x0
	v_trunc_f32_e32 v1, v0
	s_mov_b32 s11, 0
	s_wait_loadcnt 0x0
	s_delay_alu instid0(VALU_DEP_1) | instskip(NEXT) | instid1(VALU_DEP_1)
	v_mul_f32_e64 v2, 0x2f800000, |v1|
	v_floor_f32_e32 v3, v2
	v_ashrrev_i32_e32 v2, 31, v1
	s_delay_alu instid0(VALU_DEP_2) | instskip(SKIP_1) | instid1(VALU_DEP_3)
	v_fma_f32 v6, 0xcf800000, v3, |v1|
	v_cvt_u32_f32_e32 v1, v3
	v_mov_b32_e32 v3, v2
	s_delay_alu instid0(VALU_DEP_3) | instskip(NEXT) | instid1(VALU_DEP_3)
	v_cvt_u32_f32_e32 v6, v6
	v_xor_b32_e32 v7, v1, v2
	s_delay_alu instid0(VALU_DEP_2) | instskip(NEXT) | instid1(VALU_DEP_1)
	v_xor_b32_e32 v6, v6, v2
	v_sub_nc_u64_e32 v[2:3], v[6:7], v[2:3]
	global_store_b64 v[4:5], v[2:3], off
.LBB18_1051:
	s_and_not1_b32 vcc_lo, exec_lo, s11
	s_cbranch_vccnz .LBB18_1053
; %bb.1052:
	s_wait_xcnt 0x0
	v_cvt_i32_f32_e32 v1, v0
	global_store_b32 v[4:5], v1, off
.LBB18_1053:
	s_mov_b32 s11, 0
.LBB18_1054:
	s_delay_alu instid0(SALU_CYCLE_1)
	s_and_not1_b32 vcc_lo, exec_lo, s11
	s_cbranch_vccnz .LBB18_1056
; %bb.1055:
	s_wait_xcnt 0x0
	v_cvt_i32_f32_e32 v1, v0
	global_store_b16 v[4:5], v1, off
.LBB18_1056:
	s_mov_b32 s11, 0
.LBB18_1057:
	s_delay_alu instid0(SALU_CYCLE_1)
	s_and_not1_b32 vcc_lo, exec_lo, s11
	s_cbranch_vccnz .LBB18_1062
; %bb.1058:
	s_sext_i32_i16 s11, s14
	s_delay_alu instid0(SALU_CYCLE_1)
	s_cmp_gt_i32 s11, 0
	s_mov_b32 s11, -1
	s_cbranch_scc0 .LBB18_1060
; %bb.1059:
	s_wait_xcnt 0x0
	v_cvt_i32_f32_e32 v1, v0
	s_mov_b32 s11, 0
	global_store_b8 v[4:5], v1, off
.LBB18_1060:
	s_and_not1_b32 vcc_lo, exec_lo, s11
	s_cbranch_vccnz .LBB18_1062
; %bb.1061:
	s_wait_xcnt 0x0
	v_trunc_f32_e32 v0, v0
	s_delay_alu instid0(VALU_DEP_1) | instskip(NEXT) | instid1(VALU_DEP_1)
	v_mul_f32_e64 v1, 0x2f800000, |v0|
	v_floor_f32_e32 v1, v1
	s_delay_alu instid0(VALU_DEP_1) | instskip(SKIP_1) | instid1(VALU_DEP_2)
	v_fma_f32 v1, 0xcf800000, v1, |v0|
	v_ashrrev_i32_e32 v0, 31, v0
	v_cvt_u32_f32_e32 v1, v1
	s_delay_alu instid0(VALU_DEP_1) | instskip(NEXT) | instid1(VALU_DEP_1)
	v_xor_b32_e32 v1, v1, v0
	v_sub_nc_u32_e32 v0, v1, v0
	global_store_b8 v[4:5], v0, off
.LBB18_1062:
	s_wait_xcnt 0x0
	s_or_b32 exec_lo, exec_lo, s0
	s_delay_alu instid0(SALU_CYCLE_1)
	s_and_b32 s11, s12, exec_lo
                                        ; implicit-def: $vgpr10
.LBB18_1063:
	s_or_saveexec_b32 s10, s10
	s_mov_b32 s0, 0
                                        ; implicit-def: $sgpr12
                                        ; implicit-def: $vgpr0_vgpr1
                                        ; implicit-def: $vgpr6
	s_xor_b32 exec_lo, exec_lo, s10
	s_cbranch_execz .LBB18_1692
; %bb.1064:
	s_wait_loadcnt 0x0
	v_mul_lo_u32 v2, s3, v10
	s_and_b32 s9, 0xffff, s9
	s_delay_alu instid0(SALU_CYCLE_1) | instskip(NEXT) | instid1(VALU_DEP_1)
	s_cmp_lt_i32 s9, 11
	v_ashrrev_i32_e32 v3, 31, v2
	s_delay_alu instid0(VALU_DEP_1)
	v_add_nc_u64_e32 v[0:1], s[6:7], v[2:3]
	s_cbranch_scc1 .LBB18_1071
; %bb.1065:
	s_cmp_gt_i32 s9, 25
	s_mov_b32 s12, 0
	s_cbranch_scc0 .LBB18_1073
; %bb.1066:
	s_cmp_gt_i32 s9, 28
	s_cbranch_scc0 .LBB18_1074
; %bb.1067:
	s_cmp_gt_i32 s9, 43
	;; [unrolled: 3-line block ×3, first 2 shown]
	s_cbranch_scc0 .LBB18_1076
; %bb.1069:
	s_cmp_eq_u32 s9, 46
	s_cbranch_scc0 .LBB18_1079
; %bb.1070:
	global_load_b32 v3, v[0:1], off
	s_mov_b32 s13, -1
	s_wait_loadcnt 0x0
	v_lshlrev_b32_e32 v4, 16, v3
	s_branch .LBB18_1081
.LBB18_1071:
	s_mov_b32 s13, 0
	s_mov_b32 s1, s11
                                        ; implicit-def: $vgpr4
	s_cbranch_execnz .LBB18_1144
.LBB18_1072:
	s_and_not1_b32 vcc_lo, exec_lo, s13
	s_cbranch_vccz .LBB18_1189
	s_branch .LBB18_1690
.LBB18_1073:
	s_mov_b32 s13, 0
                                        ; implicit-def: $vgpr4
	s_cbranch_execnz .LBB18_1109
	s_branch .LBB18_1140
.LBB18_1074:
	s_mov_b32 s1, -1
	s_mov_b32 s13, 0
                                        ; implicit-def: $vgpr4
	s_branch .LBB18_1090
.LBB18_1075:
	s_mov_b32 s13, 0
                                        ; implicit-def: $vgpr4
	s_cbranch_execnz .LBB18_1086
	s_branch .LBB18_1089
.LBB18_1076:
	s_mov_b32 s1, -1
	s_branch .LBB18_1080
.LBB18_1077:
	s_and_not1_saveexec_b32 s18, s18
	s_cbranch_execz .LBB18_976
.LBB18_1078:
	v_add_f32_e64 v1, 0x46000000, |v0|
	s_and_not1_b32 s17, s17, exec_lo
	s_delay_alu instid0(VALU_DEP_1) | instskip(NEXT) | instid1(VALU_DEP_1)
	v_and_b32_e32 v1, 0xff, v1
	v_cmp_ne_u32_e32 vcc_lo, 0, v1
	s_and_b32 s19, vcc_lo, exec_lo
	s_delay_alu instid0(SALU_CYCLE_1)
	s_or_b32 s17, s17, s19
	s_or_b32 exec_lo, exec_lo, s18
	v_mov_b32_e32 v2, 0
	s_and_saveexec_b32 s18, s17
	s_cbranch_execnz .LBB18_977
	s_branch .LBB18_978
.LBB18_1079:
	s_mov_b32 s0, -1
.LBB18_1080:
	s_mov_b32 s13, 0
                                        ; implicit-def: $vgpr4
.LBB18_1081:
	s_and_b32 vcc_lo, exec_lo, s1
	s_cbranch_vccz .LBB18_1084
; %bb.1082:
	s_cmp_eq_u32 s9, 44
	s_cbranch_scc0 .LBB18_1085
; %bb.1083:
	global_load_u8 v3, v[0:1], off
	s_mov_b32 s0, 0
	s_mov_b32 s13, -1
	s_wait_loadcnt 0x0
	v_lshlrev_b32_e32 v4, 23, v3
	v_cmp_ne_u32_e32 vcc_lo, 0xff, v3
	s_delay_alu instid0(VALU_DEP_2) | instskip(SKIP_1) | instid1(VALU_DEP_2)
	v_cndmask_b32_e32 v4, 0x7f800001, v4, vcc_lo
	v_cmp_ne_u32_e32 vcc_lo, 0, v3
	v_cndmask_b32_e32 v4, 0x400000, v4, vcc_lo
.LBB18_1084:
	s_branch .LBB18_1089
.LBB18_1085:
	s_mov_b32 s0, -1
                                        ; implicit-def: $vgpr4
	s_branch .LBB18_1089
.LBB18_1086:
	s_cmp_eq_u32 s9, 29
	s_cbranch_scc0 .LBB18_1088
; %bb.1087:
	global_load_b64 v[4:5], v[0:1], off
	s_mov_b32 s0, 0
	s_mov_b32 s13, -1
	s_mov_b32 s1, 0
	s_wait_loadcnt 0x0
	v_clz_i32_u32_e32 v3, v5
	s_delay_alu instid0(VALU_DEP_1) | instskip(NEXT) | instid1(VALU_DEP_1)
	v_min_u32_e32 v3, 32, v3
	v_lshlrev_b64_e32 v[4:5], v3, v[4:5]
	v_sub_nc_u32_e32 v3, 32, v3
	s_delay_alu instid0(VALU_DEP_2) | instskip(NEXT) | instid1(VALU_DEP_1)
	v_min_u32_e32 v4, 1, v4
	v_or_b32_e32 v4, v5, v4
	s_delay_alu instid0(VALU_DEP_1) | instskip(NEXT) | instid1(VALU_DEP_1)
	v_cvt_f32_u32_e32 v4, v4
	v_ldexp_f32 v4, v4, v3
	s_branch .LBB18_1090
.LBB18_1088:
	s_mov_b32 s0, -1
                                        ; implicit-def: $vgpr4
.LBB18_1089:
	s_mov_b32 s1, 0
.LBB18_1090:
	s_delay_alu instid0(SALU_CYCLE_1)
	s_and_b32 vcc_lo, exec_lo, s1
	s_cbranch_vccz .LBB18_1108
; %bb.1091:
	s_cmp_lt_i32 s9, 27
	s_cbranch_scc1 .LBB18_1094
; %bb.1092:
	s_cmp_gt_i32 s9, 27
	s_cbranch_scc0 .LBB18_1095
; %bb.1093:
	global_load_b32 v3, v[0:1], off
	s_mov_b32 s1, 0
	s_wait_loadcnt 0x0
	v_cvt_f32_u32_e32 v4, v3
	s_branch .LBB18_1096
.LBB18_1094:
	s_mov_b32 s1, -1
                                        ; implicit-def: $vgpr4
	s_branch .LBB18_1099
.LBB18_1095:
	s_mov_b32 s1, -1
                                        ; implicit-def: $vgpr4
.LBB18_1096:
	s_delay_alu instid0(SALU_CYCLE_1)
	s_and_not1_b32 vcc_lo, exec_lo, s1
	s_cbranch_vccnz .LBB18_1098
; %bb.1097:
	global_load_u16 v3, v[0:1], off
	s_wait_loadcnt 0x0
	v_cvt_f32_u32_e32 v4, v3
.LBB18_1098:
	s_mov_b32 s1, 0
.LBB18_1099:
	s_delay_alu instid0(SALU_CYCLE_1)
	s_and_not1_b32 vcc_lo, exec_lo, s1
	s_cbranch_vccnz .LBB18_1107
; %bb.1100:
	global_load_u8 v3, v[0:1], off
	s_mov_b32 s1, 0
	s_mov_b32 s13, exec_lo
	s_wait_loadcnt 0x0
	v_cmpx_lt_i16_e32 0x7f, v3
	s_xor_b32 s13, exec_lo, s13
	s_cbranch_execz .LBB18_1120
; %bb.1101:
	s_mov_b32 s1, -1
	s_mov_b32 s14, exec_lo
	v_cmpx_eq_u16_e32 0x80, v3
; %bb.1102:
	s_xor_b32 s1, exec_lo, -1
; %bb.1103:
	s_or_b32 exec_lo, exec_lo, s14
	s_delay_alu instid0(SALU_CYCLE_1)
	s_and_b32 s1, s1, exec_lo
	s_or_saveexec_b32 s13, s13
	v_mov_b32_e32 v4, 0x7f800001
	s_xor_b32 exec_lo, exec_lo, s13
	s_cbranch_execnz .LBB18_1121
.LBB18_1104:
	s_or_b32 exec_lo, exec_lo, s13
	s_and_saveexec_b32 s13, s1
	s_cbranch_execz .LBB18_1106
.LBB18_1105:
	v_and_b32_e32 v4, 0xffff, v3
	s_delay_alu instid0(VALU_DEP_1) | instskip(SKIP_1) | instid1(VALU_DEP_2)
	v_and_b32_e32 v5, 7, v4
	v_bfe_u32 v8, v4, 3, 4
	v_clz_i32_u32_e32 v6, v5
	s_delay_alu instid0(VALU_DEP_2) | instskip(NEXT) | instid1(VALU_DEP_2)
	v_cmp_eq_u32_e32 vcc_lo, 0, v8
	v_min_u32_e32 v6, 32, v6
	s_delay_alu instid0(VALU_DEP_1) | instskip(NEXT) | instid1(VALU_DEP_1)
	v_subrev_nc_u32_e32 v7, 28, v6
	v_dual_lshlrev_b32 v4, v7, v4 :: v_dual_sub_nc_u32 v6, 29, v6
	s_delay_alu instid0(VALU_DEP_1) | instskip(NEXT) | instid1(VALU_DEP_1)
	v_dual_lshlrev_b32 v3, 24, v3 :: v_dual_bitop2_b32 v4, 7, v4 bitop3:0x40
	v_dual_cndmask_b32 v6, v8, v6, vcc_lo :: v_dual_cndmask_b32 v4, v5, v4, vcc_lo
	s_delay_alu instid0(VALU_DEP_2) | instskip(NEXT) | instid1(VALU_DEP_2)
	v_and_b32_e32 v3, 0x80000000, v3
	v_lshl_add_u32 v5, v6, 23, 0x3b800000
	s_delay_alu instid0(VALU_DEP_3) | instskip(NEXT) | instid1(VALU_DEP_1)
	v_lshlrev_b32_e32 v4, 20, v4
	v_or3_b32 v4, v3, v5, v4
.LBB18_1106:
	s_or_b32 exec_lo, exec_lo, s13
.LBB18_1107:
	s_mov_b32 s13, -1
.LBB18_1108:
	s_branch .LBB18_1140
.LBB18_1109:
	s_cmp_gt_i32 s9, 22
	s_cbranch_scc0 .LBB18_1119
; %bb.1110:
	s_cmp_lt_i32 s9, 24
	s_cbranch_scc1 .LBB18_1122
; %bb.1111:
	s_cmp_gt_i32 s9, 24
	s_cbranch_scc0 .LBB18_1123
; %bb.1112:
	global_load_u8 v3, v[0:1], off
	s_mov_b32 s1, 0
	s_mov_b32 s12, exec_lo
	s_wait_loadcnt 0x0
	v_cmpx_lt_i16_e32 0x7f, v3
	s_xor_b32 s12, exec_lo, s12
	s_cbranch_execz .LBB18_1134
; %bb.1113:
	s_mov_b32 s1, -1
	s_mov_b32 s13, exec_lo
	v_cmpx_eq_u16_e32 0x80, v3
; %bb.1114:
	s_xor_b32 s1, exec_lo, -1
; %bb.1115:
	s_or_b32 exec_lo, exec_lo, s13
	s_delay_alu instid0(SALU_CYCLE_1)
	s_and_b32 s1, s1, exec_lo
	s_or_saveexec_b32 s12, s12
	v_mov_b32_e32 v4, 0x7f800001
	s_xor_b32 exec_lo, exec_lo, s12
	s_cbranch_execnz .LBB18_1135
.LBB18_1116:
	s_or_b32 exec_lo, exec_lo, s12
	s_and_saveexec_b32 s12, s1
	s_cbranch_execz .LBB18_1118
.LBB18_1117:
	v_and_b32_e32 v4, 0xffff, v3
	s_delay_alu instid0(VALU_DEP_1) | instskip(SKIP_1) | instid1(VALU_DEP_2)
	v_and_b32_e32 v5, 3, v4
	v_bfe_u32 v8, v4, 2, 5
	v_clz_i32_u32_e32 v6, v5
	s_delay_alu instid0(VALU_DEP_2) | instskip(NEXT) | instid1(VALU_DEP_2)
	v_cmp_eq_u32_e32 vcc_lo, 0, v8
	v_min_u32_e32 v6, 32, v6
	s_delay_alu instid0(VALU_DEP_1) | instskip(NEXT) | instid1(VALU_DEP_1)
	v_subrev_nc_u32_e32 v7, 29, v6
	v_dual_lshlrev_b32 v4, v7, v4 :: v_dual_sub_nc_u32 v6, 30, v6
	s_delay_alu instid0(VALU_DEP_1) | instskip(NEXT) | instid1(VALU_DEP_1)
	v_dual_lshlrev_b32 v3, 24, v3 :: v_dual_bitop2_b32 v4, 3, v4 bitop3:0x40
	v_dual_cndmask_b32 v6, v8, v6, vcc_lo :: v_dual_cndmask_b32 v4, v5, v4, vcc_lo
	s_delay_alu instid0(VALU_DEP_2) | instskip(NEXT) | instid1(VALU_DEP_2)
	v_and_b32_e32 v3, 0x80000000, v3
	v_lshl_add_u32 v5, v6, 23, 0x37800000
	s_delay_alu instid0(VALU_DEP_3) | instskip(NEXT) | instid1(VALU_DEP_1)
	v_lshlrev_b32_e32 v4, 21, v4
	v_or3_b32 v4, v3, v5, v4
.LBB18_1118:
	s_or_b32 exec_lo, exec_lo, s12
	s_mov_b32 s1, 0
	s_branch .LBB18_1124
.LBB18_1119:
                                        ; implicit-def: $vgpr4
	s_mov_b32 s12, 0
	s_branch .LBB18_1130
.LBB18_1120:
	s_or_saveexec_b32 s13, s13
	v_mov_b32_e32 v4, 0x7f800001
	s_xor_b32 exec_lo, exec_lo, s13
	s_cbranch_execz .LBB18_1104
.LBB18_1121:
	v_cmp_ne_u16_e32 vcc_lo, 0, v3
	v_mov_b32_e32 v4, 0
	s_and_not1_b32 s1, s1, exec_lo
	s_and_b32 s14, vcc_lo, exec_lo
	s_delay_alu instid0(SALU_CYCLE_1)
	s_or_b32 s1, s1, s14
	s_or_b32 exec_lo, exec_lo, s13
	s_and_saveexec_b32 s13, s1
	s_cbranch_execnz .LBB18_1105
	s_branch .LBB18_1106
.LBB18_1122:
	s_mov_b32 s1, -1
                                        ; implicit-def: $vgpr4
	s_branch .LBB18_1127
.LBB18_1123:
	s_mov_b32 s1, -1
                                        ; implicit-def: $vgpr4
.LBB18_1124:
	s_delay_alu instid0(SALU_CYCLE_1)
	s_and_b32 vcc_lo, exec_lo, s1
	s_cbranch_vccz .LBB18_1126
; %bb.1125:
	global_load_u8 v3, v[0:1], off
	s_wait_loadcnt 0x0
	v_lshlrev_b32_e32 v3, 24, v3
	s_delay_alu instid0(VALU_DEP_1) | instskip(NEXT) | instid1(VALU_DEP_1)
	v_and_b32_e32 v4, 0x7f000000, v3
	v_clz_i32_u32_e32 v5, v4
	v_cmp_ne_u32_e32 vcc_lo, 0, v4
	v_add_nc_u32_e32 v7, 0x1000000, v4
	s_delay_alu instid0(VALU_DEP_3) | instskip(NEXT) | instid1(VALU_DEP_1)
	v_min_u32_e32 v5, 32, v5
	v_sub_nc_u32_e64 v5, v5, 4 clamp
	s_delay_alu instid0(VALU_DEP_1) | instskip(NEXT) | instid1(VALU_DEP_1)
	v_dual_lshlrev_b32 v6, v5, v4 :: v_dual_lshlrev_b32 v5, 23, v5
	v_lshrrev_b32_e32 v6, 4, v6
	s_delay_alu instid0(VALU_DEP_1) | instskip(NEXT) | instid1(VALU_DEP_1)
	v_dual_sub_nc_u32 v5, v6, v5 :: v_dual_ashrrev_i32 v6, 8, v7
	v_add_nc_u32_e32 v5, 0x3c000000, v5
	s_delay_alu instid0(VALU_DEP_1) | instskip(NEXT) | instid1(VALU_DEP_1)
	v_and_or_b32 v5, 0x7f800000, v6, v5
	v_cndmask_b32_e32 v4, 0, v5, vcc_lo
	s_delay_alu instid0(VALU_DEP_1)
	v_and_or_b32 v4, 0x80000000, v3, v4
.LBB18_1126:
	s_mov_b32 s1, 0
.LBB18_1127:
	s_delay_alu instid0(SALU_CYCLE_1)
	s_and_not1_b32 vcc_lo, exec_lo, s1
	s_cbranch_vccnz .LBB18_1129
; %bb.1128:
	global_load_u8 v3, v[0:1], off
	s_wait_loadcnt 0x0
	v_lshlrev_b32_e32 v4, 25, v3
	v_lshlrev_b16 v3, 8, v3
	s_delay_alu instid0(VALU_DEP_1) | instskip(SKIP_1) | instid1(VALU_DEP_2)
	v_and_or_b32 v6, 0x7f00, v3, 0.5
	v_bfe_i32 v3, v3, 0, 16
	v_dual_add_f32 v6, -0.5, v6 :: v_dual_lshrrev_b32 v5, 4, v4
	v_cmp_gt_u32_e32 vcc_lo, 0x8000000, v4
	s_delay_alu instid0(VALU_DEP_2) | instskip(NEXT) | instid1(VALU_DEP_1)
	v_or_b32_e32 v5, 0x70000000, v5
	v_mul_f32_e32 v5, 0x7800000, v5
	s_delay_alu instid0(VALU_DEP_1) | instskip(NEXT) | instid1(VALU_DEP_1)
	v_cndmask_b32_e32 v4, v5, v6, vcc_lo
	v_and_or_b32 v4, 0x80000000, v3, v4
.LBB18_1129:
	s_mov_b32 s13, -1
	s_mov_b32 s12, 0
	s_cbranch_execnz .LBB18_1140
.LBB18_1130:
	s_cmp_gt_i32 s9, 14
	s_cbranch_scc0 .LBB18_1133
; %bb.1131:
	s_cmp_eq_u32 s9, 15
	s_cbranch_scc0 .LBB18_1136
; %bb.1132:
	global_load_u16 v3, v[0:1], off
	s_mov_b32 s0, 0
	s_mov_b32 s13, -1
	s_wait_loadcnt 0x0
	v_lshlrev_b32_e32 v4, 16, v3
	s_branch .LBB18_1137
.LBB18_1133:
	s_mov_b32 s1, -1
                                        ; implicit-def: $vgpr4
	s_branch .LBB18_1138
.LBB18_1134:
	s_or_saveexec_b32 s12, s12
	v_mov_b32_e32 v4, 0x7f800001
	s_xor_b32 exec_lo, exec_lo, s12
	s_cbranch_execz .LBB18_1116
.LBB18_1135:
	v_cmp_ne_u16_e32 vcc_lo, 0, v3
	v_mov_b32_e32 v4, 0
	s_and_not1_b32 s1, s1, exec_lo
	s_and_b32 s13, vcc_lo, exec_lo
	s_delay_alu instid0(SALU_CYCLE_1)
	s_or_b32 s1, s1, s13
	s_or_b32 exec_lo, exec_lo, s12
	s_and_saveexec_b32 s12, s1
	s_cbranch_execnz .LBB18_1117
	s_branch .LBB18_1118
.LBB18_1136:
	s_mov_b32 s0, -1
                                        ; implicit-def: $vgpr4
.LBB18_1137:
	s_mov_b32 s1, 0
.LBB18_1138:
	s_delay_alu instid0(SALU_CYCLE_1)
	s_and_b32 vcc_lo, exec_lo, s1
	s_cbranch_vccz .LBB18_1140
; %bb.1139:
	s_cmp_lg_u32 s9, 11
	s_mov_b32 s12, -1
	s_cselect_b32 s0, -1, 0
.LBB18_1140:
	s_delay_alu instid0(SALU_CYCLE_1)
	s_and_b32 vcc_lo, exec_lo, s0
	s_mov_b32 s1, s11
	s_cbranch_vccnz .LBB18_1209
; %bb.1141:
	s_and_not1_b32 vcc_lo, exec_lo, s12
	s_cbranch_vccnz .LBB18_1143
.LBB18_1142:
	global_load_u8 v3, v[0:1], off
	s_mov_b32 s13, -1
	s_wait_loadcnt 0x0
	v_cmp_ne_u16_e32 vcc_lo, 0, v3
	v_cndmask_b32_e64 v4, 0, 1.0, vcc_lo
.LBB18_1143:
	s_branch .LBB18_1072
.LBB18_1144:
	s_cmp_lt_i32 s9, 5
	s_cbranch_scc1 .LBB18_1149
; %bb.1145:
	s_cmp_lt_i32 s9, 8
	s_cbranch_scc1 .LBB18_1150
; %bb.1146:
	;; [unrolled: 3-line block ×3, first 2 shown]
	s_cmp_gt_i32 s9, 9
	s_cbranch_scc0 .LBB18_1152
; %bb.1148:
	global_load_b64 v[4:5], v[0:1], off
	s_mov_b32 s0, 0
	s_wait_loadcnt 0x0
	v_cvt_f32_f64_e32 v4, v[4:5]
	s_branch .LBB18_1153
.LBB18_1149:
                                        ; implicit-def: $vgpr4
	s_branch .LBB18_1170
.LBB18_1150:
                                        ; implicit-def: $vgpr4
	s_branch .LBB18_1159
.LBB18_1151:
	s_mov_b32 s0, -1
                                        ; implicit-def: $vgpr4
	s_branch .LBB18_1156
.LBB18_1152:
	s_mov_b32 s0, -1
                                        ; implicit-def: $vgpr4
.LBB18_1153:
	s_delay_alu instid0(SALU_CYCLE_1)
	s_and_not1_b32 vcc_lo, exec_lo, s0
	s_cbranch_vccnz .LBB18_1155
; %bb.1154:
	global_load_b32 v4, v[0:1], off
.LBB18_1155:
	s_mov_b32 s0, 0
.LBB18_1156:
	s_delay_alu instid0(SALU_CYCLE_1)
	s_and_not1_b32 vcc_lo, exec_lo, s0
	s_cbranch_vccnz .LBB18_1158
; %bb.1157:
	global_load_b32 v3, v[0:1], off
	s_wait_loadcnt 0x0
	v_cvt_f32_f16_e32 v4, v3
.LBB18_1158:
	s_cbranch_execnz .LBB18_1169
.LBB18_1159:
	s_cmp_lt_i32 s9, 6
	s_cbranch_scc1 .LBB18_1162
; %bb.1160:
	s_cmp_gt_i32 s9, 6
	s_cbranch_scc0 .LBB18_1163
; %bb.1161:
	s_wait_loadcnt 0x0
	global_load_b64 v[4:5], v[0:1], off
	s_mov_b32 s0, 0
	s_wait_loadcnt 0x0
	v_cvt_f32_f64_e32 v4, v[4:5]
	s_branch .LBB18_1164
.LBB18_1162:
	s_mov_b32 s0, -1
                                        ; implicit-def: $vgpr4
	s_branch .LBB18_1167
.LBB18_1163:
	s_mov_b32 s0, -1
                                        ; implicit-def: $vgpr4
.LBB18_1164:
	s_delay_alu instid0(SALU_CYCLE_1)
	s_and_not1_b32 vcc_lo, exec_lo, s0
	s_cbranch_vccnz .LBB18_1166
; %bb.1165:
	s_wait_loadcnt 0x0
	global_load_b32 v4, v[0:1], off
.LBB18_1166:
	s_mov_b32 s0, 0
.LBB18_1167:
	s_delay_alu instid0(SALU_CYCLE_1)
	s_and_not1_b32 vcc_lo, exec_lo, s0
	s_cbranch_vccnz .LBB18_1169
; %bb.1168:
	global_load_u16 v3, v[0:1], off
	s_wait_loadcnt 0x0
	v_cvt_f32_f16_e32 v4, v3
.LBB18_1169:
	s_cbranch_execnz .LBB18_1188
.LBB18_1170:
	s_cmp_lt_i32 s9, 2
	s_cbranch_scc1 .LBB18_1174
; %bb.1171:
	s_cmp_lt_i32 s9, 3
	s_cbranch_scc1 .LBB18_1175
; %bb.1172:
	s_cmp_gt_i32 s9, 3
	s_cbranch_scc0 .LBB18_1176
; %bb.1173:
	s_wait_loadcnt 0x0
	global_load_b64 v[4:5], v[0:1], off
	s_mov_b32 s0, 0
	s_wait_loadcnt 0x0
	v_xor_b32_e32 v3, v4, v5
	v_cls_i32_e32 v6, v5
	s_delay_alu instid0(VALU_DEP_2) | instskip(NEXT) | instid1(VALU_DEP_1)
	v_ashrrev_i32_e32 v3, 31, v3
	v_add_nc_u32_e32 v3, 32, v3
	s_delay_alu instid0(VALU_DEP_1) | instskip(NEXT) | instid1(VALU_DEP_1)
	v_add_min_u32_e64 v3, v6, -1, v3
	v_lshlrev_b64_e32 v[4:5], v3, v[4:5]
	v_sub_nc_u32_e32 v3, 32, v3
	s_delay_alu instid0(VALU_DEP_2) | instskip(NEXT) | instid1(VALU_DEP_1)
	v_min_u32_e32 v4, 1, v4
	v_or_b32_e32 v4, v5, v4
	s_delay_alu instid0(VALU_DEP_1) | instskip(NEXT) | instid1(VALU_DEP_1)
	v_cvt_f32_i32_e32 v4, v4
	v_ldexp_f32 v4, v4, v3
	s_branch .LBB18_1177
.LBB18_1174:
                                        ; implicit-def: $vgpr4
	s_branch .LBB18_1183
.LBB18_1175:
	s_mov_b32 s0, -1
                                        ; implicit-def: $vgpr4
	s_branch .LBB18_1180
.LBB18_1176:
	s_mov_b32 s0, -1
                                        ; implicit-def: $vgpr4
.LBB18_1177:
	s_delay_alu instid0(SALU_CYCLE_1)
	s_and_not1_b32 vcc_lo, exec_lo, s0
	s_cbranch_vccnz .LBB18_1179
; %bb.1178:
	global_load_b32 v3, v[0:1], off
	s_wait_loadcnt 0x0
	v_cvt_f32_i32_e32 v4, v3
.LBB18_1179:
	s_mov_b32 s0, 0
.LBB18_1180:
	s_delay_alu instid0(SALU_CYCLE_1)
	s_and_not1_b32 vcc_lo, exec_lo, s0
	s_cbranch_vccnz .LBB18_1182
; %bb.1181:
	global_load_i16 v3, v[0:1], off
	s_wait_loadcnt 0x0
	v_cvt_f32_i32_e32 v4, v3
.LBB18_1182:
	s_cbranch_execnz .LBB18_1188
.LBB18_1183:
	s_cmp_gt_i32 s9, 0
	s_mov_b32 s0, 0
	s_cbranch_scc0 .LBB18_1185
; %bb.1184:
	global_load_i8 v3, v[0:1], off
	s_wait_loadcnt 0x0
	v_cvt_f32_i32_e32 v4, v3
	s_branch .LBB18_1186
.LBB18_1185:
	s_mov_b32 s0, -1
                                        ; implicit-def: $vgpr4
.LBB18_1186:
	s_delay_alu instid0(SALU_CYCLE_1)
	s_and_not1_b32 vcc_lo, exec_lo, s0
	s_cbranch_vccnz .LBB18_1188
; %bb.1187:
	global_load_u8 v0, v[0:1], off
	s_wait_loadcnt 0x0
	v_cvt_f32_ubyte0_e32 v4, v0
.LBB18_1188:
.LBB18_1189:
	s_wait_xcnt 0x0
	v_mov_b32_e32 v0, 0x7f800000
	s_mov_b32 s12, exec_lo
	s_wait_loadcnt 0x0
	s_delay_alu instid0(VALU_DEP_2)
	v_cmpx_neq_f32_e32 0, v4
	s_cbranch_execz .LBB18_1197
; %bb.1190:
	v_mov_b32_e32 v0, 0x7fc00000
	s_mov_b32 s13, exec_lo
	v_cmpx_ngt_f32_e32 0, v4
	s_cbranch_execz .LBB18_1196
; %bb.1191:
                                        ; implicit-def: $vgpr0
	s_mov_b32 s0, exec_lo
	v_cmpx_ge_f32_e32 2.0, v4
	s_xor_b32 s14, exec_lo, s0
	s_cbranch_execz .LBB18_1193
; %bb.1192:
	v_mov_b32_e32 v5, 0.5
	s_mov_b32 s0, 0xa2a2e5b9
	v_mov_b64_e32 v[8:9], 0x3ad6e3ac293fd856
	v_mov_b64_e32 v[14:15], 0xbb8db2f12d3612e2
	;; [unrolled: 1-line block ×3, first 2 shown]
	v_pk_fma_f32 v[0:1], v[4:5], v[4:5], -2.0 op_sel_hi:[0,1,0]
	s_delay_alu instid0(VALU_DEP_1) | instskip(NEXT) | instid1(VALU_DEP_2)
	v_fmaak_f32 v3, s0, v1, 0x24199b15
	v_mul_f32_e32 v12, 0x251e770f, v0
	s_mov_b32 s0, 0xa51e770f
	s_delay_alu instid0(VALU_DEP_2) | instskip(SKIP_1) | instid1(VALU_DEP_2)
	v_fmaak_f32 v6, v1, v3, 0x22a2e5b9
	v_pk_mul_f32 v[16:17], v[4:5], v[4:5] op_sel_hi:[0,1]
	v_add_f32_e32 v6, 0xa58c275c, v6
	s_delay_alu instid0(VALU_DEP_2) | instskip(NEXT) | instid1(VALU_DEP_2)
	v_cmp_gt_f32_e32 vcc_lo, 0x800000, v17
	v_fma_f32 v3, v1, v6, -v3
	s_delay_alu instid0(VALU_DEP_1) | instskip(NEXT) | instid1(VALU_DEP_1)
	v_add_f32_e32 v3, 0x26f736c5, v3
	v_fma_f32 v6, v1, v3, -v6
	s_delay_alu instid0(VALU_DEP_1) | instskip(NEXT) | instid1(VALU_DEP_1)
	v_add_f32_e32 v6, 0xa8528116, v6
	;; [unrolled: 3-line block ×17, first 2 shown]
	v_fma_f32 v6, v1, v3, -v6
	s_delay_alu instid0(VALU_DEP_1) | instskip(SKIP_1) | instid1(VALU_DEP_2)
	v_add_f32_e32 v7, 0xba1717e9, v6
	v_mov_b32_e32 v6, 0xa51e770f
	v_fma_f32 v13, v1, v7, -v3
	v_mul_f32_e32 v3, 0x3fb8aa3b, v4
	s_delay_alu instid0(VALU_DEP_2) | instskip(SKIP_1) | instid1(VALU_DEP_3)
	v_pk_add_f32 v[8:9], v[12:13], v[8:9]
	v_mov_b64_e32 v[12:13], s[0:1]
	v_rndne_f32_e32 v11, v3
	v_cmp_ngt_f32_e64 s0, 0xc2ce8ed0, v4
	s_delay_alu instid0(VALU_DEP_4) | instskip(NEXT) | instid1(VALU_DEP_4)
	v_pk_fma_f32 v[6:7], v[0:1], v[8:9], v[6:7] neg_lo:[0,0,1] neg_hi:[0,0,1]
	v_pk_fma_f32 v[12:13], v[0:1], v[8:9], v[12:13]
	s_delay_alu instid0(VALU_DEP_2) | instskip(NEXT) | instid1(VALU_DEP_1)
	v_mov_b32_e32 v13, v7
	v_pk_add_f32 v[6:7], v[12:13], v[14:15]
	v_mov_b64_e32 v[12:13], 0x3c2ccb103102e09b
	v_mov_b64_e32 v[14:15], 0xc000000037bfc808
	s_delay_alu instid0(VALU_DEP_3) | instskip(NEXT) | instid1(VALU_DEP_1)
	v_pk_fma_f32 v[8:9], v[0:1], v[6:7], v[8:9] neg_lo:[0,0,1] neg_hi:[0,0,1]
	v_pk_add_f32 v[8:9], v[8:9], v[12:13]
	v_mov_b64_e32 v[12:13], 0xbcc274f8348815e7
	s_delay_alu instid0(VALU_DEP_2) | instskip(NEXT) | instid1(VALU_DEP_1)
	v_pk_fma_f32 v[6:7], v[0:1], v[8:9], v[6:7] neg_lo:[0,0,1] neg_hi:[0,0,1]
	v_pk_add_f32 v[6:7], v[6:7], v[12:13]
	v_mov_b64_e32 v[12:13], 0x3d49f45637bfc808
	s_delay_alu instid0(VALU_DEP_2) | instskip(NEXT) | instid1(VALU_DEP_1)
	v_pk_fma_f32 v[8:9], v[0:1], v[6:7], v[8:9] neg_lo:[0,0,1] neg_hi:[0,0,1]
	v_mov_b32_e32 v16, v8
	s_delay_alu instid0(VALU_DEP_2) | instskip(SKIP_1) | instid1(VALU_DEP_3)
	v_pk_add_f32 v[8:9], v[8:9], v[12:13]
	v_mov_b32_e32 v12, v0
	v_pk_add_f32 v[14:15], v[16:17], v[14:15]
	s_delay_alu instid0(VALU_DEP_3) | instskip(NEXT) | instid1(VALU_DEP_1)
	v_mov_b32_e32 v13, v9
	v_pk_fma_f32 v[6:7], v[14:15], v[12:13], v[6:7] neg_lo:[0,0,1] neg_hi:[0,0,1]
	v_mov_b64_e32 v[12:13], 0x3e2fbd643d135fb3
	v_cndmask_b32_e64 v15, 0, 32, vcc_lo
	v_fma_f32 v14, 0x3fb8aa3b, v4, -v3
	v_sub_f32_e32 v3, v3, v11
	v_pk_add_f32 v[6:7], v[6:7], v[18:19]
	v_cvt_i32_f32_e32 v11, v11
	s_delay_alu instid0(VALU_DEP_4) | instskip(NEXT) | instid1(VALU_DEP_3)
	v_fmamk_f32 v14, v4, 0x32a5705f, v14
	v_pk_fma_f32 v[8:9], v[0:1], v[6:7], v[8:9] neg_lo:[0,0,1] neg_hi:[0,0,1]
	s_delay_alu instid0(VALU_DEP_2) | instskip(NEXT) | instid1(VALU_DEP_2)
	v_add_f32_e32 v3, v3, v14
	v_pk_add_f32 v[8:9], v[8:9], v[12:13]
	v_ldexp_f32 v12, v17, v15
	s_delay_alu instid0(VALU_DEP_3) | instskip(NEXT) | instid1(VALU_DEP_2)
	v_exp_f32_e32 v3, v3
	v_pk_fma_f32 v[6:7], v[0:1], v[8:9], v[6:7] neg_lo:[0,0,1] neg_hi:[0,0,1]
	s_delay_alu instid0(VALU_DEP_2) | instskip(NEXT) | instid1(TRANS32_DEP_2)
	v_log_f32_e32 v16, v12
	v_ldexp_f32 v3, v3, v11
	s_delay_alu instid0(VALU_DEP_2) | instskip(NEXT) | instid1(VALU_DEP_3)
	v_add_f32_e32 v7, 0xbe9bff5e, v7
	v_add_f32_e32 v6, 0x3eb046c4, v6
	s_delay_alu instid0(TRANS32_DEP_1) | instskip(NEXT) | instid1(VALU_DEP_4)
	v_mul_f32_e32 v12, 0x3f317217, v16
	v_cndmask_b32_e64 v3, 0, v3, s0
	s_delay_alu instid0(VALU_DEP_3) | instskip(NEXT) | instid1(VALU_DEP_3)
	v_dual_fma_f32 v1, v1, v7, -v9 :: v_dual_mul_f32 v0, v0, v6
	v_fma_f32 v7, 0x3f317217, v16, -v12
	v_cmp_nlt_f32_e64 s0, 0x42b17218, v4
	v_mov_b32_e32 v6, 0xbf090b37
	s_delay_alu instid0(VALU_DEP_4) | instskip(NEXT) | instid1(VALU_DEP_4)
	v_dual_add_f32 v1, 0x3f2d4275, v1 :: v_dual_mov_b32 v12, v8
	v_fmamk_f32 v7, v16, 0x3377d1cf, v7
	s_delay_alu instid0(VALU_DEP_4) | instskip(SKIP_1) | instid1(VALU_DEP_4)
	v_cndmask_b32_e64 v13, 0x7f800000, v3, s0
	v_cndmask_b32_e64 v3, 0, 0x41b17218, vcc_lo
	v_pk_add_f32 v[0:1], v[0:1], v[8:9] neg_lo:[0,1] neg_hi:[0,1]
	v_cmp_gt_f32_e64 vcc_lo, 0x7f800000, |v16|
	v_fmac_f32_e32 v7, 0x3f317217, v16
	s_delay_alu instid0(VALU_DEP_3) | instskip(NEXT) | instid1(VALU_DEP_2)
	v_pk_mul_f32 v[14:15], v[0:1], v[4:5]
	v_pk_add_f32 v[0:1], v[0:1], v[6:7]
	v_cndmask_b32_e32 v4, v16, v7, vcc_lo
	s_delay_alu instid0(VALU_DEP_3) | instskip(SKIP_1) | instid1(VALU_DEP_4)
	v_pk_mul_f32 v[6:7], v[14:15], v[12:13]
	v_mov_b32_e32 v14, v5
	v_pk_add_f32 v[0:1], v[0:1], v[8:9] neg_lo:[0,1] neg_hi:[0,1]
	s_delay_alu instid0(VALU_DEP_4) | instskip(NEXT) | instid1(VALU_DEP_4)
	v_sub_f32_e32 v15, v4, v3
                                        ; implicit-def: $vgpr4
	v_mov_b32_e32 v1, v7
	s_delay_alu instid0(VALU_DEP_1) | instskip(NEXT) | instid1(VALU_DEP_1)
	v_pk_mul_f32 v[0:1], v[14:15], v[0:1]
	v_sub_f32_e32 v0, v0, v1
	s_delay_alu instid0(VALU_DEP_1)
	v_mul_f32_e32 v0, v13, v0
.LBB18_1193:
	s_and_not1_saveexec_b32 s14, s14
	s_cbranch_execz .LBB18_1195
; %bb.1194:
	v_div_scale_f32 v0, null, v4, v4, 0x41000000
	v_div_scale_f32 v5, vcc_lo, 0x41000000, v4, 0x41000000
	s_mov_b32 s0, 0x22c38d2e
	v_rcp_f32_e32 v1, v0
	v_nop
	s_delay_alu instid0(TRANS32_DEP_1) | instskip(NEXT) | instid1(VALU_DEP_1)
	v_fma_f32 v3, -v0, v1, 1.0
	v_fmac_f32_e32 v1, v3, v1
	s_delay_alu instid0(VALU_DEP_1) | instskip(NEXT) | instid1(VALU_DEP_1)
	v_mul_f32_e32 v3, v5, v1
	v_fma_f32 v6, -v0, v3, v5
	s_delay_alu instid0(VALU_DEP_1) | instskip(NEXT) | instid1(VALU_DEP_1)
	v_fmac_f32_e32 v3, v6, v1
	v_fma_f32 v0, -v0, v3, v5
	v_mul_f32_e32 v5, 0x4f800000, v4
	s_delay_alu instid0(VALU_DEP_2) | instskip(SKIP_1) | instid1(VALU_DEP_2)
	v_div_fmas_f32 v0, v0, v1, v3
	v_cmp_gt_f32_e32 vcc_lo, 0xf800000, v4
	v_div_fixup_f32 v0, v0, v4, 0x41000000
	s_delay_alu instid0(VALU_DEP_1) | instskip(NEXT) | instid1(VALU_DEP_1)
	v_dual_cndmask_b32 v4, v4, v5, vcc_lo :: v_dual_add_f32 v0, -2.0, v0
	v_sqrt_f32_e32 v5, v4
	v_nop
	s_delay_alu instid0(TRANS32_DEP_1) | instskip(SKIP_1) | instid1(VALU_DEP_2)
	v_dual_fmaak_f32 v1, s0, v0, 0xa397f665 :: v_dual_add_nc_u32 v6, -1, v5
	v_add_nc_u32_e32 v7, 1, v5
	v_fmaak_f32 v3, v0, v1, 0xa2c38d2e
	s_delay_alu instid0(VALU_DEP_2) | instskip(NEXT) | instid1(VALU_DEP_2)
	v_dual_fma_f32 v8, -v6, v5, v4 :: v_dual_fma_f32 v9, -v7, v5, v4
	v_add_f32_e32 v3, 0x24704972, v3
	s_delay_alu instid0(VALU_DEP_2) | instskip(NEXT) | instid1(VALU_DEP_1)
	v_cmp_ge_f32_e64 s0, 0, v8
	v_dual_fma_f32 v1, v0, v3, -v1 :: v_dual_cndmask_b32 v5, v5, v6, s0
	s_delay_alu instid0(VALU_DEP_4) | instskip(NEXT) | instid1(VALU_DEP_2)
	v_cmp_lt_f32_e64 s0, 0, v9
	v_add_f32_e32 v1, 0xa5417ca4, v1
	s_delay_alu instid0(VALU_DEP_1) | instskip(NEXT) | instid1(VALU_DEP_1)
	v_dual_cndmask_b32 v5, v5, v7, s0 :: v_dual_fma_f32 v3, v0, v1, -v3
	v_add_f32_e32 v3, 0x261edfcb, v3
	s_delay_alu instid0(VALU_DEP_1) | instskip(NEXT) | instid1(VALU_DEP_1)
	v_fma_f32 v1, v0, v3, -v1
	v_add_f32_e32 v1, 0xa7053487, v1
	s_delay_alu instid0(VALU_DEP_1) | instskip(NEXT) | instid1(VALU_DEP_1)
	v_fma_f32 v3, v0, v1, -v3
	;; [unrolled: 3-line block ×19, first 2 shown]
	v_add_f32_e32 v1, 0xbd00cfb9, v1
	s_delay_alu instid0(VALU_DEP_1) | instskip(SKIP_1) | instid1(VALU_DEP_1)
	v_fma_f32 v0, v0, v1, -v3
	v_mul_f32_e32 v1, 0x37800000, v5
	v_dual_add_f32 v0, 0x401c2ded, v0 :: v_dual_cndmask_b32 v1, v5, v1
	v_cmp_class_f32_e64 vcc_lo, v4, 0x260
	s_delay_alu instid0(VALU_DEP_2) | instskip(NEXT) | instid1(VALU_DEP_1)
	v_dual_sub_f32 v0, v0, v3 :: v_dual_cndmask_b32 v1, v1, v4
	v_mul_f32_e32 v0, 0.5, v0
	s_delay_alu instid0(VALU_DEP_1) | instskip(NEXT) | instid1(VALU_DEP_1)
	v_div_scale_f32 v3, null, v1, v1, v0
	v_rcp_f32_e32 v4, v3
	v_nop
	s_delay_alu instid0(TRANS32_DEP_1) | instskip(NEXT) | instid1(VALU_DEP_1)
	v_fma_f32 v5, -v3, v4, 1.0
	v_fmac_f32_e32 v4, v5, v4
	v_div_scale_f32 v5, vcc_lo, v0, v1, v0
	s_delay_alu instid0(VALU_DEP_1) | instskip(NEXT) | instid1(VALU_DEP_1)
	v_mul_f32_e32 v6, v5, v4
	v_fma_f32 v7, -v3, v6, v5
	s_delay_alu instid0(VALU_DEP_1) | instskip(NEXT) | instid1(VALU_DEP_1)
	v_fmac_f32_e32 v6, v7, v4
	v_fma_f32 v3, -v3, v6, v5
	s_delay_alu instid0(VALU_DEP_1) | instskip(NEXT) | instid1(VALU_DEP_1)
	v_div_fmas_f32 v3, v3, v4, v6
	v_div_fixup_f32 v0, v3, v1, v0
.LBB18_1195:
	s_or_b32 exec_lo, exec_lo, s14
.LBB18_1196:
	s_delay_alu instid0(SALU_CYCLE_1)
	s_or_b32 exec_lo, exec_lo, s13
.LBB18_1197:
	s_delay_alu instid0(SALU_CYCLE_1) | instskip(SKIP_3) | instid1(VALU_DEP_1)
	s_or_b32 exec_lo, exec_lo, s12
	s_lshl_b32 s3, s3, 7
	s_cmp_lt_i32 s9, 11
	v_add_nc_u32_e32 v4, s3, v2
	v_ashrrev_i32_e32 v5, 31, v4
	s_delay_alu instid0(VALU_DEP_1)
	v_add_nc_u64_e32 v[2:3], s[6:7], v[4:5]
	s_cbranch_scc1 .LBB18_1204
; %bb.1198:
	s_cmp_gt_i32 s9, 25
	s_mov_b32 s12, 0
	s_cbranch_scc0 .LBB18_1206
; %bb.1199:
	s_cmp_gt_i32 s9, 28
	s_cbranch_scc0 .LBB18_1207
; %bb.1200:
	s_cmp_gt_i32 s9, 43
	;; [unrolled: 3-line block ×3, first 2 shown]
	s_cbranch_scc0 .LBB18_1210
; %bb.1202:
	s_cmp_eq_u32 s9, 46
	s_mov_b32 s14, 0
	s_cbranch_scc0 .LBB18_1213
; %bb.1203:
	global_load_b32 v1, v[2:3], off
	s_mov_b32 s0, 0
	s_mov_b32 s13, -1
	s_wait_loadcnt 0x0
	v_lshlrev_b32_e32 v6, 16, v1
	s_branch .LBB18_1215
.LBB18_1204:
	s_mov_b32 s13, 0
                                        ; implicit-def: $vgpr6
	s_cbranch_execnz .LBB18_1280
.LBB18_1205:
	s_and_not1_b32 vcc_lo, exec_lo, s13
	s_cbranch_vccnz .LBB18_1690
	s_branch .LBB18_1327
.LBB18_1206:
	s_mov_b32 s13, 0
	s_mov_b32 s0, 0
                                        ; implicit-def: $vgpr6
	s_cbranch_execnz .LBB18_1244
	s_branch .LBB18_1276
.LBB18_1207:
	s_mov_b32 s14, -1
	s_mov_b32 s13, 0
	s_mov_b32 s0, 0
                                        ; implicit-def: $vgpr6
	s_branch .LBB18_1225
.LBB18_1208:
	s_mov_b32 s14, -1
	s_mov_b32 s13, 0
	s_mov_b32 s0, 0
                                        ; implicit-def: $vgpr6
	s_branch .LBB18_1220
.LBB18_1209:
	s_or_b32 s1, s11, exec_lo
	s_trap 2
	s_cbranch_execz .LBB18_1142
	s_branch .LBB18_1143
.LBB18_1210:
	s_mov_b32 s14, -1
	s_mov_b32 s13, 0
	s_mov_b32 s0, 0
	s_branch .LBB18_1214
.LBB18_1211:
	s_and_not1_saveexec_b32 s19, s19
	s_cbranch_execz .LBB18_988
.LBB18_1212:
	v_add_f32_e64 v1, 0x42800000, |v0|
	s_and_not1_b32 s18, s18, exec_lo
	s_delay_alu instid0(VALU_DEP_1) | instskip(NEXT) | instid1(VALU_DEP_1)
	v_and_b32_e32 v1, 0xff, v1
	v_cmp_ne_u32_e32 vcc_lo, 0, v1
	s_and_b32 s20, vcc_lo, exec_lo
	s_delay_alu instid0(SALU_CYCLE_1)
	s_or_b32 s18, s18, s20
	s_or_b32 exec_lo, exec_lo, s19
	v_mov_b32_e32 v2, 0
	s_and_saveexec_b32 s19, s18
	s_cbranch_execnz .LBB18_989
	s_branch .LBB18_990
.LBB18_1213:
	s_mov_b32 s0, -1
	s_mov_b32 s13, 0
.LBB18_1214:
                                        ; implicit-def: $vgpr6
.LBB18_1215:
	s_and_b32 vcc_lo, exec_lo, s14
	s_cbranch_vccz .LBB18_1219
; %bb.1216:
	s_cmp_eq_u32 s9, 44
	s_cbranch_scc0 .LBB18_1218
; %bb.1217:
	global_load_u8 v1, v[2:3], off
	s_mov_b32 s0, 0
	s_mov_b32 s13, -1
	s_wait_loadcnt 0x0
	v_lshlrev_b32_e32 v5, 23, v1
	v_cmp_ne_u32_e32 vcc_lo, 0xff, v1
	s_delay_alu instid0(VALU_DEP_2) | instskip(SKIP_1) | instid1(VALU_DEP_2)
	v_cndmask_b32_e32 v5, 0x7f800001, v5, vcc_lo
	v_cmp_ne_u32_e32 vcc_lo, 0, v1
	v_cndmask_b32_e32 v6, 0x400000, v5, vcc_lo
	s_branch .LBB18_1219
.LBB18_1218:
	s_mov_b32 s0, -1
                                        ; implicit-def: $vgpr6
.LBB18_1219:
	s_mov_b32 s14, 0
.LBB18_1220:
	s_delay_alu instid0(SALU_CYCLE_1)
	s_and_b32 vcc_lo, exec_lo, s14
	s_cbranch_vccz .LBB18_1224
; %bb.1221:
	s_cmp_eq_u32 s9, 29
	s_cbranch_scc0 .LBB18_1223
; %bb.1222:
	global_load_b64 v[6:7], v[2:3], off
	s_mov_b32 s0, 0
	s_mov_b32 s13, -1
	s_mov_b32 s14, 0
	s_wait_loadcnt 0x0
	v_clz_i32_u32_e32 v1, v7
	s_delay_alu instid0(VALU_DEP_1) | instskip(NEXT) | instid1(VALU_DEP_1)
	v_min_u32_e32 v1, 32, v1
	v_lshlrev_b64_e32 v[6:7], v1, v[6:7]
	v_sub_nc_u32_e32 v1, 32, v1
	s_delay_alu instid0(VALU_DEP_2) | instskip(NEXT) | instid1(VALU_DEP_1)
	v_min_u32_e32 v5, 1, v6
	v_or_b32_e32 v5, v7, v5
	s_delay_alu instid0(VALU_DEP_1) | instskip(NEXT) | instid1(VALU_DEP_1)
	v_cvt_f32_u32_e32 v5, v5
	v_ldexp_f32 v6, v5, v1
	s_branch .LBB18_1225
.LBB18_1223:
	s_mov_b32 s0, -1
                                        ; implicit-def: $vgpr6
.LBB18_1224:
	s_mov_b32 s14, 0
.LBB18_1225:
	s_delay_alu instid0(SALU_CYCLE_1)
	s_and_b32 vcc_lo, exec_lo, s14
	s_cbranch_vccz .LBB18_1243
; %bb.1226:
	s_cmp_lt_i32 s9, 27
	s_cbranch_scc1 .LBB18_1229
; %bb.1227:
	s_cmp_gt_i32 s9, 27
	s_cbranch_scc0 .LBB18_1230
; %bb.1228:
	global_load_b32 v1, v[2:3], off
	s_mov_b32 s13, 0
	s_wait_loadcnt 0x0
	v_cvt_f32_u32_e32 v6, v1
	s_branch .LBB18_1231
.LBB18_1229:
	s_mov_b32 s13, -1
                                        ; implicit-def: $vgpr6
	s_branch .LBB18_1234
.LBB18_1230:
	s_mov_b32 s13, -1
                                        ; implicit-def: $vgpr6
.LBB18_1231:
	s_delay_alu instid0(SALU_CYCLE_1)
	s_and_not1_b32 vcc_lo, exec_lo, s13
	s_cbranch_vccnz .LBB18_1233
; %bb.1232:
	global_load_u16 v1, v[2:3], off
	s_wait_loadcnt 0x0
	v_cvt_f32_u32_e32 v6, v1
.LBB18_1233:
	s_mov_b32 s13, 0
.LBB18_1234:
	s_delay_alu instid0(SALU_CYCLE_1)
	s_and_not1_b32 vcc_lo, exec_lo, s13
	s_cbranch_vccnz .LBB18_1242
; %bb.1235:
	global_load_u8 v1, v[2:3], off
	s_mov_b32 s13, 0
	s_mov_b32 s14, exec_lo
	s_wait_loadcnt 0x0
	v_cmpx_lt_i16_e32 0x7f, v1
	s_xor_b32 s14, exec_lo, s14
	s_cbranch_execz .LBB18_1255
; %bb.1236:
	s_mov_b32 s13, -1
	s_mov_b32 s15, exec_lo
	v_cmpx_eq_u16_e32 0x80, v1
; %bb.1237:
	s_xor_b32 s13, exec_lo, -1
; %bb.1238:
	s_or_b32 exec_lo, exec_lo, s15
	s_delay_alu instid0(SALU_CYCLE_1)
	s_and_b32 s13, s13, exec_lo
	s_or_saveexec_b32 s14, s14
	v_mov_b32_e32 v6, 0x7f800001
	s_xor_b32 exec_lo, exec_lo, s14
	s_cbranch_execnz .LBB18_1256
.LBB18_1239:
	s_or_b32 exec_lo, exec_lo, s14
	s_and_saveexec_b32 s14, s13
	s_cbranch_execz .LBB18_1241
.LBB18_1240:
	v_and_b32_e32 v5, 0xffff, v1
	s_delay_alu instid0(VALU_DEP_1) | instskip(SKIP_1) | instid1(VALU_DEP_2)
	v_and_b32_e32 v6, 7, v5
	v_bfe_u32 v9, v5, 3, 4
	v_clz_i32_u32_e32 v7, v6
	s_delay_alu instid0(VALU_DEP_2) | instskip(NEXT) | instid1(VALU_DEP_2)
	v_cmp_eq_u32_e32 vcc_lo, 0, v9
	v_min_u32_e32 v7, 32, v7
	s_delay_alu instid0(VALU_DEP_1) | instskip(NEXT) | instid1(VALU_DEP_1)
	v_subrev_nc_u32_e32 v8, 28, v7
	v_dual_lshlrev_b32 v5, v8, v5 :: v_dual_sub_nc_u32 v7, 29, v7
	s_delay_alu instid0(VALU_DEP_1) | instskip(NEXT) | instid1(VALU_DEP_2)
	v_and_b32_e32 v5, 7, v5
	v_dual_lshlrev_b32 v1, 24, v1 :: v_dual_cndmask_b32 v7, v9, v7, vcc_lo
	s_delay_alu instid0(VALU_DEP_2) | instskip(NEXT) | instid1(VALU_DEP_2)
	v_cndmask_b32_e32 v5, v6, v5, vcc_lo
	v_and_b32_e32 v1, 0x80000000, v1
	s_delay_alu instid0(VALU_DEP_3) | instskip(NEXT) | instid1(VALU_DEP_3)
	v_lshl_add_u32 v6, v7, 23, 0x3b800000
	v_lshlrev_b32_e32 v5, 20, v5
	s_delay_alu instid0(VALU_DEP_1)
	v_or3_b32 v6, v1, v6, v5
.LBB18_1241:
	s_or_b32 exec_lo, exec_lo, s14
.LBB18_1242:
	s_mov_b32 s13, -1
.LBB18_1243:
	s_branch .LBB18_1276
.LBB18_1244:
	s_cmp_gt_i32 s9, 22
	s_cbranch_scc0 .LBB18_1254
; %bb.1245:
	s_cmp_lt_i32 s9, 24
	s_cbranch_scc1 .LBB18_1257
; %bb.1246:
	s_cmp_gt_i32 s9, 24
	s_cbranch_scc0 .LBB18_1258
; %bb.1247:
	global_load_u8 v1, v[2:3], off
	s_mov_b32 s13, exec_lo
	s_wait_loadcnt 0x0
	v_cmpx_lt_i16_e32 0x7f, v1
	s_xor_b32 s13, exec_lo, s13
	s_cbranch_execz .LBB18_1270
; %bb.1248:
	s_mov_b32 s12, -1
	s_mov_b32 s14, exec_lo
	v_cmpx_eq_u16_e32 0x80, v1
; %bb.1249:
	s_xor_b32 s12, exec_lo, -1
; %bb.1250:
	s_or_b32 exec_lo, exec_lo, s14
	s_delay_alu instid0(SALU_CYCLE_1)
	s_and_b32 s12, s12, exec_lo
	s_or_saveexec_b32 s13, s13
	v_mov_b32_e32 v6, 0x7f800001
	s_xor_b32 exec_lo, exec_lo, s13
	s_cbranch_execnz .LBB18_1271
.LBB18_1251:
	s_or_b32 exec_lo, exec_lo, s13
	s_and_saveexec_b32 s13, s12
	s_cbranch_execz .LBB18_1253
.LBB18_1252:
	v_and_b32_e32 v5, 0xffff, v1
	s_delay_alu instid0(VALU_DEP_1) | instskip(SKIP_1) | instid1(VALU_DEP_2)
	v_and_b32_e32 v6, 3, v5
	v_bfe_u32 v9, v5, 2, 5
	v_clz_i32_u32_e32 v7, v6
	s_delay_alu instid0(VALU_DEP_2) | instskip(NEXT) | instid1(VALU_DEP_2)
	v_cmp_eq_u32_e32 vcc_lo, 0, v9
	v_min_u32_e32 v7, 32, v7
	s_delay_alu instid0(VALU_DEP_1) | instskip(NEXT) | instid1(VALU_DEP_1)
	v_subrev_nc_u32_e32 v8, 29, v7
	v_dual_lshlrev_b32 v5, v8, v5 :: v_dual_sub_nc_u32 v7, 30, v7
	s_delay_alu instid0(VALU_DEP_1) | instskip(NEXT) | instid1(VALU_DEP_2)
	v_and_b32_e32 v5, 3, v5
	v_dual_lshlrev_b32 v1, 24, v1 :: v_dual_cndmask_b32 v7, v9, v7, vcc_lo
	s_delay_alu instid0(VALU_DEP_2) | instskip(NEXT) | instid1(VALU_DEP_2)
	v_cndmask_b32_e32 v5, v6, v5, vcc_lo
	v_and_b32_e32 v1, 0x80000000, v1
	s_delay_alu instid0(VALU_DEP_3) | instskip(NEXT) | instid1(VALU_DEP_3)
	v_lshl_add_u32 v6, v7, 23, 0x37800000
	v_lshlrev_b32_e32 v5, 21, v5
	s_delay_alu instid0(VALU_DEP_1)
	v_or3_b32 v6, v1, v6, v5
.LBB18_1253:
	s_or_b32 exec_lo, exec_lo, s13
	s_mov_b32 s12, 0
	s_branch .LBB18_1259
.LBB18_1254:
	s_mov_b32 s12, -1
                                        ; implicit-def: $vgpr6
	s_branch .LBB18_1265
.LBB18_1255:
	s_or_saveexec_b32 s14, s14
	v_mov_b32_e32 v6, 0x7f800001
	s_xor_b32 exec_lo, exec_lo, s14
	s_cbranch_execz .LBB18_1239
.LBB18_1256:
	v_cmp_ne_u16_e32 vcc_lo, 0, v1
	v_mov_b32_e32 v6, 0
	s_and_not1_b32 s13, s13, exec_lo
	s_and_b32 s15, vcc_lo, exec_lo
	s_delay_alu instid0(SALU_CYCLE_1)
	s_or_b32 s13, s13, s15
	s_or_b32 exec_lo, exec_lo, s14
	s_and_saveexec_b32 s14, s13
	s_cbranch_execnz .LBB18_1240
	s_branch .LBB18_1241
.LBB18_1257:
	s_mov_b32 s12, -1
                                        ; implicit-def: $vgpr6
	s_branch .LBB18_1262
.LBB18_1258:
	s_mov_b32 s12, -1
                                        ; implicit-def: $vgpr6
.LBB18_1259:
	s_delay_alu instid0(SALU_CYCLE_1)
	s_and_b32 vcc_lo, exec_lo, s12
	s_cbranch_vccz .LBB18_1261
; %bb.1260:
	global_load_u8 v1, v[2:3], off
	s_wait_loadcnt 0x0
	v_lshlrev_b32_e32 v1, 24, v1
	s_delay_alu instid0(VALU_DEP_1) | instskip(NEXT) | instid1(VALU_DEP_1)
	v_and_b32_e32 v5, 0x7f000000, v1
	v_clz_i32_u32_e32 v6, v5
	v_cmp_ne_u32_e32 vcc_lo, 0, v5
	v_add_nc_u32_e32 v8, 0x1000000, v5
	s_delay_alu instid0(VALU_DEP_3) | instskip(NEXT) | instid1(VALU_DEP_1)
	v_min_u32_e32 v6, 32, v6
	v_sub_nc_u32_e64 v6, v6, 4 clamp
	s_delay_alu instid0(VALU_DEP_1) | instskip(NEXT) | instid1(VALU_DEP_1)
	v_dual_lshlrev_b32 v7, v6, v5 :: v_dual_lshlrev_b32 v6, 23, v6
	v_lshrrev_b32_e32 v7, 4, v7
	s_delay_alu instid0(VALU_DEP_1) | instskip(NEXT) | instid1(VALU_DEP_1)
	v_dual_sub_nc_u32 v6, v7, v6 :: v_dual_ashrrev_i32 v7, 8, v8
	v_add_nc_u32_e32 v6, 0x3c000000, v6
	s_delay_alu instid0(VALU_DEP_1) | instskip(NEXT) | instid1(VALU_DEP_1)
	v_and_or_b32 v6, 0x7f800000, v7, v6
	v_cndmask_b32_e32 v5, 0, v6, vcc_lo
	s_delay_alu instid0(VALU_DEP_1)
	v_and_or_b32 v6, 0x80000000, v1, v5
.LBB18_1261:
	s_mov_b32 s12, 0
.LBB18_1262:
	s_delay_alu instid0(SALU_CYCLE_1)
	s_and_not1_b32 vcc_lo, exec_lo, s12
	s_cbranch_vccnz .LBB18_1264
; %bb.1263:
	global_load_u8 v1, v[2:3], off
	s_wait_loadcnt 0x0
	v_lshlrev_b32_e32 v5, 25, v1
	v_lshlrev_b16 v1, 8, v1
	s_delay_alu instid0(VALU_DEP_1) | instskip(SKIP_1) | instid1(VALU_DEP_2)
	v_and_or_b32 v7, 0x7f00, v1, 0.5
	v_bfe_i32 v1, v1, 0, 16
	v_dual_add_f32 v7, -0.5, v7 :: v_dual_lshrrev_b32 v6, 4, v5
	v_cmp_gt_u32_e32 vcc_lo, 0x8000000, v5
	s_delay_alu instid0(VALU_DEP_2) | instskip(NEXT) | instid1(VALU_DEP_1)
	v_or_b32_e32 v6, 0x70000000, v6
	v_mul_f32_e32 v6, 0x7800000, v6
	s_delay_alu instid0(VALU_DEP_1) | instskip(NEXT) | instid1(VALU_DEP_1)
	v_cndmask_b32_e32 v5, v6, v7, vcc_lo
	v_and_or_b32 v6, 0x80000000, v1, v5
.LBB18_1264:
	s_mov_b32 s12, 0
	s_mov_b32 s13, -1
.LBB18_1265:
	s_and_not1_b32 vcc_lo, exec_lo, s12
	s_mov_b32 s12, 0
	s_cbranch_vccnz .LBB18_1276
; %bb.1266:
	s_cmp_gt_i32 s9, 14
	s_cbranch_scc0 .LBB18_1269
; %bb.1267:
	s_cmp_eq_u32 s9, 15
	s_cbranch_scc0 .LBB18_1272
; %bb.1268:
	global_load_u16 v1, v[2:3], off
	s_mov_b32 s0, 0
	s_mov_b32 s13, -1
	s_wait_loadcnt 0x0
	v_lshlrev_b32_e32 v6, 16, v1
	s_branch .LBB18_1274
.LBB18_1269:
	s_mov_b32 s12, -1
	s_branch .LBB18_1273
.LBB18_1270:
	s_or_saveexec_b32 s13, s13
	v_mov_b32_e32 v6, 0x7f800001
	s_xor_b32 exec_lo, exec_lo, s13
	s_cbranch_execz .LBB18_1251
.LBB18_1271:
	v_cmp_ne_u16_e32 vcc_lo, 0, v1
	v_mov_b32_e32 v6, 0
	s_and_not1_b32 s12, s12, exec_lo
	s_and_b32 s14, vcc_lo, exec_lo
	s_delay_alu instid0(SALU_CYCLE_1)
	s_or_b32 s12, s12, s14
	s_or_b32 exec_lo, exec_lo, s13
	s_and_saveexec_b32 s13, s12
	s_cbranch_execnz .LBB18_1252
	s_branch .LBB18_1253
.LBB18_1272:
	s_mov_b32 s0, -1
.LBB18_1273:
                                        ; implicit-def: $vgpr6
.LBB18_1274:
	s_and_b32 vcc_lo, exec_lo, s12
	s_mov_b32 s12, 0
	s_cbranch_vccz .LBB18_1276
; %bb.1275:
	s_cmp_lg_u32 s9, 11
	s_mov_b32 s12, -1
	s_cselect_b32 s0, -1, 0
.LBB18_1276:
	s_delay_alu instid0(SALU_CYCLE_1)
	s_and_b32 vcc_lo, exec_lo, s0
	s_cbranch_vccnz .LBB18_1347
; %bb.1277:
	s_and_not1_b32 vcc_lo, exec_lo, s12
	s_cbranch_vccnz .LBB18_1279
.LBB18_1278:
	global_load_u8 v1, v[2:3], off
	s_mov_b32 s13, -1
	s_wait_loadcnt 0x0
	v_cmp_ne_u16_e32 vcc_lo, 0, v1
	v_cndmask_b32_e64 v6, 0, 1.0, vcc_lo
.LBB18_1279:
	s_branch .LBB18_1205
.LBB18_1280:
	s_cmp_lt_i32 s9, 5
	s_cbranch_scc1 .LBB18_1285
; %bb.1281:
	s_cmp_lt_i32 s9, 8
	s_cbranch_scc1 .LBB18_1286
; %bb.1282:
	;; [unrolled: 3-line block ×3, first 2 shown]
	s_cmp_gt_i32 s9, 9
	s_cbranch_scc0 .LBB18_1288
; %bb.1284:
	global_load_b64 v[6:7], v[2:3], off
	s_mov_b32 s0, 0
	s_wait_loadcnt 0x0
	v_cvt_f32_f64_e32 v6, v[6:7]
	s_branch .LBB18_1289
.LBB18_1285:
                                        ; implicit-def: $vgpr6
	s_branch .LBB18_1307
.LBB18_1286:
	s_mov_b32 s0, -1
                                        ; implicit-def: $vgpr6
	s_branch .LBB18_1295
.LBB18_1287:
	s_mov_b32 s0, -1
                                        ; implicit-def: $vgpr6
	s_branch .LBB18_1292
.LBB18_1288:
	s_mov_b32 s0, -1
                                        ; implicit-def: $vgpr6
.LBB18_1289:
	s_delay_alu instid0(SALU_CYCLE_1)
	s_and_not1_b32 vcc_lo, exec_lo, s0
	s_cbranch_vccnz .LBB18_1291
; %bb.1290:
	global_load_b32 v6, v[2:3], off
.LBB18_1291:
	s_mov_b32 s0, 0
.LBB18_1292:
	s_delay_alu instid0(SALU_CYCLE_1)
	s_and_not1_b32 vcc_lo, exec_lo, s0
	s_cbranch_vccnz .LBB18_1294
; %bb.1293:
	global_load_b32 v1, v[2:3], off
	s_wait_loadcnt 0x0
	v_cvt_f32_f16_e32 v6, v1
.LBB18_1294:
	s_mov_b32 s0, 0
.LBB18_1295:
	s_delay_alu instid0(SALU_CYCLE_1)
	s_and_not1_b32 vcc_lo, exec_lo, s0
	s_cbranch_vccnz .LBB18_1306
; %bb.1296:
	s_cmp_lt_i32 s9, 6
	s_cbranch_scc1 .LBB18_1299
; %bb.1297:
	s_cmp_gt_i32 s9, 6
	s_cbranch_scc0 .LBB18_1300
; %bb.1298:
	s_wait_loadcnt 0x0
	global_load_b64 v[6:7], v[2:3], off
	s_mov_b32 s0, 0
	s_wait_loadcnt 0x0
	v_cvt_f32_f64_e32 v6, v[6:7]
	s_branch .LBB18_1301
.LBB18_1299:
	s_mov_b32 s0, -1
                                        ; implicit-def: $vgpr6
	s_branch .LBB18_1304
.LBB18_1300:
	s_mov_b32 s0, -1
                                        ; implicit-def: $vgpr6
.LBB18_1301:
	s_delay_alu instid0(SALU_CYCLE_1)
	s_and_not1_b32 vcc_lo, exec_lo, s0
	s_cbranch_vccnz .LBB18_1303
; %bb.1302:
	s_wait_loadcnt 0x0
	global_load_b32 v6, v[2:3], off
.LBB18_1303:
	s_mov_b32 s0, 0
.LBB18_1304:
	s_delay_alu instid0(SALU_CYCLE_1)
	s_and_not1_b32 vcc_lo, exec_lo, s0
	s_cbranch_vccnz .LBB18_1306
; %bb.1305:
	global_load_u16 v1, v[2:3], off
	s_wait_loadcnt 0x0
	v_cvt_f32_f16_e32 v6, v1
.LBB18_1306:
	s_cbranch_execnz .LBB18_1326
.LBB18_1307:
	s_cmp_lt_i32 s9, 2
	s_cbranch_scc1 .LBB18_1311
; %bb.1308:
	s_cmp_lt_i32 s9, 3
	s_cbranch_scc1 .LBB18_1312
; %bb.1309:
	s_cmp_gt_i32 s9, 3
	s_cbranch_scc0 .LBB18_1313
; %bb.1310:
	s_wait_loadcnt 0x0
	global_load_b64 v[6:7], v[2:3], off
	s_mov_b32 s0, 0
	s_wait_loadcnt 0x0
	v_xor_b32_e32 v1, v6, v7
	v_cls_i32_e32 v5, v7
	s_delay_alu instid0(VALU_DEP_2) | instskip(NEXT) | instid1(VALU_DEP_1)
	v_ashrrev_i32_e32 v1, 31, v1
	v_add_nc_u32_e32 v1, 32, v1
	s_delay_alu instid0(VALU_DEP_1) | instskip(NEXT) | instid1(VALU_DEP_1)
	v_add_min_u32_e64 v1, v5, -1, v1
	v_lshlrev_b64_e32 v[6:7], v1, v[6:7]
	v_sub_nc_u32_e32 v1, 32, v1
	s_delay_alu instid0(VALU_DEP_2) | instskip(NEXT) | instid1(VALU_DEP_1)
	v_min_u32_e32 v5, 1, v6
	v_or_b32_e32 v5, v7, v5
	s_delay_alu instid0(VALU_DEP_1) | instskip(NEXT) | instid1(VALU_DEP_1)
	v_cvt_f32_i32_e32 v5, v5
	v_ldexp_f32 v6, v5, v1
	s_branch .LBB18_1314
.LBB18_1311:
	s_mov_b32 s0, -1
                                        ; implicit-def: $vgpr6
	s_branch .LBB18_1320
.LBB18_1312:
	s_mov_b32 s0, -1
                                        ; implicit-def: $vgpr6
	s_branch .LBB18_1317
.LBB18_1313:
	s_mov_b32 s0, -1
                                        ; implicit-def: $vgpr6
.LBB18_1314:
	s_delay_alu instid0(SALU_CYCLE_1)
	s_and_not1_b32 vcc_lo, exec_lo, s0
	s_cbranch_vccnz .LBB18_1316
; %bb.1315:
	global_load_b32 v1, v[2:3], off
	s_wait_loadcnt 0x0
	v_cvt_f32_i32_e32 v6, v1
.LBB18_1316:
	s_mov_b32 s0, 0
.LBB18_1317:
	s_delay_alu instid0(SALU_CYCLE_1)
	s_and_not1_b32 vcc_lo, exec_lo, s0
	s_cbranch_vccnz .LBB18_1319
; %bb.1318:
	global_load_i16 v1, v[2:3], off
	s_wait_loadcnt 0x0
	v_cvt_f32_i32_e32 v6, v1
.LBB18_1319:
	s_mov_b32 s0, 0
.LBB18_1320:
	s_delay_alu instid0(SALU_CYCLE_1)
	s_and_not1_b32 vcc_lo, exec_lo, s0
	s_cbranch_vccnz .LBB18_1326
; %bb.1321:
	s_cmp_gt_i32 s9, 0
	s_mov_b32 s0, 0
	s_cbranch_scc0 .LBB18_1323
; %bb.1322:
	global_load_i8 v1, v[2:3], off
	s_wait_loadcnt 0x0
	v_cvt_f32_i32_e32 v6, v1
	s_branch .LBB18_1324
.LBB18_1323:
	s_mov_b32 s0, -1
                                        ; implicit-def: $vgpr6
.LBB18_1324:
	s_delay_alu instid0(SALU_CYCLE_1)
	s_and_not1_b32 vcc_lo, exec_lo, s0
	s_cbranch_vccnz .LBB18_1326
; %bb.1325:
	global_load_u8 v1, v[2:3], off
	s_wait_loadcnt 0x0
	v_cvt_f32_ubyte0_e32 v6, v1
.LBB18_1326:
.LBB18_1327:
	s_wait_xcnt 0x0
	v_mov_b32_e32 v2, 0x7f800000
	s_mov_b32 s12, exec_lo
	s_wait_loadcnt 0x0
	s_delay_alu instid0(VALU_DEP_2)
	v_cmpx_neq_f32_e32 0, v6
	s_cbranch_execz .LBB18_1335
; %bb.1328:
	v_mov_b32_e32 v2, 0x7fc00000
	s_mov_b32 s13, exec_lo
	v_cmpx_ngt_f32_e32 0, v6
	s_cbranch_execz .LBB18_1334
; %bb.1329:
                                        ; implicit-def: $vgpr2
	s_mov_b32 s0, exec_lo
	v_cmpx_ge_f32_e32 2.0, v6
	s_xor_b32 s14, exec_lo, s0
	s_cbranch_execz .LBB18_1331
; %bb.1330:
	v_mov_b32_e32 v7, 0.5
	s_mov_b32 s0, 0xa2a2e5b9
	v_mov_b64_e32 v[12:13], 0x3ad6e3ac293fd856
	v_mov_b32_e32 v8, 0xa51e770f
	v_mov_b64_e32 v[16:17], 0xbb8db2f12d3612e2
	v_pk_fma_f32 v[2:3], v[6:7], v[6:7], -2.0 op_sel_hi:[0,1,0]
	v_mov_b64_e32 v[20:21], 0xbdc25b823aa5c174
	s_delay_alu instid0(VALU_DEP_2) | instskip(SKIP_1) | instid1(VALU_DEP_1)
	v_fmaak_f32 v1, s0, v3, 0x24199b15
	s_mov_b32 s0, 0xa51e770f
	v_fmaak_f32 v5, v3, v1, 0x22a2e5b9
	s_delay_alu instid0(VALU_DEP_1) | instskip(NEXT) | instid1(VALU_DEP_1)
	v_add_f32_e32 v5, 0xa58c275c, v5
	v_fma_f32 v1, v3, v5, -v1
	v_pk_mul_f32 v[18:19], v[6:7], v[6:7] op_sel_hi:[0,1]
	s_delay_alu instid0(VALU_DEP_2) | instskip(NEXT) | instid1(VALU_DEP_2)
	v_add_f32_e32 v1, 0x26f736c5, v1
	v_cmp_gt_f32_e32 vcc_lo, 0x800000, v19
	s_delay_alu instid0(VALU_DEP_2) | instskip(NEXT) | instid1(VALU_DEP_1)
	v_fma_f32 v5, v3, v1, -v5
	v_add_f32_e32 v5, 0xa8528116, v5
	s_delay_alu instid0(VALU_DEP_1) | instskip(NEXT) | instid1(VALU_DEP_1)
	v_fma_f32 v1, v3, v5, -v1
	v_add_f32_e32 v1, 0x29acda32, v1
	s_delay_alu instid0(VALU_DEP_1) | instskip(NEXT) | instid1(VALU_DEP_1)
	;; [unrolled: 3-line block ×16, first 2 shown]
	v_fma_f32 v5, v3, v1, -v5
	v_add_f32_e32 v9, 0xba1717e9, v5
	s_delay_alu instid0(VALU_DEP_1) | instskip(SKIP_1) | instid1(VALU_DEP_1)
	v_fma_f32 v15, v3, v9, -v1
	v_mul_f32_e32 v1, 0x3fb8aa3b, v6
	v_rndne_f32_e32 v5, v1
	v_mul_f32_e32 v14, 0x251e770f, v2
	v_fma_f32 v11, 0x3fb8aa3b, v6, -v1
	s_delay_alu instid0(VALU_DEP_3) | instskip(NEXT) | instid1(VALU_DEP_3)
	v_sub_f32_e32 v1, v1, v5
	v_pk_add_f32 v[12:13], v[14:15], v[12:13]
	v_mov_b64_e32 v[14:15], s[0:1]
	s_delay_alu instid0(VALU_DEP_4) | instskip(SKIP_3) | instid1(VALU_DEP_4)
	v_fmamk_f32 v11, v6, 0x32a5705f, v11
	v_cvt_i32_f32_e32 v5, v5
	v_cmp_ngt_f32_e64 s0, 0xc2ce8ed0, v6
	v_pk_fma_f32 v[8:9], v[2:3], v[12:13], v[8:9] neg_lo:[0,0,1] neg_hi:[0,0,1]
	v_add_f32_e32 v1, v1, v11
	v_pk_fma_f32 v[14:15], v[2:3], v[12:13], v[14:15]
	s_delay_alu instid0(VALU_DEP_3) | instskip(NEXT) | instid1(VALU_DEP_3)
	v_mov_b32_e32 v15, v9
	v_exp_f32_e32 v1, v1
	s_delay_alu instid0(VALU_DEP_1) | instskip(SKIP_2) | instid1(TRANS32_DEP_1)
	v_pk_add_f32 v[8:9], v[14:15], v[16:17]
	v_mov_b64_e32 v[14:15], 0x3c2ccb103102e09b
	v_mov_b64_e32 v[16:17], 0xc000000037bfc808
	v_ldexp_f32 v1, v1, v5
	s_delay_alu instid0(VALU_DEP_4) | instskip(NEXT) | instid1(VALU_DEP_2)
	v_pk_fma_f32 v[12:13], v[2:3], v[8:9], v[12:13] neg_lo:[0,0,1] neg_hi:[0,0,1]
	v_cndmask_b32_e64 v1, 0, v1, s0
	s_delay_alu instid0(VALU_DEP_2) | instskip(SKIP_2) | instid1(VALU_DEP_3)
	v_pk_add_f32 v[12:13], v[12:13], v[14:15]
	v_mov_b64_e32 v[14:15], 0xbcc274f8348815e7
	v_cmp_nlt_f32_e64 s0, 0x42b17218, v6
	v_pk_fma_f32 v[8:9], v[2:3], v[12:13], v[8:9] neg_lo:[0,0,1] neg_hi:[0,0,1]
	s_delay_alu instid0(VALU_DEP_1) | instskip(SKIP_1) | instid1(VALU_DEP_2)
	v_pk_add_f32 v[8:9], v[8:9], v[14:15]
	v_mov_b64_e32 v[14:15], 0x3d49f45637bfc808
	v_pk_fma_f32 v[12:13], v[2:3], v[8:9], v[12:13] neg_lo:[0,0,1] neg_hi:[0,0,1]
	s_delay_alu instid0(VALU_DEP_1) | instskip(NEXT) | instid1(VALU_DEP_2)
	v_mov_b32_e32 v18, v12
	v_pk_add_f32 v[12:13], v[12:13], v[14:15]
	v_mov_b32_e32 v14, v2
	s_delay_alu instid0(VALU_DEP_3) | instskip(NEXT) | instid1(VALU_DEP_3)
	v_pk_add_f32 v[16:17], v[18:19], v[16:17]
	v_mov_b32_e32 v15, v13
	s_delay_alu instid0(VALU_DEP_1) | instskip(SKIP_2) | instid1(VALU_DEP_3)
	v_pk_fma_f32 v[8:9], v[16:17], v[14:15], v[8:9] neg_lo:[0,0,1] neg_hi:[0,0,1]
	v_mov_b64_e32 v[14:15], 0x3e2fbd643d135fb3
	v_cndmask_b32_e64 v16, 0, 32, vcc_lo
	v_pk_add_f32 v[8:9], v[8:9], v[20:21]
	s_delay_alu instid0(VALU_DEP_1) | instskip(NEXT) | instid1(VALU_DEP_1)
	v_pk_fma_f32 v[12:13], v[2:3], v[8:9], v[12:13] neg_lo:[0,0,1] neg_hi:[0,0,1]
	v_pk_add_f32 v[12:13], v[12:13], v[14:15]
	s_delay_alu instid0(VALU_DEP_4) | instskip(SKIP_2) | instid1(VALU_DEP_4)
	v_ldexp_f32 v14, v19, v16
	v_cndmask_b32_e64 v15, 0x7f800000, v1, s0
	v_cndmask_b32_e64 v1, 0, 0x41b17218, vcc_lo
	v_pk_fma_f32 v[8:9], v[2:3], v[12:13], v[8:9] neg_lo:[0,0,1] neg_hi:[0,0,1]
	s_delay_alu instid0(VALU_DEP_4) | instskip(NEXT) | instid1(VALU_DEP_1)
	v_log_f32_e32 v11, v14
	v_add_f32_e32 v9, 0xbe9bff5e, v9
	s_delay_alu instid0(TRANS32_DEP_1) | instskip(SKIP_1) | instid1(VALU_DEP_3)
	v_mul_f32_e32 v14, 0x3f317217, v11
	v_cmp_gt_f32_e64 vcc_lo, 0x7f800000, |v11|
	v_fma_f32 v3, v3, v9, -v13
	s_delay_alu instid0(VALU_DEP_3) | instskip(NEXT) | instid1(VALU_DEP_2)
	v_fma_f32 v5, 0x3f317217, v11, -v14
	v_dual_mov_b32 v14, v12 :: v_dual_add_f32 v3, 0x3f2d4275, v3
	s_delay_alu instid0(VALU_DEP_2) | instskip(NEXT) | instid1(VALU_DEP_1)
	v_fmamk_f32 v5, v11, 0x3377d1cf, v5
	v_fmac_f32_e32 v5, 0x3f317217, v11
	s_delay_alu instid0(VALU_DEP_1) | instskip(NEXT) | instid1(VALU_DEP_1)
	v_dual_cndmask_b32 v5, v11, v5 :: v_dual_add_f32 v8, 0x3eb046c4, v8
	v_mul_f32_e32 v2, v2, v8
	v_mov_b32_e32 v8, 0xbf090b37
	s_delay_alu instid0(VALU_DEP_2) | instskip(NEXT) | instid1(VALU_DEP_1)
	v_pk_add_f32 v[2:3], v[2:3], v[12:13] neg_lo:[0,1] neg_hi:[0,1]
	v_pk_mul_f32 v[16:17], v[2:3], v[6:7]
	s_delay_alu instid0(VALU_DEP_3) | instskip(NEXT) | instid1(VALU_DEP_2)
	v_pk_add_f32 v[2:3], v[2:3], v[8:9]
                                        ; implicit-def: $vgpr6
	v_pk_mul_f32 v[8:9], v[16:17], v[14:15]
	s_delay_alu instid0(VALU_DEP_2) | instskip(SKIP_1) | instid1(VALU_DEP_3)
	v_pk_add_f32 v[2:3], v[2:3], v[12:13] neg_lo:[0,1] neg_hi:[0,1]
	v_dual_sub_f32 v17, v5, v1 :: v_dual_mov_b32 v16, v7
	v_mov_b32_e32 v3, v9
	s_delay_alu instid0(VALU_DEP_1) | instskip(NEXT) | instid1(VALU_DEP_1)
	v_pk_mul_f32 v[2:3], v[16:17], v[2:3]
	v_sub_f32_e32 v1, v2, v3
	s_delay_alu instid0(VALU_DEP_1)
	v_mul_f32_e32 v2, v15, v1
.LBB18_1331:
	s_and_not1_saveexec_b32 s14, s14
	s_cbranch_execz .LBB18_1333
; %bb.1332:
	v_div_scale_f32 v1, null, v6, v6, 0x41000000
	v_div_scale_f32 v5, vcc_lo, 0x41000000, v6, 0x41000000
	s_mov_b32 s0, 0x22c38d2e
	v_rcp_f32_e32 v2, v1
	v_nop
	s_delay_alu instid0(TRANS32_DEP_1) | instskip(NEXT) | instid1(VALU_DEP_1)
	v_fma_f32 v3, -v1, v2, 1.0
	v_fmac_f32_e32 v2, v3, v2
	s_delay_alu instid0(VALU_DEP_1) | instskip(NEXT) | instid1(VALU_DEP_1)
	v_mul_f32_e32 v3, v5, v2
	v_fma_f32 v7, -v1, v3, v5
	s_delay_alu instid0(VALU_DEP_1) | instskip(NEXT) | instid1(VALU_DEP_1)
	v_fmac_f32_e32 v3, v7, v2
	v_fma_f32 v1, -v1, v3, v5
	v_mul_f32_e32 v5, 0x4f800000, v6
	s_delay_alu instid0(VALU_DEP_2) | instskip(SKIP_1) | instid1(VALU_DEP_2)
	v_div_fmas_f32 v1, v1, v2, v3
	v_cmp_gt_f32_e32 vcc_lo, 0xf800000, v6
	v_div_fixup_f32 v1, v1, v6, 0x41000000
	s_delay_alu instid0(VALU_DEP_4) | instskip(NEXT) | instid1(VALU_DEP_2)
	v_cndmask_b32_e32 v5, v6, v5, vcc_lo
	v_add_f32_e32 v1, -2.0, v1
	s_delay_alu instid0(VALU_DEP_2) | instskip(SKIP_1) | instid1(TRANS32_DEP_1)
	v_sqrt_f32_e32 v6, v5
	v_nop
	v_dual_fmaak_f32 v2, s0, v1, 0xa397f665 :: v_dual_add_nc_u32 v7, -1, v6
	s_delay_alu instid0(VALU_DEP_1) | instskip(NEXT) | instid1(VALU_DEP_1)
	v_dual_add_nc_u32 v8, 1, v6 :: v_dual_fma_f32 v9, -v7, v6, v5
	v_fma_f32 v11, -v8, v6, v5
	s_delay_alu instid0(VALU_DEP_2) | instskip(NEXT) | instid1(VALU_DEP_1)
	v_cmp_ge_f32_e64 s0, 0, v9
	v_cndmask_b32_e64 v6, v6, v7, s0
	s_delay_alu instid0(VALU_DEP_3) | instskip(NEXT) | instid1(VALU_DEP_1)
	v_cmp_lt_f32_e64 s0, 0, v11
	v_cndmask_b32_e64 v6, v6, v8, s0
	v_fmaak_f32 v3, v1, v2, 0xa2c38d2e
	s_delay_alu instid0(VALU_DEP_1) | instskip(NEXT) | instid1(VALU_DEP_1)
	v_add_f32_e32 v3, 0x24704972, v3
	v_fma_f32 v2, v1, v3, -v2
	s_delay_alu instid0(VALU_DEP_1) | instskip(NEXT) | instid1(VALU_DEP_1)
	v_add_f32_e32 v2, 0xa5417ca4, v2
	v_fma_f32 v3, v1, v2, -v3
	;; [unrolled: 3-line block ×22, first 2 shown]
	v_mul_f32_e32 v2, 0x37800000, v6
	s_delay_alu instid0(VALU_DEP_1) | instskip(SKIP_1) | instid1(VALU_DEP_2)
	v_dual_add_f32 v1, 0x401c2ded, v1 :: v_dual_cndmask_b32 v2, v6, v2
	v_cmp_class_f32_e64 vcc_lo, v5, 0x260
	v_dual_sub_f32 v1, v1, v3 :: v_dual_cndmask_b32 v2, v2, v5
	s_delay_alu instid0(VALU_DEP_1) | instskip(NEXT) | instid1(VALU_DEP_1)
	v_mul_f32_e32 v1, 0.5, v1
	v_div_scale_f32 v3, null, v2, v2, v1
	s_delay_alu instid0(VALU_DEP_1) | instskip(SKIP_1) | instid1(TRANS32_DEP_1)
	v_rcp_f32_e32 v5, v3
	v_nop
	v_fma_f32 v6, -v3, v5, 1.0
	s_delay_alu instid0(VALU_DEP_1) | instskip(SKIP_1) | instid1(VALU_DEP_1)
	v_fmac_f32_e32 v5, v6, v5
	v_div_scale_f32 v6, vcc_lo, v1, v2, v1
	v_mul_f32_e32 v7, v6, v5
	s_delay_alu instid0(VALU_DEP_1) | instskip(NEXT) | instid1(VALU_DEP_1)
	v_fma_f32 v8, -v3, v7, v6
	v_fmac_f32_e32 v7, v8, v5
	s_delay_alu instid0(VALU_DEP_1) | instskip(NEXT) | instid1(VALU_DEP_1)
	v_fma_f32 v3, -v3, v7, v6
	v_div_fmas_f32 v3, v3, v5, v7
	s_delay_alu instid0(VALU_DEP_1)
	v_div_fixup_f32 v2, v3, v2, v1
.LBB18_1333:
	s_or_b32 exec_lo, exec_lo, s14
.LBB18_1334:
	s_delay_alu instid0(SALU_CYCLE_1)
	s_or_b32 exec_lo, exec_lo, s13
.LBB18_1335:
	s_delay_alu instid0(SALU_CYCLE_1) | instskip(SKIP_2) | instid1(VALU_DEP_1)
	s_or_b32 exec_lo, exec_lo, s12
	v_add_nc_u32_e32 v6, s3, v4
	s_cmp_lt_i32 s9, 11
	v_ashrrev_i32_e32 v7, 31, v6
	s_delay_alu instid0(VALU_DEP_1)
	v_add_nc_u64_e32 v[4:5], s[6:7], v[6:7]
	s_cbranch_scc1 .LBB18_1342
; %bb.1336:
	s_cmp_gt_i32 s9, 25
	s_mov_b32 s12, 0
	s_cbranch_scc0 .LBB18_1344
; %bb.1337:
	s_cmp_gt_i32 s9, 28
	s_cbranch_scc0 .LBB18_1345
; %bb.1338:
	s_cmp_gt_i32 s9, 43
	;; [unrolled: 3-line block ×3, first 2 shown]
	s_cbranch_scc0 .LBB18_1348
; %bb.1340:
	s_cmp_eq_u32 s9, 46
	s_mov_b32 s14, 0
	s_cbranch_scc0 .LBB18_1349
; %bb.1341:
	global_load_b32 v1, v[4:5], off
	s_mov_b32 s0, 0
	s_mov_b32 s13, -1
	s_wait_loadcnt 0x0
	v_lshlrev_b32_e32 v8, 16, v1
	s_branch .LBB18_1351
.LBB18_1342:
	s_mov_b32 s13, 0
                                        ; implicit-def: $vgpr8
	s_cbranch_execnz .LBB18_1417
.LBB18_1343:
	s_and_not1_b32 vcc_lo, exec_lo, s13
	s_cbranch_vccnz .LBB18_1690
	s_branch .LBB18_1465
.LBB18_1344:
	s_mov_b32 s14, -1
	s_mov_b32 s13, 0
	s_mov_b32 s0, 0
                                        ; implicit-def: $vgpr8
	s_branch .LBB18_1380
.LBB18_1345:
	s_mov_b32 s14, -1
	s_mov_b32 s13, 0
	s_mov_b32 s0, 0
                                        ; implicit-def: $vgpr8
	s_branch .LBB18_1361
.LBB18_1346:
	s_mov_b32 s14, -1
	s_mov_b32 s13, 0
	s_mov_b32 s0, 0
                                        ; implicit-def: $vgpr8
	s_branch .LBB18_1356
.LBB18_1347:
	s_or_b32 s1, s1, exec_lo
	s_trap 2
	s_cbranch_execz .LBB18_1278
	s_branch .LBB18_1279
.LBB18_1348:
	s_mov_b32 s14, -1
	s_mov_b32 s13, 0
	s_mov_b32 s0, 0
	s_branch .LBB18_1350
.LBB18_1349:
	s_mov_b32 s0, -1
	s_mov_b32 s13, 0
.LBB18_1350:
                                        ; implicit-def: $vgpr8
.LBB18_1351:
	s_and_b32 vcc_lo, exec_lo, s14
	s_cbranch_vccz .LBB18_1355
; %bb.1352:
	s_cmp_eq_u32 s9, 44
	s_cbranch_scc0 .LBB18_1354
; %bb.1353:
	global_load_u8 v1, v[4:5], off
	s_mov_b32 s0, 0
	s_mov_b32 s13, -1
	s_wait_loadcnt 0x0
	v_lshlrev_b32_e32 v3, 23, v1
	v_cmp_ne_u32_e32 vcc_lo, 0xff, v1
	s_delay_alu instid0(VALU_DEP_2) | instskip(SKIP_1) | instid1(VALU_DEP_2)
	v_cndmask_b32_e32 v3, 0x7f800001, v3, vcc_lo
	v_cmp_ne_u32_e32 vcc_lo, 0, v1
	v_cndmask_b32_e32 v8, 0x400000, v3, vcc_lo
	s_branch .LBB18_1355
.LBB18_1354:
	s_mov_b32 s0, -1
                                        ; implicit-def: $vgpr8
.LBB18_1355:
	s_mov_b32 s14, 0
.LBB18_1356:
	s_delay_alu instid0(SALU_CYCLE_1)
	s_and_b32 vcc_lo, exec_lo, s14
	s_cbranch_vccz .LBB18_1360
; %bb.1357:
	s_cmp_eq_u32 s9, 29
	s_cbranch_scc0 .LBB18_1359
; %bb.1358:
	global_load_b64 v[8:9], v[4:5], off
	s_mov_b32 s0, 0
	s_mov_b32 s13, -1
	s_mov_b32 s14, 0
	s_wait_loadcnt 0x0
	v_clz_i32_u32_e32 v1, v9
	s_delay_alu instid0(VALU_DEP_1) | instskip(NEXT) | instid1(VALU_DEP_1)
	v_min_u32_e32 v1, 32, v1
	v_lshlrev_b64_e32 v[8:9], v1, v[8:9]
	v_sub_nc_u32_e32 v1, 32, v1
	s_delay_alu instid0(VALU_DEP_2) | instskip(NEXT) | instid1(VALU_DEP_1)
	v_min_u32_e32 v3, 1, v8
	v_or_b32_e32 v3, v9, v3
	s_delay_alu instid0(VALU_DEP_1) | instskip(NEXT) | instid1(VALU_DEP_1)
	v_cvt_f32_u32_e32 v3, v3
	v_ldexp_f32 v8, v3, v1
	s_branch .LBB18_1361
.LBB18_1359:
	s_mov_b32 s0, -1
                                        ; implicit-def: $vgpr8
.LBB18_1360:
	s_mov_b32 s14, 0
.LBB18_1361:
	s_delay_alu instid0(SALU_CYCLE_1)
	s_and_b32 vcc_lo, exec_lo, s14
	s_cbranch_vccz .LBB18_1379
; %bb.1362:
	s_cmp_lt_i32 s9, 27
	s_cbranch_scc1 .LBB18_1365
; %bb.1363:
	s_cmp_gt_i32 s9, 27
	s_cbranch_scc0 .LBB18_1366
; %bb.1364:
	global_load_b32 v1, v[4:5], off
	s_mov_b32 s13, 0
	s_wait_loadcnt 0x0
	v_cvt_f32_u32_e32 v8, v1
	s_branch .LBB18_1367
.LBB18_1365:
	s_mov_b32 s13, -1
                                        ; implicit-def: $vgpr8
	s_branch .LBB18_1370
.LBB18_1366:
	s_mov_b32 s13, -1
                                        ; implicit-def: $vgpr8
.LBB18_1367:
	s_delay_alu instid0(SALU_CYCLE_1)
	s_and_not1_b32 vcc_lo, exec_lo, s13
	s_cbranch_vccnz .LBB18_1369
; %bb.1368:
	global_load_u16 v1, v[4:5], off
	s_wait_loadcnt 0x0
	v_cvt_f32_u32_e32 v8, v1
.LBB18_1369:
	s_mov_b32 s13, 0
.LBB18_1370:
	s_delay_alu instid0(SALU_CYCLE_1)
	s_and_not1_b32 vcc_lo, exec_lo, s13
	s_cbranch_vccnz .LBB18_1378
; %bb.1371:
	global_load_u8 v1, v[4:5], off
	s_mov_b32 s13, 0
	s_mov_b32 s14, exec_lo
	s_wait_loadcnt 0x0
	v_cmpx_lt_i16_e32 0x7f, v1
	s_xor_b32 s14, exec_lo, s14
	s_cbranch_execz .LBB18_1392
; %bb.1372:
	s_mov_b32 s13, -1
	s_mov_b32 s15, exec_lo
	v_cmpx_eq_u16_e32 0x80, v1
; %bb.1373:
	s_xor_b32 s13, exec_lo, -1
; %bb.1374:
	s_or_b32 exec_lo, exec_lo, s15
	s_delay_alu instid0(SALU_CYCLE_1)
	s_and_b32 s13, s13, exec_lo
	s_or_saveexec_b32 s14, s14
	v_mov_b32_e32 v8, 0x7f800001
	s_xor_b32 exec_lo, exec_lo, s14
	s_cbranch_execnz .LBB18_1393
.LBB18_1375:
	s_or_b32 exec_lo, exec_lo, s14
	s_and_saveexec_b32 s14, s13
	s_cbranch_execz .LBB18_1377
.LBB18_1376:
	v_and_b32_e32 v3, 0xffff, v1
	s_delay_alu instid0(VALU_DEP_1) | instskip(SKIP_1) | instid1(VALU_DEP_2)
	v_and_b32_e32 v7, 7, v3
	v_bfe_u32 v11, v3, 3, 4
	v_clz_i32_u32_e32 v8, v7
	s_delay_alu instid0(VALU_DEP_2) | instskip(NEXT) | instid1(VALU_DEP_2)
	v_cmp_eq_u32_e32 vcc_lo, 0, v11
	v_min_u32_e32 v8, 32, v8
	s_delay_alu instid0(VALU_DEP_1) | instskip(NEXT) | instid1(VALU_DEP_1)
	v_subrev_nc_u32_e32 v9, 28, v8
	v_dual_lshlrev_b32 v3, v9, v3 :: v_dual_sub_nc_u32 v8, 29, v8
	s_delay_alu instid0(VALU_DEP_1) | instskip(NEXT) | instid1(VALU_DEP_2)
	v_dual_lshlrev_b32 v1, 24, v1 :: v_dual_bitop2_b32 v3, 7, v3 bitop3:0x40
	v_cndmask_b32_e32 v8, v11, v8, vcc_lo
	s_delay_alu instid0(VALU_DEP_2) | instskip(NEXT) | instid1(VALU_DEP_3)
	v_cndmask_b32_e32 v3, v7, v3, vcc_lo
	v_and_b32_e32 v1, 0x80000000, v1
	s_delay_alu instid0(VALU_DEP_3) | instskip(NEXT) | instid1(VALU_DEP_3)
	v_lshl_add_u32 v7, v8, 23, 0x3b800000
	v_lshlrev_b32_e32 v3, 20, v3
	s_delay_alu instid0(VALU_DEP_1)
	v_or3_b32 v8, v1, v7, v3
.LBB18_1377:
	s_or_b32 exec_lo, exec_lo, s14
.LBB18_1378:
	s_mov_b32 s13, -1
.LBB18_1379:
	s_mov_b32 s14, 0
.LBB18_1380:
	s_delay_alu instid0(SALU_CYCLE_1)
	s_and_b32 vcc_lo, exec_lo, s14
	s_cbranch_vccz .LBB18_1413
; %bb.1381:
	s_cmp_gt_i32 s9, 22
	s_cbranch_scc0 .LBB18_1391
; %bb.1382:
	s_cmp_lt_i32 s9, 24
	s_cbranch_scc1 .LBB18_1394
; %bb.1383:
	s_cmp_gt_i32 s9, 24
	s_cbranch_scc0 .LBB18_1395
; %bb.1384:
	global_load_u8 v1, v[4:5], off
	s_mov_b32 s13, exec_lo
	s_wait_loadcnt 0x0
	v_cmpx_lt_i16_e32 0x7f, v1
	s_xor_b32 s13, exec_lo, s13
	s_cbranch_execz .LBB18_1407
; %bb.1385:
	s_mov_b32 s12, -1
	s_mov_b32 s14, exec_lo
	v_cmpx_eq_u16_e32 0x80, v1
; %bb.1386:
	s_xor_b32 s12, exec_lo, -1
; %bb.1387:
	s_or_b32 exec_lo, exec_lo, s14
	s_delay_alu instid0(SALU_CYCLE_1)
	s_and_b32 s12, s12, exec_lo
	s_or_saveexec_b32 s13, s13
	v_mov_b32_e32 v8, 0x7f800001
	s_xor_b32 exec_lo, exec_lo, s13
	s_cbranch_execnz .LBB18_1408
.LBB18_1388:
	s_or_b32 exec_lo, exec_lo, s13
	s_and_saveexec_b32 s13, s12
	s_cbranch_execz .LBB18_1390
.LBB18_1389:
	v_and_b32_e32 v3, 0xffff, v1
	s_delay_alu instid0(VALU_DEP_1) | instskip(SKIP_1) | instid1(VALU_DEP_2)
	v_and_b32_e32 v7, 3, v3
	v_bfe_u32 v11, v3, 2, 5
	v_clz_i32_u32_e32 v8, v7
	s_delay_alu instid0(VALU_DEP_2) | instskip(NEXT) | instid1(VALU_DEP_2)
	v_cmp_eq_u32_e32 vcc_lo, 0, v11
	v_min_u32_e32 v8, 32, v8
	s_delay_alu instid0(VALU_DEP_1) | instskip(NEXT) | instid1(VALU_DEP_1)
	v_subrev_nc_u32_e32 v9, 29, v8
	v_dual_lshlrev_b32 v3, v9, v3 :: v_dual_sub_nc_u32 v8, 30, v8
	s_delay_alu instid0(VALU_DEP_1) | instskip(NEXT) | instid1(VALU_DEP_2)
	v_dual_lshlrev_b32 v1, 24, v1 :: v_dual_bitop2_b32 v3, 3, v3 bitop3:0x40
	v_cndmask_b32_e32 v8, v11, v8, vcc_lo
	s_delay_alu instid0(VALU_DEP_2) | instskip(NEXT) | instid1(VALU_DEP_3)
	v_cndmask_b32_e32 v3, v7, v3, vcc_lo
	v_and_b32_e32 v1, 0x80000000, v1
	s_delay_alu instid0(VALU_DEP_3) | instskip(NEXT) | instid1(VALU_DEP_3)
	v_lshl_add_u32 v7, v8, 23, 0x37800000
	v_lshlrev_b32_e32 v3, 21, v3
	s_delay_alu instid0(VALU_DEP_1)
	v_or3_b32 v8, v1, v7, v3
.LBB18_1390:
	s_or_b32 exec_lo, exec_lo, s13
	s_mov_b32 s12, 0
	s_branch .LBB18_1396
.LBB18_1391:
	s_mov_b32 s12, -1
                                        ; implicit-def: $vgpr8
	s_branch .LBB18_1402
.LBB18_1392:
	s_or_saveexec_b32 s14, s14
	v_mov_b32_e32 v8, 0x7f800001
	s_xor_b32 exec_lo, exec_lo, s14
	s_cbranch_execz .LBB18_1375
.LBB18_1393:
	v_cmp_ne_u16_e32 vcc_lo, 0, v1
	v_mov_b32_e32 v8, 0
	s_and_not1_b32 s13, s13, exec_lo
	s_and_b32 s15, vcc_lo, exec_lo
	s_delay_alu instid0(SALU_CYCLE_1)
	s_or_b32 s13, s13, s15
	s_or_b32 exec_lo, exec_lo, s14
	s_and_saveexec_b32 s14, s13
	s_cbranch_execnz .LBB18_1376
	s_branch .LBB18_1377
.LBB18_1394:
	s_mov_b32 s12, -1
                                        ; implicit-def: $vgpr8
	s_branch .LBB18_1399
.LBB18_1395:
	s_mov_b32 s12, -1
                                        ; implicit-def: $vgpr8
.LBB18_1396:
	s_delay_alu instid0(SALU_CYCLE_1)
	s_and_b32 vcc_lo, exec_lo, s12
	s_cbranch_vccz .LBB18_1398
; %bb.1397:
	global_load_u8 v1, v[4:5], off
	s_wait_loadcnt 0x0
	v_lshlrev_b32_e32 v1, 24, v1
	s_delay_alu instid0(VALU_DEP_1) | instskip(NEXT) | instid1(VALU_DEP_1)
	v_and_b32_e32 v3, 0x7f000000, v1
	v_clz_i32_u32_e32 v7, v3
	v_add_nc_u32_e32 v9, 0x1000000, v3
	v_cmp_ne_u32_e32 vcc_lo, 0, v3
	s_delay_alu instid0(VALU_DEP_3) | instskip(NEXT) | instid1(VALU_DEP_1)
	v_min_u32_e32 v7, 32, v7
	v_sub_nc_u32_e64 v7, v7, 4 clamp
	s_delay_alu instid0(VALU_DEP_1) | instskip(NEXT) | instid1(VALU_DEP_1)
	v_lshlrev_b32_e32 v8, v7, v3
	v_dual_lshlrev_b32 v7, 23, v7 :: v_dual_lshrrev_b32 v8, 4, v8
	s_delay_alu instid0(VALU_DEP_1) | instskip(NEXT) | instid1(VALU_DEP_1)
	v_dual_sub_nc_u32 v7, v8, v7 :: v_dual_ashrrev_i32 v8, 8, v9
	v_add_nc_u32_e32 v7, 0x3c000000, v7
	s_delay_alu instid0(VALU_DEP_1) | instskip(NEXT) | instid1(VALU_DEP_1)
	v_and_or_b32 v7, 0x7f800000, v8, v7
	v_cndmask_b32_e32 v3, 0, v7, vcc_lo
	s_delay_alu instid0(VALU_DEP_1)
	v_and_or_b32 v8, 0x80000000, v1, v3
.LBB18_1398:
	s_mov_b32 s12, 0
.LBB18_1399:
	s_delay_alu instid0(SALU_CYCLE_1)
	s_and_not1_b32 vcc_lo, exec_lo, s12
	s_cbranch_vccnz .LBB18_1401
; %bb.1400:
	global_load_u8 v1, v[4:5], off
	s_wait_loadcnt 0x0
	v_lshlrev_b32_e32 v3, 25, v1
	v_lshlrev_b16 v1, 8, v1
	s_delay_alu instid0(VALU_DEP_1) | instskip(SKIP_1) | instid1(VALU_DEP_2)
	v_and_or_b32 v8, 0x7f00, v1, 0.5
	v_bfe_i32 v1, v1, 0, 16
	v_dual_add_f32 v8, -0.5, v8 :: v_dual_lshrrev_b32 v7, 4, v3
	v_cmp_gt_u32_e32 vcc_lo, 0x8000000, v3
	s_delay_alu instid0(VALU_DEP_2) | instskip(NEXT) | instid1(VALU_DEP_1)
	v_or_b32_e32 v7, 0x70000000, v7
	v_mul_f32_e32 v7, 0x7800000, v7
	s_delay_alu instid0(VALU_DEP_1) | instskip(NEXT) | instid1(VALU_DEP_1)
	v_cndmask_b32_e32 v3, v7, v8, vcc_lo
	v_and_or_b32 v8, 0x80000000, v1, v3
.LBB18_1401:
	s_mov_b32 s12, 0
	s_mov_b32 s13, -1
.LBB18_1402:
	s_and_not1_b32 vcc_lo, exec_lo, s12
	s_mov_b32 s12, 0
	s_cbranch_vccnz .LBB18_1413
; %bb.1403:
	s_cmp_gt_i32 s9, 14
	s_cbranch_scc0 .LBB18_1406
; %bb.1404:
	s_cmp_eq_u32 s9, 15
	s_cbranch_scc0 .LBB18_1409
; %bb.1405:
	global_load_u16 v1, v[4:5], off
	s_mov_b32 s0, 0
	s_mov_b32 s13, -1
	s_wait_loadcnt 0x0
	v_lshlrev_b32_e32 v8, 16, v1
	s_branch .LBB18_1411
.LBB18_1406:
	s_mov_b32 s12, -1
	s_branch .LBB18_1410
.LBB18_1407:
	s_or_saveexec_b32 s13, s13
	v_mov_b32_e32 v8, 0x7f800001
	s_xor_b32 exec_lo, exec_lo, s13
	s_cbranch_execz .LBB18_1388
.LBB18_1408:
	v_cmp_ne_u16_e32 vcc_lo, 0, v1
	v_mov_b32_e32 v8, 0
	s_and_not1_b32 s12, s12, exec_lo
	s_and_b32 s14, vcc_lo, exec_lo
	s_delay_alu instid0(SALU_CYCLE_1)
	s_or_b32 s12, s12, s14
	s_or_b32 exec_lo, exec_lo, s13
	s_and_saveexec_b32 s13, s12
	s_cbranch_execnz .LBB18_1389
	s_branch .LBB18_1390
.LBB18_1409:
	s_mov_b32 s0, -1
.LBB18_1410:
                                        ; implicit-def: $vgpr8
.LBB18_1411:
	s_and_b32 vcc_lo, exec_lo, s12
	s_mov_b32 s12, 0
	s_cbranch_vccz .LBB18_1413
; %bb.1412:
	s_cmp_lg_u32 s9, 11
	s_mov_b32 s12, -1
	s_cselect_b32 s0, -1, 0
.LBB18_1413:
	s_delay_alu instid0(SALU_CYCLE_1)
	s_and_b32 vcc_lo, exec_lo, s0
	s_cbranch_vccnz .LBB18_1484
; %bb.1414:
	s_and_not1_b32 vcc_lo, exec_lo, s12
	s_cbranch_vccnz .LBB18_1416
.LBB18_1415:
	global_load_u8 v1, v[4:5], off
	s_mov_b32 s13, -1
	s_wait_loadcnt 0x0
	v_cmp_ne_u16_e32 vcc_lo, 0, v1
	v_cndmask_b32_e64 v8, 0, 1.0, vcc_lo
.LBB18_1416:
	s_branch .LBB18_1343
.LBB18_1417:
	s_cmp_lt_i32 s9, 5
	s_cbranch_scc1 .LBB18_1422
; %bb.1418:
	s_cmp_lt_i32 s9, 8
	s_cbranch_scc1 .LBB18_1423
; %bb.1419:
	;; [unrolled: 3-line block ×3, first 2 shown]
	s_cmp_gt_i32 s9, 9
	s_cbranch_scc0 .LBB18_1425
; %bb.1421:
	global_load_b64 v[8:9], v[4:5], off
	s_mov_b32 s0, 0
	s_wait_loadcnt 0x0
	v_cvt_f32_f64_e32 v8, v[8:9]
	s_branch .LBB18_1426
.LBB18_1422:
	s_mov_b32 s0, -1
                                        ; implicit-def: $vgpr8
	s_branch .LBB18_1444
.LBB18_1423:
	s_mov_b32 s0, -1
                                        ; implicit-def: $vgpr8
	s_branch .LBB18_1432
.LBB18_1424:
	s_mov_b32 s0, -1
                                        ; implicit-def: $vgpr8
	s_branch .LBB18_1429
.LBB18_1425:
	s_mov_b32 s0, -1
                                        ; implicit-def: $vgpr8
.LBB18_1426:
	s_delay_alu instid0(SALU_CYCLE_1)
	s_and_not1_b32 vcc_lo, exec_lo, s0
	s_cbranch_vccnz .LBB18_1428
; %bb.1427:
	global_load_b32 v8, v[4:5], off
.LBB18_1428:
	s_mov_b32 s0, 0
.LBB18_1429:
	s_delay_alu instid0(SALU_CYCLE_1)
	s_and_not1_b32 vcc_lo, exec_lo, s0
	s_cbranch_vccnz .LBB18_1431
; %bb.1430:
	global_load_b32 v1, v[4:5], off
	s_wait_loadcnt 0x0
	v_cvt_f32_f16_e32 v8, v1
.LBB18_1431:
	s_mov_b32 s0, 0
.LBB18_1432:
	s_delay_alu instid0(SALU_CYCLE_1)
	s_and_not1_b32 vcc_lo, exec_lo, s0
	s_cbranch_vccnz .LBB18_1443
; %bb.1433:
	s_cmp_lt_i32 s9, 6
	s_cbranch_scc1 .LBB18_1436
; %bb.1434:
	s_cmp_gt_i32 s9, 6
	s_cbranch_scc0 .LBB18_1437
; %bb.1435:
	s_wait_loadcnt 0x0
	global_load_b64 v[8:9], v[4:5], off
	s_mov_b32 s0, 0
	s_wait_loadcnt 0x0
	v_cvt_f32_f64_e32 v8, v[8:9]
	s_branch .LBB18_1438
.LBB18_1436:
	s_mov_b32 s0, -1
                                        ; implicit-def: $vgpr8
	s_branch .LBB18_1441
.LBB18_1437:
	s_mov_b32 s0, -1
                                        ; implicit-def: $vgpr8
.LBB18_1438:
	s_delay_alu instid0(SALU_CYCLE_1)
	s_and_not1_b32 vcc_lo, exec_lo, s0
	s_cbranch_vccnz .LBB18_1440
; %bb.1439:
	s_wait_loadcnt 0x0
	global_load_b32 v8, v[4:5], off
.LBB18_1440:
	s_mov_b32 s0, 0
.LBB18_1441:
	s_delay_alu instid0(SALU_CYCLE_1)
	s_and_not1_b32 vcc_lo, exec_lo, s0
	s_cbranch_vccnz .LBB18_1443
; %bb.1442:
	global_load_u16 v1, v[4:5], off
	s_wait_loadcnt 0x0
	v_cvt_f32_f16_e32 v8, v1
.LBB18_1443:
	s_mov_b32 s0, 0
.LBB18_1444:
	s_delay_alu instid0(SALU_CYCLE_1)
	s_and_not1_b32 vcc_lo, exec_lo, s0
	s_cbranch_vccnz .LBB18_1464
; %bb.1445:
	s_cmp_lt_i32 s9, 2
	s_cbranch_scc1 .LBB18_1449
; %bb.1446:
	s_cmp_lt_i32 s9, 3
	s_cbranch_scc1 .LBB18_1450
; %bb.1447:
	s_cmp_gt_i32 s9, 3
	s_cbranch_scc0 .LBB18_1451
; %bb.1448:
	s_wait_loadcnt 0x0
	global_load_b64 v[8:9], v[4:5], off
	s_mov_b32 s0, 0
	s_wait_loadcnt 0x0
	v_xor_b32_e32 v1, v8, v9
	v_cls_i32_e32 v3, v9
	s_delay_alu instid0(VALU_DEP_2) | instskip(NEXT) | instid1(VALU_DEP_1)
	v_ashrrev_i32_e32 v1, 31, v1
	v_add_nc_u32_e32 v1, 32, v1
	s_delay_alu instid0(VALU_DEP_1) | instskip(NEXT) | instid1(VALU_DEP_1)
	v_add_min_u32_e64 v1, v3, -1, v1
	v_lshlrev_b64_e32 v[8:9], v1, v[8:9]
	v_sub_nc_u32_e32 v1, 32, v1
	s_delay_alu instid0(VALU_DEP_2) | instskip(NEXT) | instid1(VALU_DEP_1)
	v_min_u32_e32 v3, 1, v8
	v_or_b32_e32 v3, v9, v3
	s_delay_alu instid0(VALU_DEP_1) | instskip(NEXT) | instid1(VALU_DEP_1)
	v_cvt_f32_i32_e32 v3, v3
	v_ldexp_f32 v8, v3, v1
	s_branch .LBB18_1452
.LBB18_1449:
	s_mov_b32 s0, -1
                                        ; implicit-def: $vgpr8
	s_branch .LBB18_1458
.LBB18_1450:
	s_mov_b32 s0, -1
                                        ; implicit-def: $vgpr8
	s_branch .LBB18_1455
.LBB18_1451:
	s_mov_b32 s0, -1
                                        ; implicit-def: $vgpr8
.LBB18_1452:
	s_delay_alu instid0(SALU_CYCLE_1)
	s_and_not1_b32 vcc_lo, exec_lo, s0
	s_cbranch_vccnz .LBB18_1454
; %bb.1453:
	global_load_b32 v1, v[4:5], off
	s_wait_loadcnt 0x0
	v_cvt_f32_i32_e32 v8, v1
.LBB18_1454:
	s_mov_b32 s0, 0
.LBB18_1455:
	s_delay_alu instid0(SALU_CYCLE_1)
	s_and_not1_b32 vcc_lo, exec_lo, s0
	s_cbranch_vccnz .LBB18_1457
; %bb.1456:
	global_load_i16 v1, v[4:5], off
	s_wait_loadcnt 0x0
	v_cvt_f32_i32_e32 v8, v1
.LBB18_1457:
	s_mov_b32 s0, 0
.LBB18_1458:
	s_delay_alu instid0(SALU_CYCLE_1)
	s_and_not1_b32 vcc_lo, exec_lo, s0
	s_cbranch_vccnz .LBB18_1464
; %bb.1459:
	s_cmp_gt_i32 s9, 0
	s_mov_b32 s0, 0
	s_cbranch_scc0 .LBB18_1461
; %bb.1460:
	global_load_i8 v1, v[4:5], off
	s_wait_loadcnt 0x0
	v_cvt_f32_i32_e32 v8, v1
	s_branch .LBB18_1462
.LBB18_1461:
	s_mov_b32 s0, -1
                                        ; implicit-def: $vgpr8
.LBB18_1462:
	s_delay_alu instid0(SALU_CYCLE_1)
	s_and_not1_b32 vcc_lo, exec_lo, s0
	s_cbranch_vccnz .LBB18_1464
; %bb.1463:
	global_load_u8 v1, v[4:5], off
	s_wait_loadcnt 0x0
	v_cvt_f32_ubyte0_e32 v8, v1
.LBB18_1464:
.LBB18_1465:
	s_wait_xcnt 0x0
	v_mov_b32_e32 v4, 0x7f800000
	s_mov_b32 s12, exec_lo
	s_wait_loadcnt 0x0
	s_delay_alu instid0(VALU_DEP_2)
	v_cmpx_neq_f32_e32 0, v8
	s_cbranch_execz .LBB18_1473
; %bb.1466:
	v_mov_b32_e32 v4, 0x7fc00000
	s_mov_b32 s13, exec_lo
	v_cmpx_ngt_f32_e32 0, v8
	s_cbranch_execz .LBB18_1472
; %bb.1467:
                                        ; implicit-def: $vgpr4
	s_mov_b32 s0, exec_lo
	v_cmpx_ge_f32_e32 2.0, v8
	s_xor_b32 s14, exec_lo, s0
	s_cbranch_execz .LBB18_1469
; %bb.1468:
	v_mov_b32_e32 v9, 0.5
	s_mov_b32 s0, 0xa2a2e5b9
	v_mov_b64_e32 v[14:15], 0x3ad6e3ac293fd856
	v_mov_b64_e32 v[18:19], 0xbb8db2f12d3612e2
	;; [unrolled: 1-line block ×3, first 2 shown]
	v_pk_fma_f32 v[4:5], v[8:9], v[8:9], -2.0 op_sel_hi:[0,1,0]
	s_delay_alu instid0(VALU_DEP_1) | instskip(NEXT) | instid1(VALU_DEP_2)
	v_fmaak_f32 v1, s0, v5, 0x24199b15
	v_mul_f32_e32 v16, 0x251e770f, v4
	s_mov_b32 s0, 0xa51e770f
	s_delay_alu instid0(VALU_DEP_2) | instskip(NEXT) | instid1(VALU_DEP_1)
	v_fmaak_f32 v3, v5, v1, 0x22a2e5b9
	v_add_f32_e32 v3, 0xa58c275c, v3
	s_delay_alu instid0(VALU_DEP_1) | instskip(SKIP_1) | instid1(VALU_DEP_2)
	v_fma_f32 v1, v5, v3, -v1
	v_pk_mul_f32 v[20:21], v[8:9], v[8:9] op_sel_hi:[0,1]
	v_add_f32_e32 v1, 0x26f736c5, v1
	s_delay_alu instid0(VALU_DEP_2) | instskip(NEXT) | instid1(VALU_DEP_2)
	v_cmp_gt_f32_e32 vcc_lo, 0x800000, v21
	v_fma_f32 v3, v5, v1, -v3
	v_cndmask_b32_e64 v11, 0, 32, vcc_lo
	s_delay_alu instid0(VALU_DEP_2) | instskip(NEXT) | instid1(VALU_DEP_2)
	v_add_f32_e32 v3, 0xa8528116, v3
	v_ldexp_f32 v11, v21, v11
	s_delay_alu instid0(VALU_DEP_2) | instskip(NEXT) | instid1(VALU_DEP_1)
	v_fma_f32 v1, v5, v3, -v1
	v_add_f32_e32 v1, 0x29acda32, v1
	s_delay_alu instid0(VALU_DEP_1) | instskip(NEXT) | instid1(VALU_DEP_1)
	v_fma_f32 v3, v5, v1, -v3
	v_add_f32_e32 v3, 0xab08b263, v3
	s_delay_alu instid0(VALU_DEP_1) | instskip(NEXT) | instid1(VALU_DEP_1)
	;; [unrolled: 3-line block ×15, first 2 shown]
	v_fma_f32 v3, v5, v1, -v3
	v_add_f32_e32 v13, 0xba1717e9, v3
	s_delay_alu instid0(VALU_DEP_1) | instskip(SKIP_1) | instid1(VALU_DEP_2)
	v_fma_f32 v17, v5, v13, -v1
	v_mul_f32_e32 v1, 0x3fb8aa3b, v8
	v_pk_add_f32 v[14:15], v[16:17], v[14:15]
	s_delay_alu instid0(VALU_DEP_2)
	v_rndne_f32_e32 v3, v1
	v_mov_b32_e32 v12, 0xa51e770f
	v_mov_b64_e32 v[16:17], s[0:1]
	v_fma_f32 v7, 0x3fb8aa3b, v8, -v1
	v_cmp_ngt_f32_e64 s0, 0xc2ce8ed0, v8
	v_sub_f32_e32 v1, v1, v3
	v_pk_fma_f32 v[12:13], v[4:5], v[14:15], v[12:13] neg_lo:[0,0,1] neg_hi:[0,0,1]
	v_cvt_i32_f32_e32 v3, v3
	v_fmamk_f32 v7, v8, 0x32a5705f, v7
	v_pk_fma_f32 v[16:17], v[4:5], v[14:15], v[16:17]
	s_delay_alu instid0(VALU_DEP_4) | instskip(NEXT) | instid1(VALU_DEP_1)
	v_mov_b32_e32 v17, v13
	v_pk_add_f32 v[12:13], v[16:17], v[18:19]
	v_mov_b64_e32 v[16:17], 0x3c2ccb103102e09b
	v_mov_b64_e32 v[18:19], 0xc000000037bfc808
	s_delay_alu instid0(VALU_DEP_3) | instskip(NEXT) | instid1(VALU_DEP_1)
	v_pk_fma_f32 v[14:15], v[4:5], v[12:13], v[14:15] neg_lo:[0,0,1] neg_hi:[0,0,1]
	v_pk_add_f32 v[14:15], v[14:15], v[16:17]
	v_mov_b64_e32 v[16:17], 0xbcc274f8348815e7
	s_delay_alu instid0(VALU_DEP_2) | instskip(NEXT) | instid1(VALU_DEP_1)
	v_pk_fma_f32 v[12:13], v[4:5], v[14:15], v[12:13] neg_lo:[0,0,1] neg_hi:[0,0,1]
	v_pk_add_f32 v[12:13], v[12:13], v[16:17]
	v_mov_b64_e32 v[16:17], 0x3d49f45637bfc808
	s_delay_alu instid0(VALU_DEP_2) | instskip(NEXT) | instid1(VALU_DEP_1)
	v_pk_fma_f32 v[14:15], v[4:5], v[12:13], v[14:15] neg_lo:[0,0,1] neg_hi:[0,0,1]
	v_mov_b32_e32 v20, v14
	s_delay_alu instid0(VALU_DEP_2) | instskip(SKIP_1) | instid1(VALU_DEP_3)
	v_pk_add_f32 v[14:15], v[14:15], v[16:17]
	v_mov_b32_e32 v16, v4
	v_pk_add_f32 v[18:19], v[20:21], v[18:19]
	s_delay_alu instid0(VALU_DEP_3) | instskip(NEXT) | instid1(VALU_DEP_1)
	v_mov_b32_e32 v17, v15
	v_pk_fma_f32 v[12:13], v[18:19], v[16:17], v[12:13] neg_lo:[0,0,1] neg_hi:[0,0,1]
	v_mov_b64_e32 v[16:17], 0x3e2fbd643d135fb3
	s_delay_alu instid0(VALU_DEP_2) | instskip(NEXT) | instid1(VALU_DEP_1)
	v_pk_add_f32 v[12:13], v[12:13], v[22:23]
	v_pk_fma_f32 v[14:15], v[4:5], v[12:13], v[14:15] neg_lo:[0,0,1] neg_hi:[0,0,1]
	s_delay_alu instid0(VALU_DEP_1) | instskip(NEXT) | instid1(VALU_DEP_1)
	v_pk_add_f32 v[14:15], v[14:15], v[16:17]
	v_pk_fma_f32 v[12:13], v[4:5], v[14:15], v[12:13] neg_lo:[0,0,1] neg_hi:[0,0,1]
	v_add_f32_e32 v1, v1, v7
	v_log_f32_e32 v7, v11
	v_mov_b32_e32 v16, v14
	s_delay_alu instid0(VALU_DEP_3) | instskip(NEXT) | instid1(VALU_DEP_3)
	v_add_f32_e32 v12, 0x3eb046c4, v12
	v_exp_f32_e32 v1, v1
	v_add_f32_e32 v11, 0xbe9bff5e, v13
	s_delay_alu instid0(TRANS32_DEP_2) | instid1(VALU_DEP_2)
	v_dual_mul_f32 v13, 0x3f317217, v7 :: v_dual_mul_f32 v4, v4, v12
	s_delay_alu instid0(VALU_DEP_2) | instskip(NEXT) | instid1(TRANS32_DEP_1)
	v_fma_f32 v5, v5, v11, -v15
	v_ldexp_f32 v1, v1, v3
	s_delay_alu instid0(VALU_DEP_3) | instskip(NEXT) | instid1(VALU_DEP_3)
	v_fma_f32 v3, 0x3f317217, v7, -v13
	v_add_f32_e32 v5, 0x3f2d4275, v5
	s_delay_alu instid0(VALU_DEP_3) | instskip(NEXT) | instid1(VALU_DEP_3)
	v_cndmask_b32_e64 v1, 0, v1, s0
	v_fmamk_f32 v3, v7, 0x3377d1cf, v3
	v_cmp_nlt_f32_e64 s0, 0x42b17218, v8
	s_delay_alu instid0(VALU_DEP_4) | instskip(NEXT) | instid1(VALU_DEP_3)
	v_pk_add_f32 v[4:5], v[4:5], v[14:15] neg_lo:[0,1] neg_hi:[0,1]
	v_fmac_f32_e32 v3, 0x3f317217, v7
	s_delay_alu instid0(VALU_DEP_3) | instskip(SKIP_4) | instid1(VALU_DEP_1)
	v_cndmask_b32_e64 v17, 0x7f800000, v1, s0
	v_cndmask_b32_e64 v1, 0, 0x41b17218, vcc_lo
	v_cmp_gt_f32_e64 vcc_lo, 0x7f800000, |v7|
	v_pk_mul_f32 v[18:19], v[4:5], v[8:9]
                                        ; implicit-def: $vgpr8
	v_dual_cndmask_b32 v3, v7, v3 :: v_dual_mov_b32 v12, 0xbf090b37
	v_pk_add_f32 v[4:5], v[4:5], v[12:13]
	s_delay_alu instid0(VALU_DEP_3) | instskip(NEXT) | instid1(VALU_DEP_3)
	v_pk_mul_f32 v[12:13], v[18:19], v[16:17]
	v_dual_sub_f32 v19, v3, v1 :: v_dual_mov_b32 v18, v9
	s_delay_alu instid0(VALU_DEP_3) | instskip(NEXT) | instid1(VALU_DEP_3)
	v_pk_add_f32 v[4:5], v[4:5], v[14:15] neg_lo:[0,1] neg_hi:[0,1]
	v_mov_b32_e32 v5, v13
	s_delay_alu instid0(VALU_DEP_1) | instskip(NEXT) | instid1(VALU_DEP_1)
	v_pk_mul_f32 v[4:5], v[18:19], v[4:5]
	v_sub_f32_e32 v1, v4, v5
	s_delay_alu instid0(VALU_DEP_1)
	v_mul_f32_e32 v4, v17, v1
.LBB18_1469:
	s_and_not1_saveexec_b32 s14, s14
	s_cbranch_execz .LBB18_1471
; %bb.1470:
	v_div_scale_f32 v1, null, v8, v8, 0x41000000
	v_div_scale_f32 v5, vcc_lo, 0x41000000, v8, 0x41000000
	s_mov_b32 s0, 0x22c38d2e
	v_rcp_f32_e32 v3, v1
	v_nop
	s_delay_alu instid0(TRANS32_DEP_1) | instskip(NEXT) | instid1(VALU_DEP_1)
	v_fma_f32 v4, -v1, v3, 1.0
	v_fmac_f32_e32 v3, v4, v3
	s_delay_alu instid0(VALU_DEP_1) | instskip(NEXT) | instid1(VALU_DEP_1)
	v_mul_f32_e32 v4, v5, v3
	v_fma_f32 v7, -v1, v4, v5
	s_delay_alu instid0(VALU_DEP_1) | instskip(NEXT) | instid1(VALU_DEP_1)
	v_fmac_f32_e32 v4, v7, v3
	v_fma_f32 v1, -v1, v4, v5
	v_mul_f32_e32 v5, 0x4f800000, v8
	s_delay_alu instid0(VALU_DEP_2) | instskip(SKIP_1) | instid1(VALU_DEP_2)
	v_div_fmas_f32 v1, v1, v3, v4
	v_cmp_gt_f32_e32 vcc_lo, 0xf800000, v8
	v_div_fixup_f32 v1, v1, v8, 0x41000000
	s_delay_alu instid0(VALU_DEP_4) | instskip(NEXT) | instid1(VALU_DEP_2)
	v_cndmask_b32_e32 v5, v8, v5, vcc_lo
	v_add_f32_e32 v1, -2.0, v1
	s_delay_alu instid0(VALU_DEP_2) | instskip(SKIP_1) | instid1(TRANS32_DEP_1)
	v_sqrt_f32_e32 v7, v5
	v_nop
	v_dual_fmaak_f32 v3, s0, v1, 0xa397f665 :: v_dual_add_nc_u32 v8, -1, v7
	s_delay_alu instid0(VALU_DEP_1) | instskip(NEXT) | instid1(VALU_DEP_1)
	v_dual_add_nc_u32 v9, 1, v7 :: v_dual_fma_f32 v11, -v8, v7, v5
	v_cmp_ge_f32_e64 s0, 0, v11
	s_delay_alu instid0(VALU_DEP_1) | instskip(NEXT) | instid1(VALU_DEP_1)
	v_dual_fma_f32 v12, -v9, v7, v5 :: v_dual_cndmask_b32 v7, v7, v8, s0
	v_cmp_lt_f32_e64 s0, 0, v12
	s_delay_alu instid0(VALU_DEP_1) | instskip(SKIP_1) | instid1(VALU_DEP_1)
	v_cndmask_b32_e64 v7, v7, v9, s0
	v_fmaak_f32 v4, v1, v3, 0xa2c38d2e
	v_add_f32_e32 v4, 0x24704972, v4
	s_delay_alu instid0(VALU_DEP_1) | instskip(NEXT) | instid1(VALU_DEP_1)
	v_fma_f32 v3, v1, v4, -v3
	v_add_f32_e32 v3, 0xa5417ca4, v3
	s_delay_alu instid0(VALU_DEP_1) | instskip(NEXT) | instid1(VALU_DEP_1)
	v_fma_f32 v4, v1, v3, -v4
	;; [unrolled: 3-line block ×21, first 2 shown]
	v_add_f32_e32 v3, 0xbd00cfb9, v3
	s_delay_alu instid0(VALU_DEP_1) | instskip(SKIP_1) | instid1(VALU_DEP_2)
	v_fma_f32 v1, v1, v3, -v4
	v_mul_f32_e32 v3, 0x37800000, v7
	v_add_f32_e32 v1, 0x401c2ded, v1
	s_delay_alu instid0(VALU_DEP_2) | instskip(SKIP_1) | instid1(VALU_DEP_1)
	v_cndmask_b32_e32 v3, v7, v3, vcc_lo
	v_cmp_class_f32_e64 vcc_lo, v5, 0x260
	v_dual_sub_f32 v1, v1, v4 :: v_dual_cndmask_b32 v3, v3, v5, vcc_lo
	s_delay_alu instid0(VALU_DEP_1) | instskip(NEXT) | instid1(VALU_DEP_1)
	v_mul_f32_e32 v1, 0.5, v1
	v_div_scale_f32 v4, null, v3, v3, v1
	s_delay_alu instid0(VALU_DEP_1) | instskip(SKIP_1) | instid1(TRANS32_DEP_1)
	v_rcp_f32_e32 v5, v4
	v_nop
	v_fma_f32 v7, -v4, v5, 1.0
	s_delay_alu instid0(VALU_DEP_1) | instskip(SKIP_1) | instid1(VALU_DEP_1)
	v_fmac_f32_e32 v5, v7, v5
	v_div_scale_f32 v7, vcc_lo, v1, v3, v1
	v_mul_f32_e32 v8, v7, v5
	s_delay_alu instid0(VALU_DEP_1) | instskip(NEXT) | instid1(VALU_DEP_1)
	v_fma_f32 v9, -v4, v8, v7
	v_fmac_f32_e32 v8, v9, v5
	s_delay_alu instid0(VALU_DEP_1) | instskip(NEXT) | instid1(VALU_DEP_1)
	v_fma_f32 v4, -v4, v8, v7
	v_div_fmas_f32 v4, v4, v5, v8
	s_delay_alu instid0(VALU_DEP_1)
	v_div_fixup_f32 v4, v4, v3, v1
.LBB18_1471:
	s_or_b32 exec_lo, exec_lo, s14
.LBB18_1472:
	s_delay_alu instid0(SALU_CYCLE_1)
	s_or_b32 exec_lo, exec_lo, s13
.LBB18_1473:
	s_delay_alu instid0(SALU_CYCLE_1) | instskip(SKIP_2) | instid1(VALU_DEP_1)
	s_or_b32 exec_lo, exec_lo, s12
	v_add_nc_u32_e32 v6, s3, v6
	s_cmp_lt_i32 s9, 11
	v_ashrrev_i32_e32 v7, 31, v6
	s_delay_alu instid0(VALU_DEP_1)
	v_add_nc_u64_e32 v[6:7], s[6:7], v[6:7]
	s_cbranch_scc1 .LBB18_1480
; %bb.1474:
	s_cmp_gt_i32 s9, 25
	s_mov_b32 s3, 0
	s_cbranch_scc0 .LBB18_1481
; %bb.1475:
	s_cmp_gt_i32 s9, 28
	s_cbranch_scc0 .LBB18_1482
; %bb.1476:
	s_cmp_gt_i32 s9, 43
	;; [unrolled: 3-line block ×3, first 2 shown]
	s_cbranch_scc0 .LBB18_1485
; %bb.1478:
	s_cmp_eq_u32 s9, 46
	s_mov_b32 s7, 0
	s_cbranch_scc0 .LBB18_1486
; %bb.1479:
	global_load_b32 v1, v[6:7], off
	s_mov_b32 s0, 0
	s_mov_b32 s6, -1
	s_wait_loadcnt 0x0
	v_lshlrev_b32_e32 v8, 16, v1
	s_branch .LBB18_1488
.LBB18_1480:
	s_mov_b32 s0, -1
	s_mov_b32 s6, 0
                                        ; implicit-def: $vgpr8
	s_branch .LBB18_1554
.LBB18_1481:
	s_mov_b32 s7, -1
	s_mov_b32 s6, 0
	s_mov_b32 s0, 0
                                        ; implicit-def: $vgpr8
	s_branch .LBB18_1517
.LBB18_1482:
	s_mov_b32 s7, -1
	s_mov_b32 s6, 0
	s_mov_b32 s0, 0
                                        ; implicit-def: $vgpr8
	s_branch .LBB18_1498
.LBB18_1483:
	s_mov_b32 s7, -1
	s_mov_b32 s6, 0
	s_mov_b32 s0, 0
                                        ; implicit-def: $vgpr8
	s_branch .LBB18_1493
.LBB18_1484:
	s_or_b32 s1, s1, exec_lo
	s_trap 2
	s_cbranch_execz .LBB18_1415
	s_branch .LBB18_1416
.LBB18_1485:
	s_mov_b32 s7, -1
	s_mov_b32 s6, 0
	s_mov_b32 s0, 0
	s_branch .LBB18_1487
.LBB18_1486:
	s_mov_b32 s0, -1
	s_mov_b32 s6, 0
.LBB18_1487:
                                        ; implicit-def: $vgpr8
.LBB18_1488:
	s_and_b32 vcc_lo, exec_lo, s7
	s_cbranch_vccz .LBB18_1492
; %bb.1489:
	s_cmp_eq_u32 s9, 44
	s_cbranch_scc0 .LBB18_1491
; %bb.1490:
	global_load_u8 v1, v[6:7], off
	s_mov_b32 s0, 0
	s_mov_b32 s6, -1
	s_wait_loadcnt 0x0
	v_lshlrev_b32_e32 v3, 23, v1
	v_cmp_ne_u32_e32 vcc_lo, 0xff, v1
	s_delay_alu instid0(VALU_DEP_2) | instskip(SKIP_1) | instid1(VALU_DEP_2)
	v_cndmask_b32_e32 v3, 0x7f800001, v3, vcc_lo
	v_cmp_ne_u32_e32 vcc_lo, 0, v1
	v_cndmask_b32_e32 v8, 0x400000, v3, vcc_lo
	s_branch .LBB18_1492
.LBB18_1491:
	s_mov_b32 s0, -1
                                        ; implicit-def: $vgpr8
.LBB18_1492:
	s_mov_b32 s7, 0
.LBB18_1493:
	s_delay_alu instid0(SALU_CYCLE_1)
	s_and_b32 vcc_lo, exec_lo, s7
	s_cbranch_vccz .LBB18_1497
; %bb.1494:
	s_cmp_eq_u32 s9, 29
	s_cbranch_scc0 .LBB18_1496
; %bb.1495:
	global_load_b64 v[8:9], v[6:7], off
	s_mov_b32 s0, 0
	s_mov_b32 s6, -1
	s_mov_b32 s7, 0
	s_wait_loadcnt 0x0
	v_clz_i32_u32_e32 v1, v9
	s_delay_alu instid0(VALU_DEP_1) | instskip(NEXT) | instid1(VALU_DEP_1)
	v_min_u32_e32 v1, 32, v1
	v_lshlrev_b64_e32 v[8:9], v1, v[8:9]
	v_sub_nc_u32_e32 v1, 32, v1
	s_delay_alu instid0(VALU_DEP_2) | instskip(NEXT) | instid1(VALU_DEP_1)
	v_min_u32_e32 v3, 1, v8
	v_or_b32_e32 v3, v9, v3
	s_delay_alu instid0(VALU_DEP_1) | instskip(NEXT) | instid1(VALU_DEP_1)
	v_cvt_f32_u32_e32 v3, v3
	v_ldexp_f32 v8, v3, v1
	s_branch .LBB18_1498
.LBB18_1496:
	s_mov_b32 s0, -1
                                        ; implicit-def: $vgpr8
.LBB18_1497:
	s_mov_b32 s7, 0
.LBB18_1498:
	s_delay_alu instid0(SALU_CYCLE_1)
	s_and_b32 vcc_lo, exec_lo, s7
	s_cbranch_vccz .LBB18_1516
; %bb.1499:
	s_cmp_lt_i32 s9, 27
	s_cbranch_scc1 .LBB18_1502
; %bb.1500:
	s_cmp_gt_i32 s9, 27
	s_cbranch_scc0 .LBB18_1503
; %bb.1501:
	global_load_b32 v1, v[6:7], off
	s_mov_b32 s6, 0
	s_wait_loadcnt 0x0
	v_cvt_f32_u32_e32 v8, v1
	s_branch .LBB18_1504
.LBB18_1502:
	s_mov_b32 s6, -1
                                        ; implicit-def: $vgpr8
	s_branch .LBB18_1507
.LBB18_1503:
	s_mov_b32 s6, -1
                                        ; implicit-def: $vgpr8
.LBB18_1504:
	s_delay_alu instid0(SALU_CYCLE_1)
	s_and_not1_b32 vcc_lo, exec_lo, s6
	s_cbranch_vccnz .LBB18_1506
; %bb.1505:
	global_load_u16 v1, v[6:7], off
	s_wait_loadcnt 0x0
	v_cvt_f32_u32_e32 v8, v1
.LBB18_1506:
	s_mov_b32 s6, 0
.LBB18_1507:
	s_delay_alu instid0(SALU_CYCLE_1)
	s_and_not1_b32 vcc_lo, exec_lo, s6
	s_cbranch_vccnz .LBB18_1515
; %bb.1508:
	global_load_u8 v1, v[6:7], off
	s_mov_b32 s6, 0
	s_mov_b32 s7, exec_lo
	s_wait_loadcnt 0x0
	v_cmpx_lt_i16_e32 0x7f, v1
	s_xor_b32 s7, exec_lo, s7
	s_cbranch_execz .LBB18_1529
; %bb.1509:
	s_mov_b32 s6, -1
	s_mov_b32 s12, exec_lo
	v_cmpx_eq_u16_e32 0x80, v1
; %bb.1510:
	s_xor_b32 s6, exec_lo, -1
; %bb.1511:
	s_or_b32 exec_lo, exec_lo, s12
	s_delay_alu instid0(SALU_CYCLE_1)
	s_and_b32 s6, s6, exec_lo
	s_or_saveexec_b32 s7, s7
	v_mov_b32_e32 v8, 0x7f800001
	s_xor_b32 exec_lo, exec_lo, s7
	s_cbranch_execnz .LBB18_1530
.LBB18_1512:
	s_or_b32 exec_lo, exec_lo, s7
	s_and_saveexec_b32 s7, s6
	s_cbranch_execz .LBB18_1514
.LBB18_1513:
	v_and_b32_e32 v3, 0xffff, v1
	s_delay_alu instid0(VALU_DEP_1) | instskip(SKIP_1) | instid1(VALU_DEP_2)
	v_and_b32_e32 v5, 7, v3
	v_bfe_u32 v11, v3, 3, 4
	v_clz_i32_u32_e32 v8, v5
	s_delay_alu instid0(VALU_DEP_2) | instskip(NEXT) | instid1(VALU_DEP_2)
	v_cmp_eq_u32_e32 vcc_lo, 0, v11
	v_min_u32_e32 v8, 32, v8
	s_delay_alu instid0(VALU_DEP_1) | instskip(NEXT) | instid1(VALU_DEP_1)
	v_subrev_nc_u32_e32 v9, 28, v8
	v_dual_lshlrev_b32 v3, v9, v3 :: v_dual_sub_nc_u32 v8, 29, v8
	s_delay_alu instid0(VALU_DEP_1) | instskip(NEXT) | instid1(VALU_DEP_1)
	v_dual_lshlrev_b32 v1, 24, v1 :: v_dual_bitop2_b32 v3, 7, v3 bitop3:0x40
	v_dual_cndmask_b32 v8, v11, v8 :: v_dual_cndmask_b32 v3, v5, v3
	s_delay_alu instid0(VALU_DEP_2) | instskip(NEXT) | instid1(VALU_DEP_2)
	v_and_b32_e32 v1, 0x80000000, v1
	v_lshl_add_u32 v5, v8, 23, 0x3b800000
	s_delay_alu instid0(VALU_DEP_3) | instskip(NEXT) | instid1(VALU_DEP_1)
	v_lshlrev_b32_e32 v3, 20, v3
	v_or3_b32 v8, v1, v5, v3
.LBB18_1514:
	s_or_b32 exec_lo, exec_lo, s7
.LBB18_1515:
	s_mov_b32 s6, -1
.LBB18_1516:
	s_mov_b32 s7, 0
.LBB18_1517:
	s_delay_alu instid0(SALU_CYCLE_1)
	s_and_b32 vcc_lo, exec_lo, s7
	s_cbranch_vccz .LBB18_1550
; %bb.1518:
	s_cmp_gt_i32 s9, 22
	s_cbranch_scc0 .LBB18_1528
; %bb.1519:
	s_cmp_lt_i32 s9, 24
	s_cbranch_scc1 .LBB18_1531
; %bb.1520:
	s_cmp_gt_i32 s9, 24
	s_cbranch_scc0 .LBB18_1532
; %bb.1521:
	global_load_u8 v1, v[6:7], off
	s_mov_b32 s6, exec_lo
	s_wait_loadcnt 0x0
	v_cmpx_lt_i16_e32 0x7f, v1
	s_xor_b32 s6, exec_lo, s6
	s_cbranch_execz .LBB18_1544
; %bb.1522:
	s_mov_b32 s3, -1
	s_mov_b32 s7, exec_lo
	v_cmpx_eq_u16_e32 0x80, v1
; %bb.1523:
	s_xor_b32 s3, exec_lo, -1
; %bb.1524:
	s_or_b32 exec_lo, exec_lo, s7
	s_delay_alu instid0(SALU_CYCLE_1)
	s_and_b32 s3, s3, exec_lo
	s_or_saveexec_b32 s6, s6
	v_mov_b32_e32 v8, 0x7f800001
	s_xor_b32 exec_lo, exec_lo, s6
	s_cbranch_execnz .LBB18_1545
.LBB18_1525:
	s_or_b32 exec_lo, exec_lo, s6
	s_and_saveexec_b32 s6, s3
	s_cbranch_execz .LBB18_1527
.LBB18_1526:
	v_and_b32_e32 v3, 0xffff, v1
	s_delay_alu instid0(VALU_DEP_1) | instskip(SKIP_1) | instid1(VALU_DEP_2)
	v_and_b32_e32 v5, 3, v3
	v_bfe_u32 v11, v3, 2, 5
	v_clz_i32_u32_e32 v8, v5
	s_delay_alu instid0(VALU_DEP_2) | instskip(NEXT) | instid1(VALU_DEP_2)
	v_cmp_eq_u32_e32 vcc_lo, 0, v11
	v_min_u32_e32 v8, 32, v8
	s_delay_alu instid0(VALU_DEP_1) | instskip(NEXT) | instid1(VALU_DEP_1)
	v_subrev_nc_u32_e32 v9, 29, v8
	v_dual_lshlrev_b32 v3, v9, v3 :: v_dual_sub_nc_u32 v8, 30, v8
	s_delay_alu instid0(VALU_DEP_1) | instskip(NEXT) | instid1(VALU_DEP_1)
	v_dual_lshlrev_b32 v1, 24, v1 :: v_dual_bitop2_b32 v3, 3, v3 bitop3:0x40
	v_dual_cndmask_b32 v8, v11, v8 :: v_dual_cndmask_b32 v3, v5, v3
	s_delay_alu instid0(VALU_DEP_2) | instskip(NEXT) | instid1(VALU_DEP_2)
	v_and_b32_e32 v1, 0x80000000, v1
	v_lshl_add_u32 v5, v8, 23, 0x37800000
	s_delay_alu instid0(VALU_DEP_3) | instskip(NEXT) | instid1(VALU_DEP_1)
	v_lshlrev_b32_e32 v3, 21, v3
	v_or3_b32 v8, v1, v5, v3
.LBB18_1527:
	s_or_b32 exec_lo, exec_lo, s6
	s_mov_b32 s3, 0
	s_branch .LBB18_1533
.LBB18_1528:
	s_mov_b32 s3, -1
                                        ; implicit-def: $vgpr8
	s_branch .LBB18_1539
.LBB18_1529:
	s_or_saveexec_b32 s7, s7
	v_mov_b32_e32 v8, 0x7f800001
	s_xor_b32 exec_lo, exec_lo, s7
	s_cbranch_execz .LBB18_1512
.LBB18_1530:
	v_cmp_ne_u16_e32 vcc_lo, 0, v1
	v_mov_b32_e32 v8, 0
	s_and_not1_b32 s6, s6, exec_lo
	s_and_b32 s12, vcc_lo, exec_lo
	s_delay_alu instid0(SALU_CYCLE_1)
	s_or_b32 s6, s6, s12
	s_or_b32 exec_lo, exec_lo, s7
	s_and_saveexec_b32 s7, s6
	s_cbranch_execnz .LBB18_1513
	s_branch .LBB18_1514
.LBB18_1531:
	s_mov_b32 s3, -1
                                        ; implicit-def: $vgpr8
	s_branch .LBB18_1536
.LBB18_1532:
	s_mov_b32 s3, -1
                                        ; implicit-def: $vgpr8
.LBB18_1533:
	s_delay_alu instid0(SALU_CYCLE_1)
	s_and_b32 vcc_lo, exec_lo, s3
	s_cbranch_vccz .LBB18_1535
; %bb.1534:
	global_load_u8 v1, v[6:7], off
	s_wait_loadcnt 0x0
	v_lshlrev_b32_e32 v1, 24, v1
	s_delay_alu instid0(VALU_DEP_1) | instskip(NEXT) | instid1(VALU_DEP_1)
	v_and_b32_e32 v3, 0x7f000000, v1
	v_clz_i32_u32_e32 v5, v3
	v_add_nc_u32_e32 v9, 0x1000000, v3
	v_cmp_ne_u32_e32 vcc_lo, 0, v3
	s_delay_alu instid0(VALU_DEP_3) | instskip(NEXT) | instid1(VALU_DEP_1)
	v_min_u32_e32 v5, 32, v5
	v_sub_nc_u32_e64 v5, v5, 4 clamp
	s_delay_alu instid0(VALU_DEP_1) | instskip(NEXT) | instid1(VALU_DEP_1)
	v_dual_lshlrev_b32 v8, v5, v3 :: v_dual_lshlrev_b32 v5, 23, v5
	v_lshrrev_b32_e32 v8, 4, v8
	s_delay_alu instid0(VALU_DEP_1) | instskip(SKIP_1) | instid1(VALU_DEP_2)
	v_sub_nc_u32_e32 v5, v8, v5
	v_ashrrev_i32_e32 v8, 8, v9
	v_add_nc_u32_e32 v5, 0x3c000000, v5
	s_delay_alu instid0(VALU_DEP_1) | instskip(NEXT) | instid1(VALU_DEP_1)
	v_and_or_b32 v5, 0x7f800000, v8, v5
	v_cndmask_b32_e32 v3, 0, v5, vcc_lo
	s_delay_alu instid0(VALU_DEP_1)
	v_and_or_b32 v8, 0x80000000, v1, v3
.LBB18_1535:
	s_mov_b32 s3, 0
.LBB18_1536:
	s_delay_alu instid0(SALU_CYCLE_1)
	s_and_not1_b32 vcc_lo, exec_lo, s3
	s_cbranch_vccnz .LBB18_1538
; %bb.1537:
	global_load_u8 v1, v[6:7], off
	s_wait_loadcnt 0x0
	v_lshlrev_b32_e32 v3, 25, v1
	v_lshlrev_b16 v1, 8, v1
	s_delay_alu instid0(VALU_DEP_1) | instskip(SKIP_1) | instid1(VALU_DEP_2)
	v_and_or_b32 v8, 0x7f00, v1, 0.5
	v_bfe_i32 v1, v1, 0, 16
	v_dual_add_f32 v8, -0.5, v8 :: v_dual_lshrrev_b32 v5, 4, v3
	v_cmp_gt_u32_e32 vcc_lo, 0x8000000, v3
	s_delay_alu instid0(VALU_DEP_2) | instskip(NEXT) | instid1(VALU_DEP_1)
	v_or_b32_e32 v5, 0x70000000, v5
	v_mul_f32_e32 v5, 0x7800000, v5
	s_delay_alu instid0(VALU_DEP_1) | instskip(NEXT) | instid1(VALU_DEP_1)
	v_cndmask_b32_e32 v3, v5, v8, vcc_lo
	v_and_or_b32 v8, 0x80000000, v1, v3
.LBB18_1538:
	s_mov_b32 s3, 0
	s_mov_b32 s6, -1
.LBB18_1539:
	s_and_not1_b32 vcc_lo, exec_lo, s3
	s_mov_b32 s3, 0
	s_cbranch_vccnz .LBB18_1550
; %bb.1540:
	s_cmp_gt_i32 s9, 14
	s_cbranch_scc0 .LBB18_1543
; %bb.1541:
	s_cmp_eq_u32 s9, 15
	s_cbranch_scc0 .LBB18_1546
; %bb.1542:
	global_load_u16 v1, v[6:7], off
	s_mov_b32 s0, 0
	s_mov_b32 s6, -1
	s_wait_loadcnt 0x0
	v_lshlrev_b32_e32 v8, 16, v1
	s_branch .LBB18_1548
.LBB18_1543:
	s_mov_b32 s3, -1
	s_branch .LBB18_1547
.LBB18_1544:
	s_or_saveexec_b32 s6, s6
	v_mov_b32_e32 v8, 0x7f800001
	s_xor_b32 exec_lo, exec_lo, s6
	s_cbranch_execz .LBB18_1525
.LBB18_1545:
	v_cmp_ne_u16_e32 vcc_lo, 0, v1
	v_mov_b32_e32 v8, 0
	s_and_not1_b32 s3, s3, exec_lo
	s_and_b32 s7, vcc_lo, exec_lo
	s_delay_alu instid0(SALU_CYCLE_1)
	s_or_b32 s3, s3, s7
	s_or_b32 exec_lo, exec_lo, s6
	s_and_saveexec_b32 s6, s3
	s_cbranch_execnz .LBB18_1526
	s_branch .LBB18_1527
.LBB18_1546:
	s_mov_b32 s0, -1
.LBB18_1547:
                                        ; implicit-def: $vgpr8
.LBB18_1548:
	s_and_b32 vcc_lo, exec_lo, s3
	s_mov_b32 s3, 0
	s_cbranch_vccz .LBB18_1550
; %bb.1549:
	s_cmp_lg_u32 s9, 11
	s_mov_b32 s3, -1
	s_cselect_b32 s0, -1, 0
.LBB18_1550:
	s_delay_alu instid0(SALU_CYCLE_1)
	s_and_b32 vcc_lo, exec_lo, s0
	s_cbranch_vccnz .LBB18_2092
; %bb.1551:
	s_and_not1_b32 vcc_lo, exec_lo, s3
	s_cbranch_vccnz .LBB18_1553
.LBB18_1552:
	global_load_u8 v1, v[6:7], off
	s_mov_b32 s6, -1
	s_wait_loadcnt 0x0
	v_cmp_ne_u16_e32 vcc_lo, 0, v1
	v_cndmask_b32_e64 v8, 0, 1.0, vcc_lo
.LBB18_1553:
	s_mov_b32 s0, 0
.LBB18_1554:
	s_delay_alu instid0(SALU_CYCLE_1)
	s_and_b32 vcc_lo, exec_lo, s0
	s_cbranch_vccz .LBB18_1603
; %bb.1555:
	s_cmp_lt_i32 s9, 5
	s_cbranch_scc1 .LBB18_1560
; %bb.1556:
	s_cmp_lt_i32 s9, 8
	s_cbranch_scc1 .LBB18_1561
	;; [unrolled: 3-line block ×3, first 2 shown]
; %bb.1558:
	s_cmp_gt_i32 s9, 9
	s_cbranch_scc0 .LBB18_1563
; %bb.1559:
	global_load_b64 v[8:9], v[6:7], off
	s_mov_b32 s0, 0
	s_wait_loadcnt 0x0
	v_cvt_f32_f64_e32 v8, v[8:9]
	s_branch .LBB18_1564
.LBB18_1560:
	s_mov_b32 s0, -1
                                        ; implicit-def: $vgpr8
	s_branch .LBB18_1582
.LBB18_1561:
	s_mov_b32 s0, -1
                                        ; implicit-def: $vgpr8
	s_branch .LBB18_1570
.LBB18_1562:
	s_mov_b32 s0, -1
                                        ; implicit-def: $vgpr8
	s_branch .LBB18_1567
.LBB18_1563:
	s_mov_b32 s0, -1
                                        ; implicit-def: $vgpr8
.LBB18_1564:
	s_delay_alu instid0(SALU_CYCLE_1)
	s_and_not1_b32 vcc_lo, exec_lo, s0
	s_cbranch_vccnz .LBB18_1566
; %bb.1565:
	global_load_b32 v8, v[6:7], off
.LBB18_1566:
	s_mov_b32 s0, 0
.LBB18_1567:
	s_delay_alu instid0(SALU_CYCLE_1)
	s_and_not1_b32 vcc_lo, exec_lo, s0
	s_cbranch_vccnz .LBB18_1569
; %bb.1568:
	global_load_b32 v1, v[6:7], off
	s_wait_loadcnt 0x0
	v_cvt_f32_f16_e32 v8, v1
.LBB18_1569:
	s_mov_b32 s0, 0
.LBB18_1570:
	s_delay_alu instid0(SALU_CYCLE_1)
	s_and_not1_b32 vcc_lo, exec_lo, s0
	s_cbranch_vccnz .LBB18_1581
; %bb.1571:
	s_cmp_lt_i32 s9, 6
	s_cbranch_scc1 .LBB18_1574
; %bb.1572:
	s_cmp_gt_i32 s9, 6
	s_cbranch_scc0 .LBB18_1575
; %bb.1573:
	s_wait_loadcnt 0x0
	global_load_b64 v[8:9], v[6:7], off
	s_mov_b32 s0, 0
	s_wait_loadcnt 0x0
	v_cvt_f32_f64_e32 v8, v[8:9]
	s_branch .LBB18_1576
.LBB18_1574:
	s_mov_b32 s0, -1
                                        ; implicit-def: $vgpr8
	s_branch .LBB18_1579
.LBB18_1575:
	s_mov_b32 s0, -1
                                        ; implicit-def: $vgpr8
.LBB18_1576:
	s_delay_alu instid0(SALU_CYCLE_1)
	s_and_not1_b32 vcc_lo, exec_lo, s0
	s_cbranch_vccnz .LBB18_1578
; %bb.1577:
	s_wait_loadcnt 0x0
	global_load_b32 v8, v[6:7], off
.LBB18_1578:
	s_mov_b32 s0, 0
.LBB18_1579:
	s_delay_alu instid0(SALU_CYCLE_1)
	s_and_not1_b32 vcc_lo, exec_lo, s0
	s_cbranch_vccnz .LBB18_1581
; %bb.1580:
	global_load_u16 v1, v[6:7], off
	s_wait_loadcnt 0x0
	v_cvt_f32_f16_e32 v8, v1
.LBB18_1581:
	s_mov_b32 s0, 0
.LBB18_1582:
	s_delay_alu instid0(SALU_CYCLE_1)
	s_and_not1_b32 vcc_lo, exec_lo, s0
	s_cbranch_vccnz .LBB18_1602
; %bb.1583:
	s_cmp_lt_i32 s9, 2
	s_cbranch_scc1 .LBB18_1587
; %bb.1584:
	s_cmp_lt_i32 s9, 3
	s_cbranch_scc1 .LBB18_1588
; %bb.1585:
	s_cmp_gt_i32 s9, 3
	s_cbranch_scc0 .LBB18_1589
; %bb.1586:
	s_wait_loadcnt 0x0
	global_load_b64 v[8:9], v[6:7], off
	s_mov_b32 s0, 0
	s_wait_loadcnt 0x0
	v_xor_b32_e32 v1, v8, v9
	v_cls_i32_e32 v3, v9
	s_delay_alu instid0(VALU_DEP_2) | instskip(NEXT) | instid1(VALU_DEP_1)
	v_ashrrev_i32_e32 v1, 31, v1
	v_add_nc_u32_e32 v1, 32, v1
	s_delay_alu instid0(VALU_DEP_1) | instskip(NEXT) | instid1(VALU_DEP_1)
	v_add_min_u32_e64 v1, v3, -1, v1
	v_lshlrev_b64_e32 v[8:9], v1, v[8:9]
	v_sub_nc_u32_e32 v1, 32, v1
	s_delay_alu instid0(VALU_DEP_2) | instskip(NEXT) | instid1(VALU_DEP_1)
	v_min_u32_e32 v3, 1, v8
	v_or_b32_e32 v3, v9, v3
	s_delay_alu instid0(VALU_DEP_1) | instskip(NEXT) | instid1(VALU_DEP_1)
	v_cvt_f32_i32_e32 v3, v3
	v_ldexp_f32 v8, v3, v1
	s_branch .LBB18_1590
.LBB18_1587:
	s_mov_b32 s0, -1
                                        ; implicit-def: $vgpr8
	s_branch .LBB18_1596
.LBB18_1588:
	s_mov_b32 s0, -1
                                        ; implicit-def: $vgpr8
	s_branch .LBB18_1593
.LBB18_1589:
	s_mov_b32 s0, -1
                                        ; implicit-def: $vgpr8
.LBB18_1590:
	s_delay_alu instid0(SALU_CYCLE_1)
	s_and_not1_b32 vcc_lo, exec_lo, s0
	s_cbranch_vccnz .LBB18_1592
; %bb.1591:
	global_load_b32 v1, v[6:7], off
	s_wait_loadcnt 0x0
	v_cvt_f32_i32_e32 v8, v1
.LBB18_1592:
	s_mov_b32 s0, 0
.LBB18_1593:
	s_delay_alu instid0(SALU_CYCLE_1)
	s_and_not1_b32 vcc_lo, exec_lo, s0
	s_cbranch_vccnz .LBB18_1595
; %bb.1594:
	global_load_i16 v1, v[6:7], off
	s_wait_loadcnt 0x0
	v_cvt_f32_i32_e32 v8, v1
.LBB18_1595:
	s_mov_b32 s0, 0
.LBB18_1596:
	s_delay_alu instid0(SALU_CYCLE_1)
	s_and_not1_b32 vcc_lo, exec_lo, s0
	s_cbranch_vccnz .LBB18_1602
; %bb.1597:
	s_cmp_gt_i32 s9, 0
	s_mov_b32 s0, 0
	s_cbranch_scc0 .LBB18_1599
; %bb.1598:
	global_load_i8 v1, v[6:7], off
	s_wait_loadcnt 0x0
	v_cvt_f32_i32_e32 v8, v1
	s_branch .LBB18_1600
.LBB18_1599:
	s_mov_b32 s0, -1
                                        ; implicit-def: $vgpr8
.LBB18_1600:
	s_delay_alu instid0(SALU_CYCLE_1)
	s_and_not1_b32 vcc_lo, exec_lo, s0
	s_cbranch_vccnz .LBB18_1602
; %bb.1601:
	global_load_u8 v1, v[6:7], off
	s_wait_loadcnt 0x0
	v_cvt_f32_ubyte0_e32 v8, v1
.LBB18_1602:
	s_mov_b32 s6, -1
.LBB18_1603:
	s_delay_alu instid0(SALU_CYCLE_1)
	s_and_not1_b32 vcc_lo, exec_lo, s6
	s_cbranch_vccnz .LBB18_1690
; %bb.1604:
	s_wait_xcnt 0x0
	v_mov_b32_e32 v6, 0x7f800000
	s_mov_b32 s3, exec_lo
	s_wait_loadcnt 0x0
	s_delay_alu instid0(VALU_DEP_2)
	v_cmpx_neq_f32_e32 0, v8
	s_cbranch_execz .LBB18_1612
; %bb.1605:
	v_mov_b32_e32 v6, 0x7fc00000
	s_mov_b32 s6, exec_lo
	v_cmpx_ngt_f32_e32 0, v8
	s_cbranch_execz .LBB18_1611
; %bb.1606:
                                        ; implicit-def: $vgpr6
	s_mov_b32 s0, exec_lo
	v_cmpx_ge_f32_e32 2.0, v8
	s_xor_b32 s7, exec_lo, s0
	s_cbranch_execz .LBB18_1608
; %bb.1607:
	v_mov_b32_e32 v9, 0.5
	s_mov_b32 s0, 0xa2a2e5b9
	v_mov_b64_e32 v[14:15], 0x3ad6e3ac293fd856
	v_mov_b64_e32 v[18:19], 0xbb8db2f12d3612e2
	;; [unrolled: 1-line block ×3, first 2 shown]
	v_pk_fma_f32 v[6:7], v[8:9], v[8:9], -2.0 op_sel_hi:[0,1,0]
	s_delay_alu instid0(VALU_DEP_1) | instskip(NEXT) | instid1(VALU_DEP_2)
	v_fmaak_f32 v1, s0, v7, 0x24199b15
	v_mul_f32_e32 v16, 0x251e770f, v6
	s_mov_b32 s0, 0xa51e770f
	s_delay_alu instid0(VALU_DEP_2) | instskip(NEXT) | instid1(VALU_DEP_1)
	v_fmaak_f32 v3, v7, v1, 0x22a2e5b9
	v_add_f32_e32 v3, 0xa58c275c, v3
	s_delay_alu instid0(VALU_DEP_1) | instskip(SKIP_1) | instid1(VALU_DEP_2)
	v_fma_f32 v1, v7, v3, -v1
	v_pk_mul_f32 v[20:21], v[8:9], v[8:9] op_sel_hi:[0,1]
	v_add_f32_e32 v1, 0x26f736c5, v1
	s_delay_alu instid0(VALU_DEP_2) | instskip(NEXT) | instid1(VALU_DEP_2)
	v_cmp_gt_f32_e32 vcc_lo, 0x800000, v21
	v_fma_f32 v3, v7, v1, -v3
	v_cndmask_b32_e64 v11, 0, 32, vcc_lo
	s_delay_alu instid0(VALU_DEP_2) | instskip(NEXT) | instid1(VALU_DEP_2)
	v_add_f32_e32 v3, 0xa8528116, v3
	v_ldexp_f32 v11, v21, v11
	s_delay_alu instid0(VALU_DEP_2) | instskip(NEXT) | instid1(VALU_DEP_1)
	v_fma_f32 v1, v7, v3, -v1
	v_add_f32_e32 v1, 0x29acda32, v1
	s_delay_alu instid0(VALU_DEP_1) | instskip(NEXT) | instid1(VALU_DEP_1)
	v_fma_f32 v3, v7, v1, -v3
	v_add_f32_e32 v3, 0xab08b263, v3
	s_delay_alu instid0(VALU_DEP_1) | instskip(NEXT) | instid1(VALU_DEP_1)
	v_fma_f32 v1, v7, v3, -v1
	v_add_f32_e32 v1, 0x2c4ff17f, v1
	s_delay_alu instid0(VALU_DEP_1) | instskip(NEXT) | instid1(VALU_DEP_1)
	v_fma_f32 v3, v7, v1, -v3
	v_add_f32_e32 v3, 0xad97e4ac, v3
	s_delay_alu instid0(VALU_DEP_1) | instskip(NEXT) | instid1(VALU_DEP_1)
	v_fma_f32 v1, v7, v3, -v1
	v_add_f32_e32 v1, 0x2ed4c5f6, v1
	s_delay_alu instid0(VALU_DEP_1) | instskip(NEXT) | instid1(VALU_DEP_1)
	v_fma_f32 v3, v7, v1, -v3
	v_add_f32_e32 v3, 0xb00ea7f1, v3
	s_delay_alu instid0(VALU_DEP_1) | instskip(NEXT) | instid1(VALU_DEP_1)
	v_fma_f32 v1, v7, v3, -v1
	v_add_f32_e32 v1, 0x3136c81d, v1
	s_delay_alu instid0(VALU_DEP_1) | instskip(NEXT) | instid1(VALU_DEP_1)
	v_fma_f32 v3, v7, v1, -v3
	v_add_f32_e32 v3, 0xb25f57b4, v3
	s_delay_alu instid0(VALU_DEP_1) | instskip(NEXT) | instid1(VALU_DEP_1)
	v_fma_f32 v1, v7, v3, -v1
	v_add_f32_e32 v1, 0x3381dbb5, v1
	s_delay_alu instid0(VALU_DEP_1) | instskip(NEXT) | instid1(VALU_DEP_1)
	v_fma_f32 v3, v7, v1, -v3
	v_add_f32_e32 v3, 0xb48f631c, v3
	s_delay_alu instid0(VALU_DEP_1) | instskip(NEXT) | instid1(VALU_DEP_1)
	v_fma_f32 v1, v7, v3, -v1
	v_add_f32_e32 v1, 0x3595f925, v1
	s_delay_alu instid0(VALU_DEP_1) | instskip(NEXT) | instid1(VALU_DEP_1)
	v_fma_f32 v3, v7, v1, -v3
	v_add_f32_e32 v3, 0xb694337e, v3
	s_delay_alu instid0(VALU_DEP_1) | instskip(NEXT) | instid1(VALU_DEP_1)
	v_fma_f32 v1, v7, v3, -v1
	v_add_f32_e32 v1, 0x3789fac6, v1
	s_delay_alu instid0(VALU_DEP_1) | instskip(NEXT) | instid1(VALU_DEP_1)
	v_fma_f32 v3, v7, v1, -v3
	v_add_f32_e32 v3, 0xb8715933, v3
	s_delay_alu instid0(VALU_DEP_1) | instskip(NEXT) | instid1(VALU_DEP_1)
	v_fma_f32 v1, v7, v3, -v1
	v_add_f32_e32 v1, 0x3945a8dc, v1
	s_delay_alu instid0(VALU_DEP_1) | instskip(NEXT) | instid1(VALU_DEP_1)
	v_fma_f32 v3, v7, v1, -v3
	v_add_f32_e32 v13, 0xba1717e9, v3
	s_delay_alu instid0(VALU_DEP_1) | instskip(SKIP_1) | instid1(VALU_DEP_1)
	v_fma_f32 v17, v7, v13, -v1
	v_mul_f32_e32 v1, 0x3fb8aa3b, v8
	v_rndne_f32_e32 v3, v1
	v_fma_f32 v5, 0x3fb8aa3b, v8, -v1
	s_delay_alu instid0(VALU_DEP_2) | instskip(SKIP_1) | instid1(VALU_DEP_3)
	v_sub_f32_e32 v1, v1, v3
	v_pk_add_f32 v[14:15], v[16:17], v[14:15]
	v_fmamk_f32 v5, v8, 0x32a5705f, v5
	v_mov_b32_e32 v12, 0xa51e770f
	v_mov_b64_e32 v[16:17], s[0:1]
	v_cvt_i32_f32_e32 v3, v3
	v_cmp_ngt_f32_e64 s0, 0xc2ce8ed0, v8
	v_add_f32_e32 v1, v1, v5
	v_pk_fma_f32 v[12:13], v[6:7], v[14:15], v[12:13] neg_lo:[0,0,1] neg_hi:[0,0,1]
	v_log_f32_e32 v5, v11
	v_pk_fma_f32 v[16:17], v[6:7], v[14:15], v[16:17]
	s_delay_alu instid0(VALU_DEP_3) | instskip(NEXT) | instid1(VALU_DEP_2)
	v_exp_f32_e32 v1, v1
	v_mov_b32_e32 v17, v13
	s_delay_alu instid0(VALU_DEP_1) | instskip(SKIP_2) | instid1(TRANS32_DEP_1)
	v_pk_add_f32 v[12:13], v[16:17], v[18:19]
	v_mov_b64_e32 v[16:17], 0x3c2ccb103102e09b
	v_mov_b64_e32 v[18:19], 0xc000000037bfc808
	v_ldexp_f32 v1, v1, v3
	s_delay_alu instid0(VALU_DEP_4) | instskip(NEXT) | instid1(VALU_DEP_2)
	v_pk_fma_f32 v[14:15], v[6:7], v[12:13], v[14:15] neg_lo:[0,0,1] neg_hi:[0,0,1]
	v_cndmask_b32_e64 v1, 0, v1, s0
	v_cmp_nlt_f32_e64 s0, 0x42b17218, v8
	s_delay_alu instid0(VALU_DEP_3) | instskip(SKIP_1) | instid1(VALU_DEP_2)
	v_pk_add_f32 v[14:15], v[14:15], v[16:17]
	v_mov_b64_e32 v[16:17], 0xbcc274f8348815e7
	v_pk_fma_f32 v[12:13], v[6:7], v[14:15], v[12:13] neg_lo:[0,0,1] neg_hi:[0,0,1]
	s_delay_alu instid0(VALU_DEP_1) | instskip(SKIP_1) | instid1(VALU_DEP_2)
	v_pk_add_f32 v[12:13], v[12:13], v[16:17]
	v_mov_b64_e32 v[16:17], 0x3d49f45637bfc808
	v_pk_fma_f32 v[14:15], v[6:7], v[12:13], v[14:15] neg_lo:[0,0,1] neg_hi:[0,0,1]
	s_delay_alu instid0(VALU_DEP_1) | instskip(NEXT) | instid1(VALU_DEP_2)
	v_mov_b32_e32 v20, v14
	v_pk_add_f32 v[14:15], v[14:15], v[16:17]
	v_mov_b32_e32 v16, v6
	s_delay_alu instid0(VALU_DEP_3) | instskip(NEXT) | instid1(VALU_DEP_3)
	v_pk_add_f32 v[18:19], v[20:21], v[18:19]
	v_mov_b32_e32 v17, v15
	s_delay_alu instid0(VALU_DEP_1) | instskip(SKIP_1) | instid1(VALU_DEP_2)
	v_pk_fma_f32 v[12:13], v[18:19], v[16:17], v[12:13] neg_lo:[0,0,1] neg_hi:[0,0,1]
	v_mov_b64_e32 v[16:17], 0x3e2fbd643d135fb3
	v_pk_add_f32 v[12:13], v[12:13], v[22:23]
	s_delay_alu instid0(VALU_DEP_1) | instskip(NEXT) | instid1(VALU_DEP_1)
	v_pk_fma_f32 v[14:15], v[6:7], v[12:13], v[14:15] neg_lo:[0,0,1] neg_hi:[0,0,1]
	v_pk_add_f32 v[14:15], v[14:15], v[16:17]
	v_cndmask_b32_e64 v17, 0x7f800000, v1, s0
	v_cndmask_b32_e64 v1, 0, 0x41b17218, vcc_lo
	v_cmp_gt_f32_e64 vcc_lo, 0x7f800000, |v5|
	s_delay_alu instid0(VALU_DEP_4) | instskip(NEXT) | instid1(VALU_DEP_1)
	v_pk_fma_f32 v[12:13], v[6:7], v[14:15], v[12:13] neg_lo:[0,0,1] neg_hi:[0,0,1]
	v_dual_mov_b32 v16, v14 :: v_dual_add_f32 v11, 0xbe9bff5e, v13
	v_mul_f32_e32 v13, 0x3f317217, v5
	s_delay_alu instid0(VALU_DEP_2) | instskip(NEXT) | instid1(VALU_DEP_2)
	v_fma_f32 v7, v7, v11, -v15
	v_fma_f32 v3, 0x3f317217, v5, -v13
	s_delay_alu instid0(VALU_DEP_2) | instskip(NEXT) | instid1(VALU_DEP_2)
	v_add_f32_e32 v7, 0x3f2d4275, v7
	v_fmamk_f32 v3, v5, 0x3377d1cf, v3
	s_delay_alu instid0(VALU_DEP_1) | instskip(NEXT) | instid1(VALU_DEP_1)
	v_fmac_f32_e32 v3, 0x3f317217, v5
	v_dual_cndmask_b32 v3, v5, v3 :: v_dual_add_f32 v12, 0x3eb046c4, v12
	s_delay_alu instid0(VALU_DEP_1) | instskip(SKIP_1) | instid1(VALU_DEP_2)
	v_mul_f32_e32 v6, v6, v12
	v_mov_b32_e32 v12, 0xbf090b37
	v_pk_add_f32 v[6:7], v[6:7], v[14:15] neg_lo:[0,1] neg_hi:[0,1]
	s_delay_alu instid0(VALU_DEP_1) | instskip(NEXT) | instid1(VALU_DEP_3)
	v_pk_mul_f32 v[18:19], v[6:7], v[8:9]
	v_pk_add_f32 v[6:7], v[6:7], v[12:13]
                                        ; implicit-def: $vgpr8
	s_delay_alu instid0(VALU_DEP_2) | instskip(NEXT) | instid1(VALU_DEP_2)
	v_pk_mul_f32 v[12:13], v[18:19], v[16:17]
	v_pk_add_f32 v[6:7], v[6:7], v[14:15] neg_lo:[0,1] neg_hi:[0,1]
	v_dual_sub_f32 v19, v3, v1 :: v_dual_mov_b32 v18, v9
	s_delay_alu instid0(VALU_DEP_3) | instskip(NEXT) | instid1(VALU_DEP_1)
	v_mov_b32_e32 v7, v13
	v_pk_mul_f32 v[6:7], v[18:19], v[6:7]
	s_delay_alu instid0(VALU_DEP_1) | instskip(NEXT) | instid1(VALU_DEP_1)
	v_sub_f32_e32 v1, v6, v7
	v_mul_f32_e32 v6, v17, v1
.LBB18_1608:
	s_and_not1_saveexec_b32 s7, s7
	s_cbranch_execz .LBB18_1610
; %bb.1609:
	v_div_scale_f32 v1, null, v8, v8, 0x41000000
	v_div_scale_f32 v6, vcc_lo, 0x41000000, v8, 0x41000000
	s_mov_b32 s0, 0x22c38d2e
	v_rcp_f32_e32 v3, v1
	v_nop
	s_delay_alu instid0(TRANS32_DEP_1) | instskip(NEXT) | instid1(VALU_DEP_1)
	v_fma_f32 v5, -v1, v3, 1.0
	v_fmac_f32_e32 v3, v5, v3
	s_delay_alu instid0(VALU_DEP_1) | instskip(NEXT) | instid1(VALU_DEP_1)
	v_mul_f32_e32 v5, v6, v3
	v_fma_f32 v7, -v1, v5, v6
	s_delay_alu instid0(VALU_DEP_1) | instskip(NEXT) | instid1(VALU_DEP_1)
	v_fmac_f32_e32 v5, v7, v3
	v_fma_f32 v1, -v1, v5, v6
	v_mul_f32_e32 v6, 0x4f800000, v8
	s_delay_alu instid0(VALU_DEP_2) | instskip(SKIP_1) | instid1(VALU_DEP_2)
	v_div_fmas_f32 v1, v1, v3, v5
	v_cmp_gt_f32_e32 vcc_lo, 0xf800000, v8
	v_div_fixup_f32 v1, v1, v8, 0x41000000
	s_delay_alu instid0(VALU_DEP_1) | instskip(NEXT) | instid1(VALU_DEP_1)
	v_dual_cndmask_b32 v6, v8, v6 :: v_dual_add_f32 v1, -2.0, v1
	v_sqrt_f32_e32 v7, v6
	v_nop
	s_delay_alu instid0(TRANS32_DEP_1) | instskip(SKIP_1) | instid1(VALU_DEP_2)
	v_dual_fmaak_f32 v3, s0, v1, 0xa397f665 :: v_dual_add_nc_u32 v8, -1, v7
	v_add_nc_u32_e32 v9, 1, v7
	v_fmaak_f32 v5, v1, v3, 0xa2c38d2e
	s_delay_alu instid0(VALU_DEP_2) | instskip(NEXT) | instid1(VALU_DEP_2)
	v_dual_fma_f32 v11, -v8, v7, v6 :: v_dual_fma_f32 v12, -v9, v7, v6
	v_add_f32_e32 v5, 0x24704972, v5
	s_delay_alu instid0(VALU_DEP_2) | instskip(NEXT) | instid1(VALU_DEP_1)
	v_cmp_ge_f32_e64 s0, 0, v11
	v_dual_fma_f32 v3, v1, v5, -v3 :: v_dual_cndmask_b32 v7, v7, v8, s0
	s_delay_alu instid0(VALU_DEP_4) | instskip(NEXT) | instid1(VALU_DEP_2)
	v_cmp_lt_f32_e64 s0, 0, v12
	v_add_f32_e32 v3, 0xa5417ca4, v3
	s_delay_alu instid0(VALU_DEP_1) | instskip(NEXT) | instid1(VALU_DEP_1)
	v_dual_cndmask_b32 v7, v7, v9, s0 :: v_dual_fma_f32 v5, v1, v3, -v5
	v_add_f32_e32 v5, 0x261edfcb, v5
	s_delay_alu instid0(VALU_DEP_1) | instskip(NEXT) | instid1(VALU_DEP_1)
	v_fma_f32 v3, v1, v5, -v3
	v_add_f32_e32 v3, 0xa7053487, v3
	s_delay_alu instid0(VALU_DEP_1) | instskip(NEXT) | instid1(VALU_DEP_1)
	v_fma_f32 v5, v1, v3, -v5
	;; [unrolled: 3-line block ×19, first 2 shown]
	v_add_f32_e32 v3, 0xbd00cfb9, v3
	s_delay_alu instid0(VALU_DEP_1) | instskip(SKIP_1) | instid1(VALU_DEP_2)
	v_fma_f32 v1, v1, v3, -v5
	v_mul_f32_e32 v3, 0x37800000, v7
	v_add_f32_e32 v1, 0x401c2ded, v1
	s_delay_alu instid0(VALU_DEP_2) | instskip(SKIP_1) | instid1(VALU_DEP_1)
	v_cndmask_b32_e32 v3, v7, v3, vcc_lo
	v_cmp_class_f32_e64 vcc_lo, v6, 0x260
	v_dual_sub_f32 v1, v1, v5 :: v_dual_cndmask_b32 v3, v3, v6, vcc_lo
	s_delay_alu instid0(VALU_DEP_1) | instskip(NEXT) | instid1(VALU_DEP_1)
	v_mul_f32_e32 v1, 0.5, v1
	v_div_scale_f32 v5, null, v3, v3, v1
	s_delay_alu instid0(VALU_DEP_1) | instskip(SKIP_1) | instid1(TRANS32_DEP_1)
	v_rcp_f32_e32 v6, v5
	v_nop
	v_fma_f32 v7, -v5, v6, 1.0
	s_delay_alu instid0(VALU_DEP_1) | instskip(SKIP_1) | instid1(VALU_DEP_1)
	v_fmac_f32_e32 v6, v7, v6
	v_div_scale_f32 v7, vcc_lo, v1, v3, v1
	v_mul_f32_e32 v8, v7, v6
	s_delay_alu instid0(VALU_DEP_1) | instskip(NEXT) | instid1(VALU_DEP_1)
	v_fma_f32 v9, -v5, v8, v7
	v_fmac_f32_e32 v8, v9, v6
	s_delay_alu instid0(VALU_DEP_1) | instskip(NEXT) | instid1(VALU_DEP_1)
	v_fma_f32 v5, -v5, v8, v7
	v_div_fmas_f32 v5, v5, v6, v8
	s_delay_alu instid0(VALU_DEP_1)
	v_div_fixup_f32 v6, v5, v3, v1
.LBB18_1610:
	s_or_b32 exec_lo, exec_lo, s7
.LBB18_1611:
	s_delay_alu instid0(SALU_CYCLE_1)
	s_or_b32 exec_lo, exec_lo, s6
.LBB18_1612:
	s_delay_alu instid0(SALU_CYCLE_1) | instskip(SKIP_2) | instid1(SALU_CYCLE_1)
	s_or_b32 exec_lo, exec_lo, s3
	v_mul_lo_u32 v8, s2, v10
	s_and_b32 s12, s8, 0xff
	s_cmp_lt_i32 s12, 11
	s_delay_alu instid0(VALU_DEP_1) | instskip(NEXT) | instid1(VALU_DEP_1)
	v_ashrrev_i32_e32 v9, 31, v8
	v_add_nc_u64_e32 v[10:11], s[4:5], v[8:9]
	s_cbranch_scc1 .LBB18_1735
; %bb.1613:
	s_and_b32 s3, 0xffff, s12
	s_mov_b32 s8, -1
	s_mov_b32 s6, 0
	s_cmp_gt_i32 s3, 25
	s_mov_b32 s7, 0
	s_mov_b32 s0, 0
	s_cbranch_scc0 .LBB18_1646
; %bb.1614:
	s_cmp_gt_i32 s3, 28
	s_cbranch_scc0 .LBB18_1629
; %bb.1615:
	s_cmp_gt_i32 s3, 43
	;; [unrolled: 3-line block ×3, first 2 shown]
	s_cbranch_scc0 .LBB18_1619
; %bb.1617:
	s_mov_b32 s0, -1
	s_mov_b32 s8, 0
	s_cmp_eq_u32 s3, 46
	s_cbranch_scc0 .LBB18_1619
; %bb.1618:
	v_bfe_u32 v1, v0, 16, 1
	v_cmp_o_f32_e32 vcc_lo, v0, v0
	s_mov_b32 s0, 0
	s_mov_b32 s7, -1
	s_delay_alu instid0(VALU_DEP_2) | instskip(NEXT) | instid1(VALU_DEP_1)
	v_add3_u32 v1, v0, v1, 0x7fff
	v_lshrrev_b32_e32 v1, 16, v1
	s_delay_alu instid0(VALU_DEP_1)
	v_cndmask_b32_e32 v1, 0x7fc0, v1, vcc_lo
	global_store_b32 v[10:11], v1, off
.LBB18_1619:
	s_and_b32 vcc_lo, exec_lo, s8
	s_cbranch_vccz .LBB18_1624
; %bb.1620:
	s_cmp_eq_u32 s3, 44
	s_mov_b32 s0, -1
	s_cbranch_scc0 .LBB18_1624
; %bb.1621:
	v_bfe_u32 v3, v0, 23, 8
	s_wait_xcnt 0x0
	v_mov_b32_e32 v1, 0xff
	s_mov_b32 s7, exec_lo
	s_delay_alu instid0(VALU_DEP_2)
	v_cmpx_ne_u32_e32 0xff, v3
	s_cbranch_execz .LBB18_1623
; %bb.1622:
	v_and_b32_e32 v1, 0x400000, v0
	v_and_or_b32 v3, 0x3fffff, v0, v3
	s_delay_alu instid0(VALU_DEP_2) | instskip(NEXT) | instid1(VALU_DEP_2)
	v_cmp_ne_u32_e32 vcc_lo, 0, v1
	v_cmp_ne_u32_e64 s0, 0, v3
	v_lshrrev_b32_e32 v1, 23, v0
	s_and_b32 s0, vcc_lo, s0
	s_delay_alu instid0(SALU_CYCLE_1) | instskip(NEXT) | instid1(VALU_DEP_1)
	v_cndmask_b32_e64 v3, 0, 1, s0
	v_add_nc_u32_e32 v1, v1, v3
.LBB18_1623:
	s_or_b32 exec_lo, exec_lo, s7
	s_mov_b32 s0, 0
	s_mov_b32 s7, -1
	global_store_b8 v[10:11], v1, off
.LBB18_1624:
	s_mov_b32 s8, 0
.LBB18_1625:
	s_delay_alu instid0(SALU_CYCLE_1)
	s_and_b32 vcc_lo, exec_lo, s8
	s_cbranch_vccz .LBB18_1628
; %bb.1626:
	s_cmp_eq_u32 s3, 29
	s_mov_b32 s0, -1
	s_cbranch_scc0 .LBB18_1628
; %bb.1627:
	s_wait_xcnt 0x0
	v_trunc_f32_e32 v1, v0
	s_mov_b32 s0, 0
	s_mov_b32 s7, -1
	s_delay_alu instid0(VALU_DEP_1) | instskip(NEXT) | instid1(VALU_DEP_1)
	v_mul_f32_e32 v3, 0x2f800000, v1
	v_floor_f32_e32 v3, v3
	s_delay_alu instid0(VALU_DEP_1) | instskip(SKIP_1) | instid1(VALU_DEP_2)
	v_fmamk_f32 v1, v3, 0xcf800000, v1
	v_cvt_u32_f32_e32 v13, v3
	v_cvt_u32_f32_e32 v12, v1
	global_store_b64 v[10:11], v[12:13], off
.LBB18_1628:
	s_mov_b32 s8, 0
.LBB18_1629:
	s_delay_alu instid0(SALU_CYCLE_1)
	s_and_b32 vcc_lo, exec_lo, s8
	s_cbranch_vccz .LBB18_1645
; %bb.1630:
	s_cmp_lt_i32 s3, 27
	s_mov_b32 s7, -1
	s_cbranch_scc1 .LBB18_1636
; %bb.1631:
	s_wait_xcnt 0x0
	v_cvt_u32_f32_e32 v1, v0
	s_cmp_gt_i32 s3, 27
	s_cbranch_scc0 .LBB18_1633
; %bb.1632:
	s_mov_b32 s7, 0
	global_store_b32 v[10:11], v1, off
.LBB18_1633:
	s_and_not1_b32 vcc_lo, exec_lo, s7
	s_cbranch_vccnz .LBB18_1635
; %bb.1634:
	global_store_b16 v[10:11], v1, off
.LBB18_1635:
	s_mov_b32 s7, 0
.LBB18_1636:
	s_delay_alu instid0(SALU_CYCLE_1)
	s_and_not1_b32 vcc_lo, exec_lo, s7
	s_cbranch_vccnz .LBB18_1644
; %bb.1637:
	s_wait_xcnt 0x0
	v_and_b32_e32 v1, 0x7fffffff, v0
	v_mov_b32_e32 v3, 0x80
	s_mov_b32 s7, exec_lo
	s_delay_alu instid0(VALU_DEP_2)
	v_cmpx_gt_u32_e32 0x43800000, v1
	s_cbranch_execz .LBB18_1643
; %bb.1638:
	v_cmp_lt_u32_e32 vcc_lo, 0x3bffffff, v1
	s_mov_b32 s8, 0
                                        ; implicit-def: $vgpr1
	s_and_saveexec_b32 s9, vcc_lo
	s_delay_alu instid0(SALU_CYCLE_1)
	s_xor_b32 s9, exec_lo, s9
	s_cbranch_execz .LBB18_2093
; %bb.1639:
	v_bfe_u32 v1, v0, 20, 1
	s_mov_b32 s8, exec_lo
	s_delay_alu instid0(VALU_DEP_1) | instskip(NEXT) | instid1(VALU_DEP_1)
	v_add3_u32 v1, v0, v1, 0x487ffff
	v_lshrrev_b32_e32 v1, 20, v1
	s_and_not1_saveexec_b32 s9, s9
	s_cbranch_execnz .LBB18_2094
.LBB18_1640:
	s_or_b32 exec_lo, exec_lo, s9
	v_mov_b32_e32 v3, 0
	s_and_saveexec_b32 s9, s8
.LBB18_1641:
	v_lshrrev_b32_e32 v3, 24, v0
	s_delay_alu instid0(VALU_DEP_1)
	v_and_or_b32 v3, 0x80, v3, v1
.LBB18_1642:
	s_or_b32 exec_lo, exec_lo, s9
.LBB18_1643:
	s_delay_alu instid0(SALU_CYCLE_1)
	s_or_b32 exec_lo, exec_lo, s7
	global_store_b8 v[10:11], v3, off
.LBB18_1644:
	s_mov_b32 s7, -1
.LBB18_1645:
	s_mov_b32 s8, 0
.LBB18_1646:
	s_delay_alu instid0(SALU_CYCLE_1)
	s_and_b32 vcc_lo, exec_lo, s8
	s_cbranch_vccz .LBB18_1686
; %bb.1647:
	s_cmp_gt_i32 s3, 22
	s_mov_b32 s6, -1
	s_cbranch_scc0 .LBB18_1679
; %bb.1648:
	s_cmp_lt_i32 s3, 24
	s_cbranch_scc1 .LBB18_1668
; %bb.1649:
	s_cmp_gt_i32 s3, 24
	s_cbranch_scc0 .LBB18_1657
; %bb.1650:
	s_wait_xcnt 0x0
	v_and_b32_e32 v1, 0x7fffffff, v0
	v_mov_b32_e32 v3, 0x80
	s_mov_b32 s6, exec_lo
	s_delay_alu instid0(VALU_DEP_2)
	v_cmpx_gt_u32_e32 0x47800000, v1
	s_cbranch_execz .LBB18_1656
; %bb.1651:
	v_cmp_lt_u32_e32 vcc_lo, 0x37ffffff, v1
	s_mov_b32 s7, 0
                                        ; implicit-def: $vgpr1
	s_and_saveexec_b32 s8, vcc_lo
	s_delay_alu instid0(SALU_CYCLE_1)
	s_xor_b32 s8, exec_lo, s8
	s_cbranch_execz .LBB18_2096
; %bb.1652:
	v_bfe_u32 v1, v0, 21, 1
	s_mov_b32 s7, exec_lo
	s_delay_alu instid0(VALU_DEP_1) | instskip(NEXT) | instid1(VALU_DEP_1)
	v_add3_u32 v1, v0, v1, 0x88fffff
	v_lshrrev_b32_e32 v1, 21, v1
	s_and_not1_saveexec_b32 s8, s8
	s_cbranch_execnz .LBB18_2097
.LBB18_1653:
	s_or_b32 exec_lo, exec_lo, s8
	v_mov_b32_e32 v3, 0
	s_and_saveexec_b32 s8, s7
.LBB18_1654:
	v_lshrrev_b32_e32 v3, 24, v0
	s_delay_alu instid0(VALU_DEP_1)
	v_and_or_b32 v3, 0x80, v3, v1
.LBB18_1655:
	s_or_b32 exec_lo, exec_lo, s8
.LBB18_1656:
	s_delay_alu instid0(SALU_CYCLE_1)
	s_or_b32 exec_lo, exec_lo, s6
	s_mov_b32 s6, 0
	global_store_b8 v[10:11], v3, off
.LBB18_1657:
	s_and_b32 vcc_lo, exec_lo, s6
	s_cbranch_vccz .LBB18_1667
; %bb.1658:
	s_wait_xcnt 0x0
	v_and_b32_e32 v3, 0x7fffffff, v0
	s_mov_b32 s6, exec_lo
                                        ; implicit-def: $vgpr1
	s_delay_alu instid0(VALU_DEP_1)
	v_cmpx_gt_u32_e32 0x43f00000, v3
	s_xor_b32 s6, exec_lo, s6
	s_cbranch_execz .LBB18_1664
; %bb.1659:
	s_mov_b32 s7, exec_lo
                                        ; implicit-def: $vgpr1
	v_cmpx_lt_u32_e32 0x3c7fffff, v3
	s_xor_b32 s7, exec_lo, s7
; %bb.1660:
	v_bfe_u32 v1, v0, 20, 1
	s_delay_alu instid0(VALU_DEP_1) | instskip(NEXT) | instid1(VALU_DEP_1)
	v_add3_u32 v1, v0, v1, 0x407ffff
	v_and_b32_e32 v3, 0xff00000, v1
	v_lshrrev_b32_e32 v1, 20, v1
	s_delay_alu instid0(VALU_DEP_2) | instskip(NEXT) | instid1(VALU_DEP_2)
	v_cmp_ne_u32_e32 vcc_lo, 0x7f00000, v3
	v_cndmask_b32_e32 v1, 0x7e, v1, vcc_lo
; %bb.1661:
	s_and_not1_saveexec_b32 s7, s7
; %bb.1662:
	v_add_f32_e64 v1, 0x46800000, |v0|
; %bb.1663:
	s_or_b32 exec_lo, exec_lo, s7
                                        ; implicit-def: $vgpr3
.LBB18_1664:
	s_and_not1_saveexec_b32 s6, s6
; %bb.1665:
	v_mov_b32_e32 v1, 0x7f
	v_cmp_lt_u32_e32 vcc_lo, 0x7f800000, v3
	s_delay_alu instid0(VALU_DEP_2)
	v_cndmask_b32_e32 v1, 0x7e, v1, vcc_lo
; %bb.1666:
	s_or_b32 exec_lo, exec_lo, s6
	v_lshrrev_b32_e32 v3, 24, v0
	s_delay_alu instid0(VALU_DEP_1)
	v_and_or_b32 v1, 0x80, v3, v1
	global_store_b8 v[10:11], v1, off
.LBB18_1667:
	s_mov_b32 s6, 0
.LBB18_1668:
	s_delay_alu instid0(SALU_CYCLE_1)
	s_and_not1_b32 vcc_lo, exec_lo, s6
	s_cbranch_vccnz .LBB18_1678
; %bb.1669:
	s_wait_xcnt 0x0
	v_and_b32_e32 v3, 0x7fffffff, v0
	s_mov_b32 s6, exec_lo
                                        ; implicit-def: $vgpr1
	s_delay_alu instid0(VALU_DEP_1)
	v_cmpx_gt_u32_e32 0x47800000, v3
	s_xor_b32 s6, exec_lo, s6
	s_cbranch_execz .LBB18_1675
; %bb.1670:
	s_mov_b32 s7, exec_lo
                                        ; implicit-def: $vgpr1
	v_cmpx_lt_u32_e32 0x387fffff, v3
	s_xor_b32 s7, exec_lo, s7
; %bb.1671:
	v_bfe_u32 v1, v0, 21, 1
	s_delay_alu instid0(VALU_DEP_1) | instskip(NEXT) | instid1(VALU_DEP_1)
	v_add3_u32 v1, v0, v1, 0x80fffff
	v_lshrrev_b32_e32 v1, 21, v1
; %bb.1672:
	s_and_not1_saveexec_b32 s7, s7
; %bb.1673:
	v_add_f32_e64 v1, 0x43000000, |v0|
; %bb.1674:
	s_or_b32 exec_lo, exec_lo, s7
                                        ; implicit-def: $vgpr3
.LBB18_1675:
	s_and_not1_saveexec_b32 s6, s6
; %bb.1676:
	v_mov_b32_e32 v1, 0x7f
	v_cmp_lt_u32_e32 vcc_lo, 0x7f800000, v3
	s_delay_alu instid0(VALU_DEP_2)
	v_cndmask_b32_e32 v1, 0x7c, v1, vcc_lo
; %bb.1677:
	s_or_b32 exec_lo, exec_lo, s6
	v_lshrrev_b32_e32 v3, 24, v0
	s_delay_alu instid0(VALU_DEP_1)
	v_and_or_b32 v1, 0x80, v3, v1
	global_store_b8 v[10:11], v1, off
.LBB18_1678:
	s_mov_b32 s6, 0
	s_mov_b32 s7, -1
.LBB18_1679:
	s_and_not1_b32 vcc_lo, exec_lo, s6
	s_mov_b32 s6, 0
	s_cbranch_vccnz .LBB18_1686
; %bb.1680:
	s_cmp_gt_i32 s3, 14
	s_mov_b32 s6, -1
	s_cbranch_scc0 .LBB18_1684
; %bb.1681:
	s_cmp_eq_u32 s3, 15
	s_mov_b32 s0, -1
	s_cbranch_scc0 .LBB18_1683
; %bb.1682:
	s_wait_xcnt 0x0
	v_bfe_u32 v1, v0, 16, 1
	v_cmp_o_f32_e32 vcc_lo, v0, v0
	s_mov_b32 s0, 0
	s_mov_b32 s7, -1
	s_delay_alu instid0(VALU_DEP_2) | instskip(NEXT) | instid1(VALU_DEP_1)
	v_add3_u32 v1, v0, v1, 0x7fff
	v_lshrrev_b32_e32 v1, 16, v1
	s_delay_alu instid0(VALU_DEP_1)
	v_cndmask_b32_e32 v1, 0x7fc0, v1, vcc_lo
	global_store_b16 v[10:11], v1, off
.LBB18_1683:
	s_mov_b32 s6, 0
.LBB18_1684:
	s_delay_alu instid0(SALU_CYCLE_1)
	s_and_b32 vcc_lo, exec_lo, s6
	s_mov_b32 s6, 0
	s_cbranch_vccz .LBB18_1686
; %bb.1685:
	s_cmp_lg_u32 s3, 11
	s_mov_b32 s6, -1
	s_cselect_b32 s0, -1, 0
.LBB18_1686:
	s_delay_alu instid0(SALU_CYCLE_1)
	s_and_b32 vcc_lo, exec_lo, s0
	s_cbranch_vccnz .LBB18_2095
; %bb.1687:
	s_and_not1_b32 vcc_lo, exec_lo, s6
	s_cbranch_vccnz .LBB18_1689
.LBB18_1688:
	v_cmp_neq_f32_e32 vcc_lo, 0, v0
	s_mov_b32 s7, -1
	s_wait_xcnt 0x0
	v_cndmask_b32_e64 v1, 0, 1, vcc_lo
	global_store_b8 v[10:11], v1, off
.LBB18_1689:
	s_mov_b32 s0, 0
	s_branch .LBB18_1736
.LBB18_1690:
	s_mov_b32 s0, 0
	s_mov_b32 s3, 0
                                        ; implicit-def: $sgpr12
                                        ; implicit-def: $vgpr0_vgpr1
                                        ; implicit-def: $vgpr6
.LBB18_1691:
	s_and_not1_b32 s2, s11, exec_lo
	s_and_b32 s4, s1, exec_lo
	s_and_b32 s0, s0, exec_lo
	;; [unrolled: 1-line block ×3, first 2 shown]
	s_or_b32 s11, s2, s4
.LBB18_1692:
	s_wait_xcnt 0x0
	s_or_b32 exec_lo, exec_lo, s10
	s_and_saveexec_b32 s2, s11
	s_cbranch_execz .LBB18_1695
; %bb.1693:
	; divergent unreachable
	s_or_b32 exec_lo, exec_lo, s2
	s_and_saveexec_b32 s2, s1
	s_delay_alu instid0(SALU_CYCLE_1)
	s_xor_b32 s1, exec_lo, s2
	s_cbranch_execnz .LBB18_1696
.LBB18_1694:
	s_or_b32 exec_lo, exec_lo, s1
	s_and_saveexec_b32 s1, s0
	s_cbranch_execnz .LBB18_1697
	s_branch .LBB18_1734
.LBB18_1695:
	s_or_b32 exec_lo, exec_lo, s2
	s_and_saveexec_b32 s2, s1
	s_delay_alu instid0(SALU_CYCLE_1)
	s_xor_b32 s1, exec_lo, s2
	s_cbranch_execz .LBB18_1694
.LBB18_1696:
	s_wait_loadcnt 0x0
	v_cmp_neq_f32_e32 vcc_lo, 0, v6
	v_cndmask_b32_e64 v2, 0, 1, vcc_lo
	global_store_b8 v[0:1], v2, off
	s_wait_xcnt 0x0
	s_or_b32 exec_lo, exec_lo, s1
	s_and_saveexec_b32 s1, s0
	s_cbranch_execz .LBB18_1734
.LBB18_1697:
	s_sext_i32_i16 s1, s12
	s_mov_b32 s0, -1
	s_cmp_lt_i32 s1, 5
	s_cbranch_scc1 .LBB18_1718
; %bb.1698:
	s_cmp_lt_i32 s1, 8
	s_cbranch_scc1 .LBB18_1708
; %bb.1699:
	;; [unrolled: 3-line block ×3, first 2 shown]
	s_cmp_gt_i32 s1, 9
	s_cbranch_scc0 .LBB18_1702
; %bb.1701:
	s_wait_loadcnt 0x0
	v_cvt_f64_f32_e32 v[2:3], v6
	v_mov_b32_e32 v4, 0
	s_mov_b32 s0, 0
	s_delay_alu instid0(VALU_DEP_1)
	v_mov_b32_e32 v5, v4
	global_store_b128 v[0:1], v[2:5], off
.LBB18_1702:
	s_and_not1_b32 vcc_lo, exec_lo, s0
	s_cbranch_vccnz .LBB18_1704
; %bb.1703:
	v_mov_b32_e32 v7, 0
	s_wait_loadcnt 0x0
	global_store_b64 v[0:1], v[6:7], off
.LBB18_1704:
	s_mov_b32 s0, 0
.LBB18_1705:
	s_delay_alu instid0(SALU_CYCLE_1)
	s_and_not1_b32 vcc_lo, exec_lo, s0
	s_cbranch_vccnz .LBB18_1707
; %bb.1706:
	s_wait_loadcnt 0x0
	v_cvt_f16_f32_e32 v2, v6
	s_delay_alu instid0(VALU_DEP_1)
	v_and_b32_e32 v2, 0xffff, v2
	global_store_b32 v[0:1], v2, off
.LBB18_1707:
	s_mov_b32 s0, 0
.LBB18_1708:
	s_delay_alu instid0(SALU_CYCLE_1)
	s_and_not1_b32 vcc_lo, exec_lo, s0
	s_cbranch_vccnz .LBB18_1717
; %bb.1709:
	s_sext_i32_i16 s1, s12
	s_mov_b32 s0, -1
	s_cmp_lt_i32 s1, 6
	s_cbranch_scc1 .LBB18_1715
; %bb.1710:
	s_cmp_gt_i32 s1, 6
	s_cbranch_scc0 .LBB18_1712
; %bb.1711:
	s_wait_loadcnt 0x0
	v_cvt_f64_f32_e32 v[2:3], v6
	s_mov_b32 s0, 0
	global_store_b64 v[0:1], v[2:3], off
.LBB18_1712:
	s_and_not1_b32 vcc_lo, exec_lo, s0
	s_cbranch_vccnz .LBB18_1714
; %bb.1713:
	s_wait_loadcnt 0x0
	global_store_b32 v[0:1], v6, off
.LBB18_1714:
	s_mov_b32 s0, 0
.LBB18_1715:
	s_delay_alu instid0(SALU_CYCLE_1)
	s_and_not1_b32 vcc_lo, exec_lo, s0
	s_cbranch_vccnz .LBB18_1717
; %bb.1716:
	s_wait_loadcnt 0x0
	v_cvt_f16_f32_e32 v2, v6
	global_store_b16 v[0:1], v2, off
.LBB18_1717:
	s_mov_b32 s0, 0
.LBB18_1718:
	s_delay_alu instid0(SALU_CYCLE_1)
	s_and_not1_b32 vcc_lo, exec_lo, s0
	s_cbranch_vccnz .LBB18_1734
; %bb.1719:
	s_sext_i32_i16 s1, s12
	s_mov_b32 s0, -1
	s_cmp_lt_i32 s1, 2
	s_cbranch_scc1 .LBB18_1729
; %bb.1720:
	s_cmp_lt_i32 s1, 3
	s_cbranch_scc1 .LBB18_1726
; %bb.1721:
	s_cmp_gt_i32 s1, 3
	s_cbranch_scc0 .LBB18_1723
; %bb.1722:
	s_wait_loadcnt 0x0
	v_trunc_f32_e32 v2, v6
	s_mov_b32 s0, 0
	s_delay_alu instid0(VALU_DEP_1) | instskip(NEXT) | instid1(VALU_DEP_1)
	v_mul_f32_e64 v3, 0x2f800000, |v2|
	v_floor_f32_e32 v3, v3
	s_delay_alu instid0(VALU_DEP_1) | instskip(SKIP_2) | instid1(VALU_DEP_3)
	v_fma_f32 v4, 0xcf800000, v3, |v2|
	v_ashrrev_i32_e32 v2, 31, v2
	v_cvt_u32_f32_e32 v5, v3
	v_cvt_u32_f32_e32 v4, v4
	s_delay_alu instid0(VALU_DEP_2) | instskip(NEXT) | instid1(VALU_DEP_2)
	v_dual_mov_b32 v3, v2 :: v_dual_bitop2_b32 v5, v5, v2 bitop3:0x14
	v_xor_b32_e32 v4, v4, v2
	s_delay_alu instid0(VALU_DEP_1)
	v_sub_nc_u64_e32 v[2:3], v[4:5], v[2:3]
	global_store_b64 v[0:1], v[2:3], off
.LBB18_1723:
	s_and_not1_b32 vcc_lo, exec_lo, s0
	s_cbranch_vccnz .LBB18_1725
; %bb.1724:
	s_wait_loadcnt 0x0
	v_cvt_i32_f32_e32 v2, v6
	global_store_b32 v[0:1], v2, off
.LBB18_1725:
	s_mov_b32 s0, 0
.LBB18_1726:
	s_delay_alu instid0(SALU_CYCLE_1)
	s_and_not1_b32 vcc_lo, exec_lo, s0
	s_cbranch_vccnz .LBB18_1728
; %bb.1727:
	s_wait_loadcnt 0x0
	v_cvt_i32_f32_e32 v2, v6
	global_store_b16 v[0:1], v2, off
.LBB18_1728:
	s_mov_b32 s0, 0
.LBB18_1729:
	s_delay_alu instid0(SALU_CYCLE_1)
	s_and_not1_b32 vcc_lo, exec_lo, s0
	s_cbranch_vccnz .LBB18_1734
; %bb.1730:
	s_sext_i32_i16 s0, s12
	s_delay_alu instid0(SALU_CYCLE_1)
	s_cmp_gt_i32 s0, 0
	s_mov_b32 s0, -1
	s_cbranch_scc0 .LBB18_1732
; %bb.1731:
	s_wait_loadcnt 0x0
	v_cvt_i32_f32_e32 v2, v6
	s_mov_b32 s0, 0
	global_store_b8 v[0:1], v2, off
.LBB18_1732:
	s_and_not1_b32 vcc_lo, exec_lo, s0
	s_cbranch_vccnz .LBB18_1734
; %bb.1733:
	s_wait_loadcnt 0x0
	v_trunc_f32_e32 v2, v6
	s_delay_alu instid0(VALU_DEP_1) | instskip(NEXT) | instid1(VALU_DEP_1)
	v_mul_f32_e64 v3, 0x2f800000, |v2|
	v_floor_f32_e32 v3, v3
	s_delay_alu instid0(VALU_DEP_1) | instskip(SKIP_1) | instid1(VALU_DEP_2)
	v_fma_f32 v3, 0xcf800000, v3, |v2|
	v_ashrrev_i32_e32 v2, 31, v2
	v_cvt_u32_f32_e32 v3, v3
	s_delay_alu instid0(VALU_DEP_1) | instskip(NEXT) | instid1(VALU_DEP_1)
	v_xor_b32_e32 v3, v3, v2
	v_sub_nc_u32_e32 v2, v3, v2
	global_store_b8 v[0:1], v2, off
	s_endpgm
.LBB18_1734:
	s_endpgm
.LBB18_1735:
	s_mov_b32 s0, -1
	s_mov_b32 s7, 0
.LBB18_1736:
	s_and_b32 vcc_lo, exec_lo, s0
	s_cbranch_vccz .LBB18_1775
; %bb.1737:
	s_and_b32 s0, 0xffff, s12
	s_mov_b32 s3, -1
	s_cmp_lt_i32 s0, 5
	s_cbranch_scc1 .LBB18_1758
; %bb.1738:
	s_cmp_lt_i32 s0, 8
	s_cbranch_scc1 .LBB18_1748
; %bb.1739:
	;; [unrolled: 3-line block ×3, first 2 shown]
	s_cmp_gt_i32 s0, 9
	s_cbranch_scc0 .LBB18_1742
; %bb.1741:
	s_wait_xcnt 0x0
	v_cvt_f64_f32_e32 v[12:13], v0
	v_mov_b32_e32 v14, 0
	s_mov_b32 s3, 0
	s_delay_alu instid0(VALU_DEP_1)
	v_mov_b32_e32 v15, v14
	global_store_b128 v[10:11], v[12:15], off
.LBB18_1742:
	s_and_not1_b32 vcc_lo, exec_lo, s3
	s_cbranch_vccnz .LBB18_1744
; %bb.1743:
	s_wait_xcnt 0x0
	v_mov_b32_e32 v1, 0
	global_store_b64 v[10:11], v[0:1], off
.LBB18_1744:
	s_mov_b32 s3, 0
.LBB18_1745:
	s_delay_alu instid0(SALU_CYCLE_1)
	s_and_not1_b32 vcc_lo, exec_lo, s3
	s_cbranch_vccnz .LBB18_1747
; %bb.1746:
	s_wait_xcnt 0x0
	v_cvt_f16_f32_e32 v1, v0
	s_delay_alu instid0(VALU_DEP_1)
	v_and_b32_e32 v1, 0xffff, v1
	global_store_b32 v[10:11], v1, off
.LBB18_1747:
	s_mov_b32 s3, 0
.LBB18_1748:
	s_delay_alu instid0(SALU_CYCLE_1)
	s_and_not1_b32 vcc_lo, exec_lo, s3
	s_cbranch_vccnz .LBB18_1757
; %bb.1749:
	s_cmp_lt_i32 s0, 6
	s_mov_b32 s3, -1
	s_cbranch_scc1 .LBB18_1755
; %bb.1750:
	s_cmp_gt_i32 s0, 6
	s_cbranch_scc0 .LBB18_1752
; %bb.1751:
	s_wait_xcnt 0x0
	v_cvt_f64_f32_e32 v[12:13], v0
	s_mov_b32 s3, 0
	global_store_b64 v[10:11], v[12:13], off
.LBB18_1752:
	s_and_not1_b32 vcc_lo, exec_lo, s3
	s_cbranch_vccnz .LBB18_1754
; %bb.1753:
	global_store_b32 v[10:11], v0, off
.LBB18_1754:
	s_mov_b32 s3, 0
.LBB18_1755:
	s_delay_alu instid0(SALU_CYCLE_1)
	s_and_not1_b32 vcc_lo, exec_lo, s3
	s_cbranch_vccnz .LBB18_1757
; %bb.1756:
	s_wait_xcnt 0x0
	v_cvt_f16_f32_e32 v1, v0
	global_store_b16 v[10:11], v1, off
.LBB18_1757:
	s_mov_b32 s3, 0
.LBB18_1758:
	s_delay_alu instid0(SALU_CYCLE_1)
	s_and_not1_b32 vcc_lo, exec_lo, s3
	s_cbranch_vccnz .LBB18_1774
; %bb.1759:
	s_cmp_lt_i32 s0, 2
	s_mov_b32 s3, -1
	s_cbranch_scc1 .LBB18_1769
; %bb.1760:
	s_cmp_lt_i32 s0, 3
	s_cbranch_scc1 .LBB18_1766
; %bb.1761:
	s_cmp_gt_i32 s0, 3
	s_cbranch_scc0 .LBB18_1763
; %bb.1762:
	s_wait_xcnt 0x0
	v_trunc_f32_e32 v1, v0
	s_mov_b32 s3, 0
	s_delay_alu instid0(VALU_DEP_1) | instskip(SKIP_1) | instid1(VALU_DEP_2)
	v_mul_f32_e64 v3, 0x2f800000, |v1|
	v_ashrrev_i32_e32 v12, 31, v1
	v_floor_f32_e32 v3, v3
	s_delay_alu instid0(VALU_DEP_1) | instskip(SKIP_1) | instid1(VALU_DEP_4)
	v_fma_f32 v5, 0xcf800000, v3, |v1|
	v_cvt_u32_f32_e32 v1, v3
	v_mov_b32_e32 v13, v12
	s_delay_alu instid0(VALU_DEP_3) | instskip(NEXT) | instid1(VALU_DEP_3)
	v_cvt_u32_f32_e32 v3, v5
	v_xor_b32_e32 v15, v1, v12
	s_delay_alu instid0(VALU_DEP_2) | instskip(NEXT) | instid1(VALU_DEP_1)
	v_xor_b32_e32 v14, v3, v12
	v_sub_nc_u64_e32 v[12:13], v[14:15], v[12:13]
	global_store_b64 v[10:11], v[12:13], off
.LBB18_1763:
	s_and_not1_b32 vcc_lo, exec_lo, s3
	s_cbranch_vccnz .LBB18_1765
; %bb.1764:
	s_wait_xcnt 0x0
	v_cvt_i32_f32_e32 v1, v0
	global_store_b32 v[10:11], v1, off
.LBB18_1765:
	s_mov_b32 s3, 0
.LBB18_1766:
	s_delay_alu instid0(SALU_CYCLE_1)
	s_and_not1_b32 vcc_lo, exec_lo, s3
	s_cbranch_vccnz .LBB18_1768
; %bb.1767:
	s_wait_xcnt 0x0
	v_cvt_i32_f32_e32 v1, v0
	global_store_b16 v[10:11], v1, off
.LBB18_1768:
	s_mov_b32 s3, 0
.LBB18_1769:
	s_delay_alu instid0(SALU_CYCLE_1)
	s_and_not1_b32 vcc_lo, exec_lo, s3
	s_cbranch_vccnz .LBB18_1774
; %bb.1770:
	s_cmp_gt_i32 s0, 0
	s_mov_b32 s0, -1
	s_cbranch_scc0 .LBB18_1772
; %bb.1771:
	s_wait_xcnt 0x0
	v_cvt_i32_f32_e32 v1, v0
	s_mov_b32 s0, 0
	global_store_b8 v[10:11], v1, off
.LBB18_1772:
	s_and_not1_b32 vcc_lo, exec_lo, s0
	s_cbranch_vccnz .LBB18_1774
; %bb.1773:
	s_wait_xcnt 0x0
	v_trunc_f32_e32 v0, v0
	s_delay_alu instid0(VALU_DEP_1) | instskip(NEXT) | instid1(VALU_DEP_1)
	v_mul_f32_e64 v1, 0x2f800000, |v0|
	v_floor_f32_e32 v1, v1
	s_delay_alu instid0(VALU_DEP_1) | instskip(SKIP_1) | instid1(VALU_DEP_2)
	v_fma_f32 v1, 0xcf800000, v1, |v0|
	v_ashrrev_i32_e32 v0, 31, v0
	v_cvt_u32_f32_e32 v1, v1
	s_delay_alu instid0(VALU_DEP_1) | instskip(NEXT) | instid1(VALU_DEP_1)
	v_xor_b32_e32 v1, v1, v0
	v_sub_nc_u32_e32 v0, v1, v0
	global_store_b8 v[10:11], v0, off
.LBB18_1774:
	s_mov_b32 s7, -1
.LBB18_1775:
	s_delay_alu instid0(SALU_CYCLE_1)
	s_and_not1_b32 vcc_lo, exec_lo, s7
	s_cbranch_vccnz .LBB18_2090
; %bb.1776:
	s_lshl_b32 s2, s2, 7
	s_cmp_lt_i32 s12, 11
	s_wait_xcnt 0x0
	v_add_nc_u32_e32 v0, s2, v8
	s_delay_alu instid0(VALU_DEP_1) | instskip(NEXT) | instid1(VALU_DEP_1)
	v_ashrrev_i32_e32 v1, 31, v0
	v_add_nc_u64_e32 v[8:9], s[4:5], v[0:1]
	s_cbranch_scc1 .LBB18_1854
; %bb.1777:
	s_and_b32 s3, 0xffff, s12
	s_mov_b32 s8, -1
	s_mov_b32 s6, 0
	s_cmp_gt_i32 s3, 25
	s_mov_b32 s7, 0
	s_mov_b32 s0, 0
	s_cbranch_scc0 .LBB18_1810
; %bb.1778:
	s_cmp_gt_i32 s3, 28
	s_cbranch_scc0 .LBB18_1793
; %bb.1779:
	s_cmp_gt_i32 s3, 43
	;; [unrolled: 3-line block ×3, first 2 shown]
	s_cbranch_scc0 .LBB18_1783
; %bb.1781:
	s_mov_b32 s0, -1
	s_mov_b32 s8, 0
	s_cmp_eq_u32 s3, 46
	s_cbranch_scc0 .LBB18_1783
; %bb.1782:
	v_bfe_u32 v1, v2, 16, 1
	v_cmp_o_f32_e32 vcc_lo, v2, v2
	s_mov_b32 s0, 0
	s_mov_b32 s7, -1
	s_delay_alu instid0(VALU_DEP_2) | instskip(NEXT) | instid1(VALU_DEP_1)
	v_add3_u32 v1, v2, v1, 0x7fff
	v_lshrrev_b32_e32 v1, 16, v1
	s_delay_alu instid0(VALU_DEP_1)
	v_cndmask_b32_e32 v1, 0x7fc0, v1, vcc_lo
	global_store_b32 v[8:9], v1, off
.LBB18_1783:
	s_and_b32 vcc_lo, exec_lo, s8
	s_cbranch_vccz .LBB18_1788
; %bb.1784:
	s_cmp_eq_u32 s3, 44
	s_mov_b32 s0, -1
	s_cbranch_scc0 .LBB18_1788
; %bb.1785:
	v_bfe_u32 v3, v2, 23, 8
	s_wait_xcnt 0x0
	v_mov_b32_e32 v1, 0xff
	s_mov_b32 s7, exec_lo
	s_delay_alu instid0(VALU_DEP_2)
	v_cmpx_ne_u32_e32 0xff, v3
	s_cbranch_execz .LBB18_1787
; %bb.1786:
	v_and_b32_e32 v1, 0x400000, v2
	v_and_or_b32 v3, 0x3fffff, v2, v3
	s_delay_alu instid0(VALU_DEP_2) | instskip(NEXT) | instid1(VALU_DEP_2)
	v_cmp_ne_u32_e32 vcc_lo, 0, v1
	v_cmp_ne_u32_e64 s0, 0, v3
	v_lshrrev_b32_e32 v1, 23, v2
	s_and_b32 s0, vcc_lo, s0
	s_delay_alu instid0(SALU_CYCLE_1) | instskip(NEXT) | instid1(VALU_DEP_1)
	v_cndmask_b32_e64 v3, 0, 1, s0
	v_add_nc_u32_e32 v1, v1, v3
.LBB18_1787:
	s_or_b32 exec_lo, exec_lo, s7
	s_mov_b32 s0, 0
	s_mov_b32 s7, -1
	global_store_b8 v[8:9], v1, off
.LBB18_1788:
	s_mov_b32 s8, 0
.LBB18_1789:
	s_delay_alu instid0(SALU_CYCLE_1)
	s_and_b32 vcc_lo, exec_lo, s8
	s_cbranch_vccz .LBB18_1792
; %bb.1790:
	s_cmp_eq_u32 s3, 29
	s_mov_b32 s0, -1
	s_cbranch_scc0 .LBB18_1792
; %bb.1791:
	s_wait_xcnt 0x0
	v_trunc_f32_e32 v1, v2
	s_mov_b32 s0, 0
	s_mov_b32 s7, -1
	s_delay_alu instid0(VALU_DEP_1) | instskip(NEXT) | instid1(VALU_DEP_1)
	v_mul_f32_e32 v3, 0x2f800000, v1
	v_floor_f32_e32 v3, v3
	s_delay_alu instid0(VALU_DEP_1) | instskip(SKIP_1) | instid1(VALU_DEP_2)
	v_fmamk_f32 v1, v3, 0xcf800000, v1
	v_cvt_u32_f32_e32 v11, v3
	v_cvt_u32_f32_e32 v10, v1
	global_store_b64 v[8:9], v[10:11], off
.LBB18_1792:
	s_mov_b32 s8, 0
.LBB18_1793:
	s_delay_alu instid0(SALU_CYCLE_1)
	s_and_b32 vcc_lo, exec_lo, s8
	s_cbranch_vccz .LBB18_1809
; %bb.1794:
	s_cmp_lt_i32 s3, 27
	s_mov_b32 s7, -1
	s_cbranch_scc1 .LBB18_1800
; %bb.1795:
	s_wait_xcnt 0x0
	v_cvt_u32_f32_e32 v1, v2
	s_cmp_gt_i32 s3, 27
	s_cbranch_scc0 .LBB18_1797
; %bb.1796:
	s_mov_b32 s7, 0
	global_store_b32 v[8:9], v1, off
.LBB18_1797:
	s_and_not1_b32 vcc_lo, exec_lo, s7
	s_cbranch_vccnz .LBB18_1799
; %bb.1798:
	global_store_b16 v[8:9], v1, off
.LBB18_1799:
	s_mov_b32 s7, 0
.LBB18_1800:
	s_delay_alu instid0(SALU_CYCLE_1)
	s_and_not1_b32 vcc_lo, exec_lo, s7
	s_cbranch_vccnz .LBB18_1808
; %bb.1801:
	s_wait_xcnt 0x0
	v_and_b32_e32 v1, 0x7fffffff, v2
	v_mov_b32_e32 v3, 0x80
	s_mov_b32 s7, exec_lo
	s_delay_alu instid0(VALU_DEP_2)
	v_cmpx_gt_u32_e32 0x43800000, v1
	s_cbranch_execz .LBB18_1807
; %bb.1802:
	v_cmp_lt_u32_e32 vcc_lo, 0x3bffffff, v1
	s_mov_b32 s8, 0
                                        ; implicit-def: $vgpr1
	s_and_saveexec_b32 s9, vcc_lo
	s_delay_alu instid0(SALU_CYCLE_1)
	s_xor_b32 s9, exec_lo, s9
	s_cbranch_execz .LBB18_2098
; %bb.1803:
	v_bfe_u32 v1, v2, 20, 1
	s_mov_b32 s8, exec_lo
	s_delay_alu instid0(VALU_DEP_1) | instskip(NEXT) | instid1(VALU_DEP_1)
	v_add3_u32 v1, v2, v1, 0x487ffff
	v_lshrrev_b32_e32 v1, 20, v1
	s_and_not1_saveexec_b32 s9, s9
	s_cbranch_execnz .LBB18_2099
.LBB18_1804:
	s_or_b32 exec_lo, exec_lo, s9
	v_mov_b32_e32 v3, 0
	s_and_saveexec_b32 s9, s8
.LBB18_1805:
	v_lshrrev_b32_e32 v3, 24, v2
	s_delay_alu instid0(VALU_DEP_1)
	v_and_or_b32 v3, 0x80, v3, v1
.LBB18_1806:
	s_or_b32 exec_lo, exec_lo, s9
.LBB18_1807:
	s_delay_alu instid0(SALU_CYCLE_1)
	s_or_b32 exec_lo, exec_lo, s7
	global_store_b8 v[8:9], v3, off
.LBB18_1808:
	s_mov_b32 s7, -1
.LBB18_1809:
	s_mov_b32 s8, 0
.LBB18_1810:
	s_delay_alu instid0(SALU_CYCLE_1)
	s_and_b32 vcc_lo, exec_lo, s8
	s_cbranch_vccz .LBB18_1850
; %bb.1811:
	s_cmp_gt_i32 s3, 22
	s_mov_b32 s6, -1
	s_cbranch_scc0 .LBB18_1843
; %bb.1812:
	s_cmp_lt_i32 s3, 24
	s_cbranch_scc1 .LBB18_1832
; %bb.1813:
	s_cmp_gt_i32 s3, 24
	s_cbranch_scc0 .LBB18_1821
; %bb.1814:
	s_wait_xcnt 0x0
	v_and_b32_e32 v1, 0x7fffffff, v2
	v_mov_b32_e32 v3, 0x80
	s_mov_b32 s6, exec_lo
	s_delay_alu instid0(VALU_DEP_2)
	v_cmpx_gt_u32_e32 0x47800000, v1
	s_cbranch_execz .LBB18_1820
; %bb.1815:
	v_cmp_lt_u32_e32 vcc_lo, 0x37ffffff, v1
	s_mov_b32 s7, 0
                                        ; implicit-def: $vgpr1
	s_and_saveexec_b32 s8, vcc_lo
	s_delay_alu instid0(SALU_CYCLE_1)
	s_xor_b32 s8, exec_lo, s8
	s_cbranch_execz .LBB18_2101
; %bb.1816:
	v_bfe_u32 v1, v2, 21, 1
	s_mov_b32 s7, exec_lo
	s_delay_alu instid0(VALU_DEP_1) | instskip(NEXT) | instid1(VALU_DEP_1)
	v_add3_u32 v1, v2, v1, 0x88fffff
	v_lshrrev_b32_e32 v1, 21, v1
	s_and_not1_saveexec_b32 s8, s8
	s_cbranch_execnz .LBB18_2102
.LBB18_1817:
	s_or_b32 exec_lo, exec_lo, s8
	v_mov_b32_e32 v3, 0
	s_and_saveexec_b32 s8, s7
.LBB18_1818:
	v_lshrrev_b32_e32 v3, 24, v2
	s_delay_alu instid0(VALU_DEP_1)
	v_and_or_b32 v3, 0x80, v3, v1
.LBB18_1819:
	s_or_b32 exec_lo, exec_lo, s8
.LBB18_1820:
	s_delay_alu instid0(SALU_CYCLE_1)
	s_or_b32 exec_lo, exec_lo, s6
	s_mov_b32 s6, 0
	global_store_b8 v[8:9], v3, off
.LBB18_1821:
	s_and_b32 vcc_lo, exec_lo, s6
	s_cbranch_vccz .LBB18_1831
; %bb.1822:
	s_wait_xcnt 0x0
	v_and_b32_e32 v3, 0x7fffffff, v2
	s_mov_b32 s6, exec_lo
                                        ; implicit-def: $vgpr1
	s_delay_alu instid0(VALU_DEP_1)
	v_cmpx_gt_u32_e32 0x43f00000, v3
	s_xor_b32 s6, exec_lo, s6
	s_cbranch_execz .LBB18_1828
; %bb.1823:
	s_mov_b32 s7, exec_lo
                                        ; implicit-def: $vgpr1
	v_cmpx_lt_u32_e32 0x3c7fffff, v3
	s_xor_b32 s7, exec_lo, s7
; %bb.1824:
	v_bfe_u32 v1, v2, 20, 1
	s_delay_alu instid0(VALU_DEP_1) | instskip(NEXT) | instid1(VALU_DEP_1)
	v_add3_u32 v1, v2, v1, 0x407ffff
	v_and_b32_e32 v3, 0xff00000, v1
	v_lshrrev_b32_e32 v1, 20, v1
	s_delay_alu instid0(VALU_DEP_2) | instskip(NEXT) | instid1(VALU_DEP_2)
	v_cmp_ne_u32_e32 vcc_lo, 0x7f00000, v3
	v_cndmask_b32_e32 v1, 0x7e, v1, vcc_lo
; %bb.1825:
	s_and_not1_saveexec_b32 s7, s7
; %bb.1826:
	v_add_f32_e64 v1, 0x46800000, |v2|
; %bb.1827:
	s_or_b32 exec_lo, exec_lo, s7
                                        ; implicit-def: $vgpr3
.LBB18_1828:
	s_and_not1_saveexec_b32 s6, s6
; %bb.1829:
	v_mov_b32_e32 v1, 0x7f
	v_cmp_lt_u32_e32 vcc_lo, 0x7f800000, v3
	s_delay_alu instid0(VALU_DEP_2)
	v_cndmask_b32_e32 v1, 0x7e, v1, vcc_lo
; %bb.1830:
	s_or_b32 exec_lo, exec_lo, s6
	v_lshrrev_b32_e32 v3, 24, v2
	s_delay_alu instid0(VALU_DEP_1)
	v_and_or_b32 v1, 0x80, v3, v1
	global_store_b8 v[8:9], v1, off
.LBB18_1831:
	s_mov_b32 s6, 0
.LBB18_1832:
	s_delay_alu instid0(SALU_CYCLE_1)
	s_and_not1_b32 vcc_lo, exec_lo, s6
	s_cbranch_vccnz .LBB18_1842
; %bb.1833:
	s_wait_xcnt 0x0
	v_and_b32_e32 v3, 0x7fffffff, v2
	s_mov_b32 s6, exec_lo
                                        ; implicit-def: $vgpr1
	s_delay_alu instid0(VALU_DEP_1)
	v_cmpx_gt_u32_e32 0x47800000, v3
	s_xor_b32 s6, exec_lo, s6
	s_cbranch_execz .LBB18_1839
; %bb.1834:
	s_mov_b32 s7, exec_lo
                                        ; implicit-def: $vgpr1
	v_cmpx_lt_u32_e32 0x387fffff, v3
	s_xor_b32 s7, exec_lo, s7
; %bb.1835:
	v_bfe_u32 v1, v2, 21, 1
	s_delay_alu instid0(VALU_DEP_1) | instskip(NEXT) | instid1(VALU_DEP_1)
	v_add3_u32 v1, v2, v1, 0x80fffff
	v_lshrrev_b32_e32 v1, 21, v1
; %bb.1836:
	s_and_not1_saveexec_b32 s7, s7
; %bb.1837:
	v_add_f32_e64 v1, 0x43000000, |v2|
; %bb.1838:
	s_or_b32 exec_lo, exec_lo, s7
                                        ; implicit-def: $vgpr3
.LBB18_1839:
	s_and_not1_saveexec_b32 s6, s6
; %bb.1840:
	v_mov_b32_e32 v1, 0x7f
	v_cmp_lt_u32_e32 vcc_lo, 0x7f800000, v3
	s_delay_alu instid0(VALU_DEP_2)
	v_cndmask_b32_e32 v1, 0x7c, v1, vcc_lo
; %bb.1841:
	s_or_b32 exec_lo, exec_lo, s6
	v_lshrrev_b32_e32 v3, 24, v2
	s_delay_alu instid0(VALU_DEP_1)
	v_and_or_b32 v1, 0x80, v3, v1
	global_store_b8 v[8:9], v1, off
.LBB18_1842:
	s_mov_b32 s6, 0
	s_mov_b32 s7, -1
.LBB18_1843:
	s_and_not1_b32 vcc_lo, exec_lo, s6
	s_mov_b32 s6, 0
	s_cbranch_vccnz .LBB18_1850
; %bb.1844:
	s_cmp_gt_i32 s3, 14
	s_mov_b32 s6, -1
	s_cbranch_scc0 .LBB18_1848
; %bb.1845:
	s_cmp_eq_u32 s3, 15
	s_mov_b32 s0, -1
	s_cbranch_scc0 .LBB18_1847
; %bb.1846:
	s_wait_xcnt 0x0
	v_bfe_u32 v1, v2, 16, 1
	v_cmp_o_f32_e32 vcc_lo, v2, v2
	s_mov_b32 s0, 0
	s_mov_b32 s7, -1
	s_delay_alu instid0(VALU_DEP_2) | instskip(NEXT) | instid1(VALU_DEP_1)
	v_add3_u32 v1, v2, v1, 0x7fff
	v_lshrrev_b32_e32 v1, 16, v1
	s_delay_alu instid0(VALU_DEP_1)
	v_cndmask_b32_e32 v1, 0x7fc0, v1, vcc_lo
	global_store_b16 v[8:9], v1, off
.LBB18_1847:
	s_mov_b32 s6, 0
.LBB18_1848:
	s_delay_alu instid0(SALU_CYCLE_1)
	s_and_b32 vcc_lo, exec_lo, s6
	s_mov_b32 s6, 0
	s_cbranch_vccz .LBB18_1850
; %bb.1849:
	s_cmp_lg_u32 s3, 11
	s_mov_b32 s6, -1
	s_cselect_b32 s0, -1, 0
.LBB18_1850:
	s_delay_alu instid0(SALU_CYCLE_1)
	s_and_b32 vcc_lo, exec_lo, s0
	s_cbranch_vccnz .LBB18_2100
; %bb.1851:
	s_and_not1_b32 vcc_lo, exec_lo, s6
	s_cbranch_vccnz .LBB18_1853
.LBB18_1852:
	v_cmp_neq_f32_e32 vcc_lo, 0, v2
	s_mov_b32 s7, -1
	s_wait_xcnt 0x0
	v_cndmask_b32_e64 v1, 0, 1, vcc_lo
	global_store_b8 v[8:9], v1, off
.LBB18_1853:
	s_mov_b32 s0, 0
	s_branch .LBB18_1855
.LBB18_1854:
	s_mov_b32 s0, -1
	s_mov_b32 s7, 0
.LBB18_1855:
	s_and_b32 vcc_lo, exec_lo, s0
	s_cbranch_vccz .LBB18_1894
; %bb.1856:
	s_and_b32 s0, 0xffff, s12
	s_mov_b32 s3, -1
	s_cmp_lt_i32 s0, 5
	s_cbranch_scc1 .LBB18_1877
; %bb.1857:
	s_cmp_lt_i32 s0, 8
	s_cbranch_scc1 .LBB18_1867
; %bb.1858:
	;; [unrolled: 3-line block ×3, first 2 shown]
	s_cmp_gt_i32 s0, 9
	s_cbranch_scc0 .LBB18_1861
; %bb.1860:
	s_wait_xcnt 0x0
	v_cvt_f64_f32_e32 v[10:11], v2
	v_mov_b32_e32 v12, 0
	s_mov_b32 s3, 0
	s_delay_alu instid0(VALU_DEP_1)
	v_mov_b32_e32 v13, v12
	global_store_b128 v[8:9], v[10:13], off
.LBB18_1861:
	s_and_not1_b32 vcc_lo, exec_lo, s3
	s_cbranch_vccnz .LBB18_1863
; %bb.1862:
	s_wait_xcnt 0x0
	v_mov_b32_e32 v3, 0
	global_store_b64 v[8:9], v[2:3], off
.LBB18_1863:
	s_mov_b32 s3, 0
.LBB18_1864:
	s_delay_alu instid0(SALU_CYCLE_1)
	s_and_not1_b32 vcc_lo, exec_lo, s3
	s_cbranch_vccnz .LBB18_1866
; %bb.1865:
	s_wait_xcnt 0x0
	v_cvt_f16_f32_e32 v1, v2
	s_delay_alu instid0(VALU_DEP_1)
	v_and_b32_e32 v1, 0xffff, v1
	global_store_b32 v[8:9], v1, off
.LBB18_1866:
	s_mov_b32 s3, 0
.LBB18_1867:
	s_delay_alu instid0(SALU_CYCLE_1)
	s_and_not1_b32 vcc_lo, exec_lo, s3
	s_cbranch_vccnz .LBB18_1876
; %bb.1868:
	s_cmp_lt_i32 s0, 6
	s_mov_b32 s3, -1
	s_cbranch_scc1 .LBB18_1874
; %bb.1869:
	s_cmp_gt_i32 s0, 6
	s_cbranch_scc0 .LBB18_1871
; %bb.1870:
	s_wait_xcnt 0x0
	v_cvt_f64_f32_e32 v[10:11], v2
	s_mov_b32 s3, 0
	global_store_b64 v[8:9], v[10:11], off
.LBB18_1871:
	s_and_not1_b32 vcc_lo, exec_lo, s3
	s_cbranch_vccnz .LBB18_1873
; %bb.1872:
	global_store_b32 v[8:9], v2, off
.LBB18_1873:
	s_mov_b32 s3, 0
.LBB18_1874:
	s_delay_alu instid0(SALU_CYCLE_1)
	s_and_not1_b32 vcc_lo, exec_lo, s3
	s_cbranch_vccnz .LBB18_1876
; %bb.1875:
	s_wait_xcnt 0x0
	v_cvt_f16_f32_e32 v1, v2
	global_store_b16 v[8:9], v1, off
.LBB18_1876:
	s_mov_b32 s3, 0
.LBB18_1877:
	s_delay_alu instid0(SALU_CYCLE_1)
	s_and_not1_b32 vcc_lo, exec_lo, s3
	s_cbranch_vccnz .LBB18_1893
; %bb.1878:
	s_cmp_lt_i32 s0, 2
	s_mov_b32 s3, -1
	s_cbranch_scc1 .LBB18_1888
; %bb.1879:
	s_cmp_lt_i32 s0, 3
	s_cbranch_scc1 .LBB18_1885
; %bb.1880:
	s_cmp_gt_i32 s0, 3
	s_cbranch_scc0 .LBB18_1882
; %bb.1881:
	s_wait_xcnt 0x0
	v_trunc_f32_e32 v1, v2
	s_mov_b32 s3, 0
	s_delay_alu instid0(VALU_DEP_1) | instskip(SKIP_1) | instid1(VALU_DEP_2)
	v_mul_f32_e64 v3, 0x2f800000, |v1|
	v_ashrrev_i32_e32 v10, 31, v1
	v_floor_f32_e32 v3, v3
	s_delay_alu instid0(VALU_DEP_1) | instskip(SKIP_1) | instid1(VALU_DEP_4)
	v_fma_f32 v5, 0xcf800000, v3, |v1|
	v_cvt_u32_f32_e32 v1, v3
	v_mov_b32_e32 v11, v10
	s_delay_alu instid0(VALU_DEP_3) | instskip(NEXT) | instid1(VALU_DEP_3)
	v_cvt_u32_f32_e32 v3, v5
	v_xor_b32_e32 v13, v1, v10
	s_delay_alu instid0(VALU_DEP_2) | instskip(NEXT) | instid1(VALU_DEP_1)
	v_xor_b32_e32 v12, v3, v10
	v_sub_nc_u64_e32 v[10:11], v[12:13], v[10:11]
	global_store_b64 v[8:9], v[10:11], off
.LBB18_1882:
	s_and_not1_b32 vcc_lo, exec_lo, s3
	s_cbranch_vccnz .LBB18_1884
; %bb.1883:
	s_wait_xcnt 0x0
	v_cvt_i32_f32_e32 v1, v2
	global_store_b32 v[8:9], v1, off
.LBB18_1884:
	s_mov_b32 s3, 0
.LBB18_1885:
	s_delay_alu instid0(SALU_CYCLE_1)
	s_and_not1_b32 vcc_lo, exec_lo, s3
	s_cbranch_vccnz .LBB18_1887
; %bb.1886:
	s_wait_xcnt 0x0
	v_cvt_i32_f32_e32 v1, v2
	global_store_b16 v[8:9], v1, off
.LBB18_1887:
	s_mov_b32 s3, 0
.LBB18_1888:
	s_delay_alu instid0(SALU_CYCLE_1)
	s_and_not1_b32 vcc_lo, exec_lo, s3
	s_cbranch_vccnz .LBB18_1893
; %bb.1889:
	s_cmp_gt_i32 s0, 0
	s_mov_b32 s0, -1
	s_cbranch_scc0 .LBB18_1891
; %bb.1890:
	s_wait_xcnt 0x0
	v_cvt_i32_f32_e32 v1, v2
	s_mov_b32 s0, 0
	global_store_b8 v[8:9], v1, off
.LBB18_1891:
	s_and_not1_b32 vcc_lo, exec_lo, s0
	s_cbranch_vccnz .LBB18_1893
; %bb.1892:
	s_wait_xcnt 0x0
	v_trunc_f32_e32 v1, v2
	s_delay_alu instid0(VALU_DEP_1) | instskip(NEXT) | instid1(VALU_DEP_1)
	v_mul_f32_e64 v2, 0x2f800000, |v1|
	v_floor_f32_e32 v2, v2
	s_delay_alu instid0(VALU_DEP_1) | instskip(SKIP_1) | instid1(VALU_DEP_2)
	v_fma_f32 v2, 0xcf800000, v2, |v1|
	v_ashrrev_i32_e32 v1, 31, v1
	v_cvt_u32_f32_e32 v2, v2
	s_delay_alu instid0(VALU_DEP_1) | instskip(NEXT) | instid1(VALU_DEP_1)
	v_xor_b32_e32 v2, v2, v1
	v_sub_nc_u32_e32 v1, v2, v1
	global_store_b8 v[8:9], v1, off
.LBB18_1893:
	s_mov_b32 s7, -1
.LBB18_1894:
	s_delay_alu instid0(SALU_CYCLE_1)
	s_and_not1_b32 vcc_lo, exec_lo, s7
	s_cbranch_vccnz .LBB18_2090
; %bb.1895:
	v_add_nc_u32_e32 v0, s2, v0
	s_cmp_lt_i32 s12, 11
	s_wait_xcnt 0x0
	s_delay_alu instid0(VALU_DEP_1) | instskip(NEXT) | instid1(VALU_DEP_1)
	v_ashrrev_i32_e32 v1, 31, v0
	v_add_nc_u64_e32 v[2:3], s[4:5], v[0:1]
	s_cbranch_scc1 .LBB18_1973
; %bb.1896:
	s_and_b32 s3, 0xffff, s12
	s_mov_b32 s8, -1
	s_mov_b32 s6, 0
	s_cmp_gt_i32 s3, 25
	s_mov_b32 s7, 0
	s_mov_b32 s0, 0
	s_cbranch_scc0 .LBB18_1929
; %bb.1897:
	s_cmp_gt_i32 s3, 28
	s_cbranch_scc0 .LBB18_1912
; %bb.1898:
	s_cmp_gt_i32 s3, 43
	;; [unrolled: 3-line block ×3, first 2 shown]
	s_cbranch_scc0 .LBB18_1902
; %bb.1900:
	s_mov_b32 s0, -1
	s_mov_b32 s8, 0
	s_cmp_eq_u32 s3, 46
	s_cbranch_scc0 .LBB18_1902
; %bb.1901:
	v_bfe_u32 v1, v4, 16, 1
	v_cmp_o_f32_e32 vcc_lo, v4, v4
	s_mov_b32 s0, 0
	s_mov_b32 s7, -1
	s_delay_alu instid0(VALU_DEP_2) | instskip(NEXT) | instid1(VALU_DEP_1)
	v_add3_u32 v1, v4, v1, 0x7fff
	v_lshrrev_b32_e32 v1, 16, v1
	s_delay_alu instid0(VALU_DEP_1)
	v_cndmask_b32_e32 v1, 0x7fc0, v1, vcc_lo
	global_store_b32 v[2:3], v1, off
.LBB18_1902:
	s_and_b32 vcc_lo, exec_lo, s8
	s_cbranch_vccz .LBB18_1907
; %bb.1903:
	s_cmp_eq_u32 s3, 44
	s_mov_b32 s0, -1
	s_cbranch_scc0 .LBB18_1907
; %bb.1904:
	v_bfe_u32 v5, v4, 23, 8
	s_wait_xcnt 0x0
	v_mov_b32_e32 v1, 0xff
	s_mov_b32 s7, exec_lo
	s_delay_alu instid0(VALU_DEP_2)
	v_cmpx_ne_u32_e32 0xff, v5
	s_cbranch_execz .LBB18_1906
; %bb.1905:
	v_and_b32_e32 v1, 0x400000, v4
	v_and_or_b32 v5, 0x3fffff, v4, v5
	s_delay_alu instid0(VALU_DEP_2) | instskip(NEXT) | instid1(VALU_DEP_2)
	v_cmp_ne_u32_e32 vcc_lo, 0, v1
	v_cmp_ne_u32_e64 s0, 0, v5
	v_lshrrev_b32_e32 v1, 23, v4
	s_and_b32 s0, vcc_lo, s0
	s_delay_alu instid0(SALU_CYCLE_1) | instskip(NEXT) | instid1(VALU_DEP_1)
	v_cndmask_b32_e64 v5, 0, 1, s0
	v_add_nc_u32_e32 v1, v1, v5
.LBB18_1906:
	s_or_b32 exec_lo, exec_lo, s7
	s_mov_b32 s0, 0
	s_mov_b32 s7, -1
	global_store_b8 v[2:3], v1, off
.LBB18_1907:
	s_mov_b32 s8, 0
.LBB18_1908:
	s_delay_alu instid0(SALU_CYCLE_1)
	s_and_b32 vcc_lo, exec_lo, s8
	s_cbranch_vccz .LBB18_1911
; %bb.1909:
	s_cmp_eq_u32 s3, 29
	s_mov_b32 s0, -1
	s_cbranch_scc0 .LBB18_1911
; %bb.1910:
	s_wait_xcnt 0x0
	v_trunc_f32_e32 v1, v4
	s_mov_b32 s0, 0
	s_mov_b32 s7, -1
	s_delay_alu instid0(VALU_DEP_1) | instskip(NEXT) | instid1(VALU_DEP_1)
	v_mul_f32_e32 v5, 0x2f800000, v1
	v_floor_f32_e32 v5, v5
	s_delay_alu instid0(VALU_DEP_1) | instskip(SKIP_1) | instid1(VALU_DEP_2)
	v_fmamk_f32 v1, v5, 0xcf800000, v1
	v_cvt_u32_f32_e32 v9, v5
	v_cvt_u32_f32_e32 v8, v1
	global_store_b64 v[2:3], v[8:9], off
.LBB18_1911:
	s_mov_b32 s8, 0
.LBB18_1912:
	s_delay_alu instid0(SALU_CYCLE_1)
	s_and_b32 vcc_lo, exec_lo, s8
	s_cbranch_vccz .LBB18_1928
; %bb.1913:
	s_cmp_lt_i32 s3, 27
	s_mov_b32 s7, -1
	s_cbranch_scc1 .LBB18_1919
; %bb.1914:
	s_wait_xcnt 0x0
	v_cvt_u32_f32_e32 v1, v4
	s_cmp_gt_i32 s3, 27
	s_cbranch_scc0 .LBB18_1916
; %bb.1915:
	s_mov_b32 s7, 0
	global_store_b32 v[2:3], v1, off
.LBB18_1916:
	s_and_not1_b32 vcc_lo, exec_lo, s7
	s_cbranch_vccnz .LBB18_1918
; %bb.1917:
	global_store_b16 v[2:3], v1, off
.LBB18_1918:
	s_mov_b32 s7, 0
.LBB18_1919:
	s_delay_alu instid0(SALU_CYCLE_1)
	s_and_not1_b32 vcc_lo, exec_lo, s7
	s_cbranch_vccnz .LBB18_1927
; %bb.1920:
	s_wait_xcnt 0x0
	v_and_b32_e32 v1, 0x7fffffff, v4
	v_mov_b32_e32 v5, 0x80
	s_mov_b32 s7, exec_lo
	s_delay_alu instid0(VALU_DEP_2)
	v_cmpx_gt_u32_e32 0x43800000, v1
	s_cbranch_execz .LBB18_1926
; %bb.1921:
	v_cmp_lt_u32_e32 vcc_lo, 0x3bffffff, v1
	s_mov_b32 s8, 0
                                        ; implicit-def: $vgpr1
	s_and_saveexec_b32 s9, vcc_lo
	s_delay_alu instid0(SALU_CYCLE_1)
	s_xor_b32 s9, exec_lo, s9
	s_cbranch_execz .LBB18_2103
; %bb.1922:
	v_bfe_u32 v1, v4, 20, 1
	s_mov_b32 s8, exec_lo
	s_delay_alu instid0(VALU_DEP_1) | instskip(NEXT) | instid1(VALU_DEP_1)
	v_add3_u32 v1, v4, v1, 0x487ffff
	v_lshrrev_b32_e32 v1, 20, v1
	s_and_not1_saveexec_b32 s9, s9
	s_cbranch_execnz .LBB18_2104
.LBB18_1923:
	s_or_b32 exec_lo, exec_lo, s9
	v_mov_b32_e32 v5, 0
	s_and_saveexec_b32 s9, s8
.LBB18_1924:
	v_lshrrev_b32_e32 v5, 24, v4
	s_delay_alu instid0(VALU_DEP_1)
	v_and_or_b32 v5, 0x80, v5, v1
.LBB18_1925:
	s_or_b32 exec_lo, exec_lo, s9
.LBB18_1926:
	s_delay_alu instid0(SALU_CYCLE_1)
	s_or_b32 exec_lo, exec_lo, s7
	global_store_b8 v[2:3], v5, off
.LBB18_1927:
	s_mov_b32 s7, -1
.LBB18_1928:
	s_mov_b32 s8, 0
.LBB18_1929:
	s_delay_alu instid0(SALU_CYCLE_1)
	s_and_b32 vcc_lo, exec_lo, s8
	s_cbranch_vccz .LBB18_1969
; %bb.1930:
	s_cmp_gt_i32 s3, 22
	s_mov_b32 s6, -1
	s_cbranch_scc0 .LBB18_1962
; %bb.1931:
	s_cmp_lt_i32 s3, 24
	s_cbranch_scc1 .LBB18_1951
; %bb.1932:
	s_cmp_gt_i32 s3, 24
	s_cbranch_scc0 .LBB18_1940
; %bb.1933:
	s_wait_xcnt 0x0
	v_and_b32_e32 v1, 0x7fffffff, v4
	v_mov_b32_e32 v5, 0x80
	s_mov_b32 s6, exec_lo
	s_delay_alu instid0(VALU_DEP_2)
	v_cmpx_gt_u32_e32 0x47800000, v1
	s_cbranch_execz .LBB18_1939
; %bb.1934:
	v_cmp_lt_u32_e32 vcc_lo, 0x37ffffff, v1
	s_mov_b32 s7, 0
                                        ; implicit-def: $vgpr1
	s_and_saveexec_b32 s8, vcc_lo
	s_delay_alu instid0(SALU_CYCLE_1)
	s_xor_b32 s8, exec_lo, s8
	s_cbranch_execz .LBB18_2106
; %bb.1935:
	v_bfe_u32 v1, v4, 21, 1
	s_mov_b32 s7, exec_lo
	s_delay_alu instid0(VALU_DEP_1) | instskip(NEXT) | instid1(VALU_DEP_1)
	v_add3_u32 v1, v4, v1, 0x88fffff
	v_lshrrev_b32_e32 v1, 21, v1
	s_and_not1_saveexec_b32 s8, s8
	s_cbranch_execnz .LBB18_2107
.LBB18_1936:
	s_or_b32 exec_lo, exec_lo, s8
	v_mov_b32_e32 v5, 0
	s_and_saveexec_b32 s8, s7
.LBB18_1937:
	v_lshrrev_b32_e32 v5, 24, v4
	s_delay_alu instid0(VALU_DEP_1)
	v_and_or_b32 v5, 0x80, v5, v1
.LBB18_1938:
	s_or_b32 exec_lo, exec_lo, s8
.LBB18_1939:
	s_delay_alu instid0(SALU_CYCLE_1)
	s_or_b32 exec_lo, exec_lo, s6
	s_mov_b32 s6, 0
	global_store_b8 v[2:3], v5, off
.LBB18_1940:
	s_and_b32 vcc_lo, exec_lo, s6
	s_cbranch_vccz .LBB18_1950
; %bb.1941:
	s_wait_xcnt 0x0
	v_and_b32_e32 v5, 0x7fffffff, v4
	s_mov_b32 s6, exec_lo
                                        ; implicit-def: $vgpr1
	s_delay_alu instid0(VALU_DEP_1)
	v_cmpx_gt_u32_e32 0x43f00000, v5
	s_xor_b32 s6, exec_lo, s6
	s_cbranch_execz .LBB18_1947
; %bb.1942:
	s_mov_b32 s7, exec_lo
                                        ; implicit-def: $vgpr1
	v_cmpx_lt_u32_e32 0x3c7fffff, v5
	s_xor_b32 s7, exec_lo, s7
; %bb.1943:
	v_bfe_u32 v1, v4, 20, 1
	s_delay_alu instid0(VALU_DEP_1) | instskip(NEXT) | instid1(VALU_DEP_1)
	v_add3_u32 v1, v4, v1, 0x407ffff
	v_and_b32_e32 v5, 0xff00000, v1
	v_lshrrev_b32_e32 v1, 20, v1
	s_delay_alu instid0(VALU_DEP_2) | instskip(NEXT) | instid1(VALU_DEP_2)
	v_cmp_ne_u32_e32 vcc_lo, 0x7f00000, v5
	v_cndmask_b32_e32 v1, 0x7e, v1, vcc_lo
; %bb.1944:
	s_and_not1_saveexec_b32 s7, s7
; %bb.1945:
	v_add_f32_e64 v1, 0x46800000, |v4|
; %bb.1946:
	s_or_b32 exec_lo, exec_lo, s7
                                        ; implicit-def: $vgpr5
.LBB18_1947:
	s_and_not1_saveexec_b32 s6, s6
; %bb.1948:
	v_mov_b32_e32 v1, 0x7f
	v_cmp_lt_u32_e32 vcc_lo, 0x7f800000, v5
	s_delay_alu instid0(VALU_DEP_2)
	v_cndmask_b32_e32 v1, 0x7e, v1, vcc_lo
; %bb.1949:
	s_or_b32 exec_lo, exec_lo, s6
	v_lshrrev_b32_e32 v5, 24, v4
	s_delay_alu instid0(VALU_DEP_1)
	v_and_or_b32 v1, 0x80, v5, v1
	global_store_b8 v[2:3], v1, off
.LBB18_1950:
	s_mov_b32 s6, 0
.LBB18_1951:
	s_delay_alu instid0(SALU_CYCLE_1)
	s_and_not1_b32 vcc_lo, exec_lo, s6
	s_cbranch_vccnz .LBB18_1961
; %bb.1952:
	s_wait_xcnt 0x0
	v_and_b32_e32 v5, 0x7fffffff, v4
	s_mov_b32 s6, exec_lo
                                        ; implicit-def: $vgpr1
	s_delay_alu instid0(VALU_DEP_1)
	v_cmpx_gt_u32_e32 0x47800000, v5
	s_xor_b32 s6, exec_lo, s6
	s_cbranch_execz .LBB18_1958
; %bb.1953:
	s_mov_b32 s7, exec_lo
                                        ; implicit-def: $vgpr1
	v_cmpx_lt_u32_e32 0x387fffff, v5
	s_xor_b32 s7, exec_lo, s7
; %bb.1954:
	v_bfe_u32 v1, v4, 21, 1
	s_delay_alu instid0(VALU_DEP_1) | instskip(NEXT) | instid1(VALU_DEP_1)
	v_add3_u32 v1, v4, v1, 0x80fffff
	v_lshrrev_b32_e32 v1, 21, v1
; %bb.1955:
	s_and_not1_saveexec_b32 s7, s7
; %bb.1956:
	v_add_f32_e64 v1, 0x43000000, |v4|
; %bb.1957:
	s_or_b32 exec_lo, exec_lo, s7
                                        ; implicit-def: $vgpr5
.LBB18_1958:
	s_and_not1_saveexec_b32 s6, s6
; %bb.1959:
	v_mov_b32_e32 v1, 0x7f
	v_cmp_lt_u32_e32 vcc_lo, 0x7f800000, v5
	s_delay_alu instid0(VALU_DEP_2)
	v_cndmask_b32_e32 v1, 0x7c, v1, vcc_lo
; %bb.1960:
	s_or_b32 exec_lo, exec_lo, s6
	v_lshrrev_b32_e32 v5, 24, v4
	s_delay_alu instid0(VALU_DEP_1)
	v_and_or_b32 v1, 0x80, v5, v1
	global_store_b8 v[2:3], v1, off
.LBB18_1961:
	s_mov_b32 s6, 0
	s_mov_b32 s7, -1
.LBB18_1962:
	s_and_not1_b32 vcc_lo, exec_lo, s6
	s_mov_b32 s6, 0
	s_cbranch_vccnz .LBB18_1969
; %bb.1963:
	s_cmp_gt_i32 s3, 14
	s_mov_b32 s6, -1
	s_cbranch_scc0 .LBB18_1967
; %bb.1964:
	s_cmp_eq_u32 s3, 15
	s_mov_b32 s0, -1
	s_cbranch_scc0 .LBB18_1966
; %bb.1965:
	s_wait_xcnt 0x0
	v_bfe_u32 v1, v4, 16, 1
	v_cmp_o_f32_e32 vcc_lo, v4, v4
	s_mov_b32 s0, 0
	s_mov_b32 s7, -1
	s_delay_alu instid0(VALU_DEP_2) | instskip(NEXT) | instid1(VALU_DEP_1)
	v_add3_u32 v1, v4, v1, 0x7fff
	v_lshrrev_b32_e32 v1, 16, v1
	s_delay_alu instid0(VALU_DEP_1)
	v_cndmask_b32_e32 v1, 0x7fc0, v1, vcc_lo
	global_store_b16 v[2:3], v1, off
.LBB18_1966:
	s_mov_b32 s6, 0
.LBB18_1967:
	s_delay_alu instid0(SALU_CYCLE_1)
	s_and_b32 vcc_lo, exec_lo, s6
	s_mov_b32 s6, 0
	s_cbranch_vccz .LBB18_1969
; %bb.1968:
	s_cmp_lg_u32 s3, 11
	s_mov_b32 s6, -1
	s_cselect_b32 s0, -1, 0
.LBB18_1969:
	s_delay_alu instid0(SALU_CYCLE_1)
	s_and_b32 vcc_lo, exec_lo, s0
	s_cbranch_vccnz .LBB18_2105
; %bb.1970:
	s_and_not1_b32 vcc_lo, exec_lo, s6
	s_cbranch_vccnz .LBB18_1972
.LBB18_1971:
	v_cmp_neq_f32_e32 vcc_lo, 0, v4
	s_mov_b32 s7, -1
	s_wait_xcnt 0x0
	v_cndmask_b32_e64 v1, 0, 1, vcc_lo
	global_store_b8 v[2:3], v1, off
.LBB18_1972:
	s_mov_b32 s0, 0
	s_branch .LBB18_1974
.LBB18_1973:
	s_mov_b32 s0, -1
	s_mov_b32 s7, 0
.LBB18_1974:
	s_and_b32 vcc_lo, exec_lo, s0
	s_cbranch_vccz .LBB18_2013
; %bb.1975:
	s_and_b32 s0, 0xffff, s12
	s_mov_b32 s3, -1
	s_cmp_lt_i32 s0, 5
	s_cbranch_scc1 .LBB18_1996
; %bb.1976:
	s_cmp_lt_i32 s0, 8
	s_cbranch_scc1 .LBB18_1986
; %bb.1977:
	;; [unrolled: 3-line block ×3, first 2 shown]
	s_cmp_gt_i32 s0, 9
	s_cbranch_scc0 .LBB18_1980
; %bb.1979:
	s_wait_xcnt 0x0
	v_cvt_f64_f32_e32 v[8:9], v4
	v_mov_b32_e32 v10, 0
	s_mov_b32 s3, 0
	s_delay_alu instid0(VALU_DEP_1)
	v_mov_b32_e32 v11, v10
	global_store_b128 v[2:3], v[8:11], off
.LBB18_1980:
	s_and_not1_b32 vcc_lo, exec_lo, s3
	s_cbranch_vccnz .LBB18_1982
; %bb.1981:
	s_wait_xcnt 0x0
	v_mov_b32_e32 v5, 0
	global_store_b64 v[2:3], v[4:5], off
.LBB18_1982:
	s_mov_b32 s3, 0
.LBB18_1983:
	s_delay_alu instid0(SALU_CYCLE_1)
	s_and_not1_b32 vcc_lo, exec_lo, s3
	s_cbranch_vccnz .LBB18_1985
; %bb.1984:
	s_wait_xcnt 0x0
	v_cvt_f16_f32_e32 v1, v4
	s_delay_alu instid0(VALU_DEP_1)
	v_and_b32_e32 v1, 0xffff, v1
	global_store_b32 v[2:3], v1, off
.LBB18_1985:
	s_mov_b32 s3, 0
.LBB18_1986:
	s_delay_alu instid0(SALU_CYCLE_1)
	s_and_not1_b32 vcc_lo, exec_lo, s3
	s_cbranch_vccnz .LBB18_1995
; %bb.1987:
	s_cmp_lt_i32 s0, 6
	s_mov_b32 s3, -1
	s_cbranch_scc1 .LBB18_1993
; %bb.1988:
	s_cmp_gt_i32 s0, 6
	s_cbranch_scc0 .LBB18_1990
; %bb.1989:
	s_wait_xcnt 0x0
	v_cvt_f64_f32_e32 v[8:9], v4
	s_mov_b32 s3, 0
	global_store_b64 v[2:3], v[8:9], off
.LBB18_1990:
	s_and_not1_b32 vcc_lo, exec_lo, s3
	s_cbranch_vccnz .LBB18_1992
; %bb.1991:
	global_store_b32 v[2:3], v4, off
.LBB18_1992:
	s_mov_b32 s3, 0
.LBB18_1993:
	s_delay_alu instid0(SALU_CYCLE_1)
	s_and_not1_b32 vcc_lo, exec_lo, s3
	s_cbranch_vccnz .LBB18_1995
; %bb.1994:
	s_wait_xcnt 0x0
	v_cvt_f16_f32_e32 v1, v4
	global_store_b16 v[2:3], v1, off
.LBB18_1995:
	s_mov_b32 s3, 0
.LBB18_1996:
	s_delay_alu instid0(SALU_CYCLE_1)
	s_and_not1_b32 vcc_lo, exec_lo, s3
	s_cbranch_vccnz .LBB18_2012
; %bb.1997:
	s_cmp_lt_i32 s0, 2
	s_mov_b32 s3, -1
	s_cbranch_scc1 .LBB18_2007
; %bb.1998:
	s_cmp_lt_i32 s0, 3
	s_cbranch_scc1 .LBB18_2004
; %bb.1999:
	s_cmp_gt_i32 s0, 3
	s_cbranch_scc0 .LBB18_2001
; %bb.2000:
	s_wait_xcnt 0x0
	v_trunc_f32_e32 v1, v4
	s_mov_b32 s3, 0
	s_delay_alu instid0(VALU_DEP_1) | instskip(SKIP_1) | instid1(VALU_DEP_2)
	v_mul_f32_e64 v5, 0x2f800000, |v1|
	v_ashrrev_i32_e32 v8, 31, v1
	v_floor_f32_e32 v5, v5
	s_delay_alu instid0(VALU_DEP_1) | instskip(SKIP_1) | instid1(VALU_DEP_4)
	v_fma_f32 v7, 0xcf800000, v5, |v1|
	v_cvt_u32_f32_e32 v1, v5
	v_mov_b32_e32 v9, v8
	s_delay_alu instid0(VALU_DEP_3) | instskip(NEXT) | instid1(VALU_DEP_3)
	v_cvt_u32_f32_e32 v5, v7
	v_xor_b32_e32 v11, v1, v8
	s_delay_alu instid0(VALU_DEP_2) | instskip(NEXT) | instid1(VALU_DEP_1)
	v_xor_b32_e32 v10, v5, v8
	v_sub_nc_u64_e32 v[8:9], v[10:11], v[8:9]
	global_store_b64 v[2:3], v[8:9], off
.LBB18_2001:
	s_and_not1_b32 vcc_lo, exec_lo, s3
	s_cbranch_vccnz .LBB18_2003
; %bb.2002:
	s_wait_xcnt 0x0
	v_cvt_i32_f32_e32 v1, v4
	global_store_b32 v[2:3], v1, off
.LBB18_2003:
	s_mov_b32 s3, 0
.LBB18_2004:
	s_delay_alu instid0(SALU_CYCLE_1)
	s_and_not1_b32 vcc_lo, exec_lo, s3
	s_cbranch_vccnz .LBB18_2006
; %bb.2005:
	s_wait_xcnt 0x0
	v_cvt_i32_f32_e32 v1, v4
	global_store_b16 v[2:3], v1, off
.LBB18_2006:
	s_mov_b32 s3, 0
.LBB18_2007:
	s_delay_alu instid0(SALU_CYCLE_1)
	s_and_not1_b32 vcc_lo, exec_lo, s3
	s_cbranch_vccnz .LBB18_2012
; %bb.2008:
	s_cmp_gt_i32 s0, 0
	s_mov_b32 s0, -1
	s_cbranch_scc0 .LBB18_2010
; %bb.2009:
	s_wait_xcnt 0x0
	v_cvt_i32_f32_e32 v1, v4
	s_mov_b32 s0, 0
	global_store_b8 v[2:3], v1, off
.LBB18_2010:
	s_and_not1_b32 vcc_lo, exec_lo, s0
	s_cbranch_vccnz .LBB18_2012
; %bb.2011:
	s_wait_xcnt 0x0
	v_trunc_f32_e32 v1, v4
	s_delay_alu instid0(VALU_DEP_1) | instskip(NEXT) | instid1(VALU_DEP_1)
	v_mul_f32_e64 v4, 0x2f800000, |v1|
	v_floor_f32_e32 v4, v4
	s_delay_alu instid0(VALU_DEP_1) | instskip(SKIP_1) | instid1(VALU_DEP_2)
	v_fma_f32 v4, 0xcf800000, v4, |v1|
	v_ashrrev_i32_e32 v1, 31, v1
	v_cvt_u32_f32_e32 v4, v4
	s_delay_alu instid0(VALU_DEP_1) | instskip(NEXT) | instid1(VALU_DEP_1)
	v_xor_b32_e32 v4, v4, v1
	v_sub_nc_u32_e32 v1, v4, v1
	global_store_b8 v[2:3], v1, off
.LBB18_2012:
	s_mov_b32 s7, -1
.LBB18_2013:
	s_delay_alu instid0(SALU_CYCLE_1)
	s_and_not1_b32 vcc_lo, exec_lo, s7
	s_cbranch_vccnz .LBB18_2090
; %bb.2014:
	v_add_nc_u32_e32 v0, s2, v0
	s_cmp_lt_i32 s12, 11
	s_wait_xcnt 0x0
	s_delay_alu instid0(VALU_DEP_1) | instskip(NEXT) | instid1(VALU_DEP_1)
	v_ashrrev_i32_e32 v1, 31, v0
	v_add_nc_u64_e32 v[0:1], s[4:5], v[0:1]
	s_cbranch_scc1 .LBB18_2091
; %bb.2015:
	s_and_b32 s2, 0xffff, s12
	s_mov_b32 s4, -1
	s_mov_b32 s3, 0
	s_cmp_gt_i32 s2, 25
	s_mov_b32 s0, 0
	s_cbranch_scc0 .LBB18_2048
; %bb.2016:
	s_cmp_gt_i32 s2, 28
	s_cbranch_scc0 .LBB18_2032
; %bb.2017:
	s_cmp_gt_i32 s2, 43
	;; [unrolled: 3-line block ×3, first 2 shown]
	s_cbranch_scc0 .LBB18_2022
; %bb.2019:
	s_cmp_eq_u32 s2, 46
	s_mov_b32 s0, -1
	s_cbranch_scc0 .LBB18_2021
; %bb.2020:
	v_bfe_u32 v2, v6, 16, 1
	v_cmp_o_f32_e32 vcc_lo, v6, v6
	s_mov_b32 s0, 0
	s_delay_alu instid0(VALU_DEP_2) | instskip(NEXT) | instid1(VALU_DEP_1)
	v_add3_u32 v2, v6, v2, 0x7fff
	v_lshrrev_b32_e32 v2, 16, v2
	s_delay_alu instid0(VALU_DEP_1)
	v_cndmask_b32_e32 v2, 0x7fc0, v2, vcc_lo
	global_store_b32 v[0:1], v2, off
.LBB18_2021:
	s_mov_b32 s4, 0
.LBB18_2022:
	s_delay_alu instid0(SALU_CYCLE_1)
	s_and_b32 vcc_lo, exec_lo, s4
	s_cbranch_vccz .LBB18_2027
; %bb.2023:
	s_cmp_eq_u32 s2, 44
	s_mov_b32 s0, -1
	s_cbranch_scc0 .LBB18_2027
; %bb.2024:
	v_bfe_u32 v3, v6, 23, 8
	s_wait_xcnt 0x0
	v_mov_b32_e32 v2, 0xff
	s_mov_b32 s4, exec_lo
	s_delay_alu instid0(VALU_DEP_2)
	v_cmpx_ne_u32_e32 0xff, v3
	s_cbranch_execz .LBB18_2026
; %bb.2025:
	v_and_b32_e32 v2, 0x400000, v6
	v_and_or_b32 v3, 0x3fffff, v6, v3
	s_delay_alu instid0(VALU_DEP_2) | instskip(NEXT) | instid1(VALU_DEP_2)
	v_cmp_ne_u32_e32 vcc_lo, 0, v2
	v_cmp_ne_u32_e64 s0, 0, v3
	v_lshrrev_b32_e32 v2, 23, v6
	s_and_b32 s0, vcc_lo, s0
	s_delay_alu instid0(SALU_CYCLE_1) | instskip(NEXT) | instid1(VALU_DEP_1)
	v_cndmask_b32_e64 v3, 0, 1, s0
	v_add_nc_u32_e32 v2, v2, v3
.LBB18_2026:
	s_or_b32 exec_lo, exec_lo, s4
	s_mov_b32 s0, 0
	global_store_b8 v[0:1], v2, off
.LBB18_2027:
	s_mov_b32 s4, 0
.LBB18_2028:
	s_delay_alu instid0(SALU_CYCLE_1)
	s_and_b32 vcc_lo, exec_lo, s4
	s_cbranch_vccz .LBB18_2031
; %bb.2029:
	s_cmp_eq_u32 s2, 29
	s_mov_b32 s0, -1
	s_cbranch_scc0 .LBB18_2031
; %bb.2030:
	s_wait_xcnt 0x0
	v_trunc_f32_e32 v2, v6
	s_mov_b32 s0, 0
	s_delay_alu instid0(VALU_DEP_1) | instskip(NEXT) | instid1(VALU_DEP_1)
	v_mul_f32_e32 v3, 0x2f800000, v2
	v_floor_f32_e32 v3, v3
	s_delay_alu instid0(VALU_DEP_1) | instskip(SKIP_1) | instid1(VALU_DEP_2)
	v_fmamk_f32 v2, v3, 0xcf800000, v2
	v_cvt_u32_f32_e32 v3, v3
	v_cvt_u32_f32_e32 v2, v2
	global_store_b64 v[0:1], v[2:3], off
.LBB18_2031:
	s_mov_b32 s4, 0
.LBB18_2032:
	s_delay_alu instid0(SALU_CYCLE_1)
	s_and_b32 vcc_lo, exec_lo, s4
	s_cbranch_vccz .LBB18_2047
; %bb.2033:
	s_cmp_lt_i32 s2, 27
	s_mov_b32 s4, -1
	s_cbranch_scc1 .LBB18_2039
; %bb.2034:
	s_wait_xcnt 0x0
	v_cvt_u32_f32_e32 v2, v6
	s_cmp_gt_i32 s2, 27
	s_cbranch_scc0 .LBB18_2036
; %bb.2035:
	s_mov_b32 s4, 0
	global_store_b32 v[0:1], v2, off
.LBB18_2036:
	s_and_not1_b32 vcc_lo, exec_lo, s4
	s_cbranch_vccnz .LBB18_2038
; %bb.2037:
	global_store_b16 v[0:1], v2, off
.LBB18_2038:
	s_mov_b32 s4, 0
.LBB18_2039:
	s_delay_alu instid0(SALU_CYCLE_1)
	s_and_not1_b32 vcc_lo, exec_lo, s4
	s_cbranch_vccnz .LBB18_2047
; %bb.2040:
	s_wait_xcnt 0x0
	v_and_b32_e32 v2, 0x7fffffff, v6
	v_mov_b32_e32 v3, 0x80
	s_mov_b32 s4, exec_lo
	s_delay_alu instid0(VALU_DEP_2)
	v_cmpx_gt_u32_e32 0x43800000, v2
	s_cbranch_execz .LBB18_2046
; %bb.2041:
	v_cmp_lt_u32_e32 vcc_lo, 0x3bffffff, v2
	s_mov_b32 s5, 0
                                        ; implicit-def: $vgpr2
	s_and_saveexec_b32 s6, vcc_lo
	s_delay_alu instid0(SALU_CYCLE_1)
	s_xor_b32 s6, exec_lo, s6
	s_cbranch_execz .LBB18_2108
; %bb.2042:
	v_bfe_u32 v2, v6, 20, 1
	s_mov_b32 s5, exec_lo
	s_delay_alu instid0(VALU_DEP_1) | instskip(NEXT) | instid1(VALU_DEP_1)
	v_add3_u32 v2, v6, v2, 0x487ffff
	v_lshrrev_b32_e32 v2, 20, v2
	s_and_not1_saveexec_b32 s6, s6
	s_cbranch_execnz .LBB18_2109
.LBB18_2043:
	s_or_b32 exec_lo, exec_lo, s6
	v_mov_b32_e32 v3, 0
	s_and_saveexec_b32 s6, s5
.LBB18_2044:
	v_lshrrev_b32_e32 v3, 24, v6
	s_delay_alu instid0(VALU_DEP_1)
	v_and_or_b32 v3, 0x80, v3, v2
.LBB18_2045:
	s_or_b32 exec_lo, exec_lo, s6
.LBB18_2046:
	s_delay_alu instid0(SALU_CYCLE_1)
	s_or_b32 exec_lo, exec_lo, s4
	global_store_b8 v[0:1], v3, off
.LBB18_2047:
	s_mov_b32 s4, 0
.LBB18_2048:
	s_delay_alu instid0(SALU_CYCLE_1)
	s_and_b32 vcc_lo, exec_lo, s4
	s_cbranch_vccz .LBB18_2088
; %bb.2049:
	s_cmp_gt_i32 s2, 22
	s_mov_b32 s3, -1
	s_cbranch_scc0 .LBB18_2081
; %bb.2050:
	s_cmp_lt_i32 s2, 24
	s_cbranch_scc1 .LBB18_2070
; %bb.2051:
	s_cmp_gt_i32 s2, 24
	s_cbranch_scc0 .LBB18_2059
; %bb.2052:
	s_wait_xcnt 0x0
	v_and_b32_e32 v2, 0x7fffffff, v6
	v_mov_b32_e32 v3, 0x80
	s_mov_b32 s3, exec_lo
	s_delay_alu instid0(VALU_DEP_2)
	v_cmpx_gt_u32_e32 0x47800000, v2
	s_cbranch_execz .LBB18_2058
; %bb.2053:
	v_cmp_lt_u32_e32 vcc_lo, 0x37ffffff, v2
	s_mov_b32 s4, 0
                                        ; implicit-def: $vgpr2
	s_and_saveexec_b32 s5, vcc_lo
	s_delay_alu instid0(SALU_CYCLE_1)
	s_xor_b32 s5, exec_lo, s5
	s_cbranch_execz .LBB18_2111
; %bb.2054:
	v_bfe_u32 v2, v6, 21, 1
	s_mov_b32 s4, exec_lo
	s_delay_alu instid0(VALU_DEP_1) | instskip(NEXT) | instid1(VALU_DEP_1)
	v_add3_u32 v2, v6, v2, 0x88fffff
	v_lshrrev_b32_e32 v2, 21, v2
	s_and_not1_saveexec_b32 s5, s5
	s_cbranch_execnz .LBB18_2112
.LBB18_2055:
	s_or_b32 exec_lo, exec_lo, s5
	v_mov_b32_e32 v3, 0
	s_and_saveexec_b32 s5, s4
.LBB18_2056:
	v_lshrrev_b32_e32 v3, 24, v6
	s_delay_alu instid0(VALU_DEP_1)
	v_and_or_b32 v3, 0x80, v3, v2
.LBB18_2057:
	s_or_b32 exec_lo, exec_lo, s5
.LBB18_2058:
	s_delay_alu instid0(SALU_CYCLE_1)
	s_or_b32 exec_lo, exec_lo, s3
	s_mov_b32 s3, 0
	global_store_b8 v[0:1], v3, off
.LBB18_2059:
	s_and_b32 vcc_lo, exec_lo, s3
	s_cbranch_vccz .LBB18_2069
; %bb.2060:
	s_wait_xcnt 0x0
	v_and_b32_e32 v3, 0x7fffffff, v6
	s_mov_b32 s3, exec_lo
                                        ; implicit-def: $vgpr2
	s_delay_alu instid0(VALU_DEP_1)
	v_cmpx_gt_u32_e32 0x43f00000, v3
	s_xor_b32 s3, exec_lo, s3
	s_cbranch_execz .LBB18_2066
; %bb.2061:
	s_mov_b32 s4, exec_lo
                                        ; implicit-def: $vgpr2
	v_cmpx_lt_u32_e32 0x3c7fffff, v3
	s_xor_b32 s4, exec_lo, s4
; %bb.2062:
	v_bfe_u32 v2, v6, 20, 1
	s_delay_alu instid0(VALU_DEP_1) | instskip(NEXT) | instid1(VALU_DEP_1)
	v_add3_u32 v2, v6, v2, 0x407ffff
	v_and_b32_e32 v3, 0xff00000, v2
	v_lshrrev_b32_e32 v2, 20, v2
	s_delay_alu instid0(VALU_DEP_2) | instskip(NEXT) | instid1(VALU_DEP_2)
	v_cmp_ne_u32_e32 vcc_lo, 0x7f00000, v3
	v_cndmask_b32_e32 v2, 0x7e, v2, vcc_lo
; %bb.2063:
	s_and_not1_saveexec_b32 s4, s4
; %bb.2064:
	v_add_f32_e64 v2, 0x46800000, |v6|
; %bb.2065:
	s_or_b32 exec_lo, exec_lo, s4
                                        ; implicit-def: $vgpr3
.LBB18_2066:
	s_and_not1_saveexec_b32 s3, s3
; %bb.2067:
	v_mov_b32_e32 v2, 0x7f
	v_cmp_lt_u32_e32 vcc_lo, 0x7f800000, v3
	s_delay_alu instid0(VALU_DEP_2)
	v_cndmask_b32_e32 v2, 0x7e, v2, vcc_lo
; %bb.2068:
	s_or_b32 exec_lo, exec_lo, s3
	v_lshrrev_b32_e32 v3, 24, v6
	s_delay_alu instid0(VALU_DEP_1)
	v_and_or_b32 v2, 0x80, v3, v2
	global_store_b8 v[0:1], v2, off
.LBB18_2069:
	s_mov_b32 s3, 0
.LBB18_2070:
	s_delay_alu instid0(SALU_CYCLE_1)
	s_and_not1_b32 vcc_lo, exec_lo, s3
	s_cbranch_vccnz .LBB18_2080
; %bb.2071:
	s_wait_xcnt 0x0
	v_and_b32_e32 v3, 0x7fffffff, v6
	s_mov_b32 s3, exec_lo
                                        ; implicit-def: $vgpr2
	s_delay_alu instid0(VALU_DEP_1)
	v_cmpx_gt_u32_e32 0x47800000, v3
	s_xor_b32 s3, exec_lo, s3
	s_cbranch_execz .LBB18_2077
; %bb.2072:
	s_mov_b32 s4, exec_lo
                                        ; implicit-def: $vgpr2
	v_cmpx_lt_u32_e32 0x387fffff, v3
	s_xor_b32 s4, exec_lo, s4
; %bb.2073:
	v_bfe_u32 v2, v6, 21, 1
	s_delay_alu instid0(VALU_DEP_1) | instskip(NEXT) | instid1(VALU_DEP_1)
	v_add3_u32 v2, v6, v2, 0x80fffff
	v_lshrrev_b32_e32 v2, 21, v2
; %bb.2074:
	s_and_not1_saveexec_b32 s4, s4
; %bb.2075:
	v_add_f32_e64 v2, 0x43000000, |v6|
; %bb.2076:
	s_or_b32 exec_lo, exec_lo, s4
                                        ; implicit-def: $vgpr3
.LBB18_2077:
	s_and_not1_saveexec_b32 s3, s3
; %bb.2078:
	v_mov_b32_e32 v2, 0x7f
	v_cmp_lt_u32_e32 vcc_lo, 0x7f800000, v3
	s_delay_alu instid0(VALU_DEP_2)
	v_cndmask_b32_e32 v2, 0x7c, v2, vcc_lo
; %bb.2079:
	s_or_b32 exec_lo, exec_lo, s3
	v_lshrrev_b32_e32 v3, 24, v6
	s_delay_alu instid0(VALU_DEP_1)
	v_and_or_b32 v2, 0x80, v3, v2
	global_store_b8 v[0:1], v2, off
.LBB18_2080:
	s_mov_b32 s3, 0
.LBB18_2081:
	s_delay_alu instid0(SALU_CYCLE_1)
	s_and_not1_b32 vcc_lo, exec_lo, s3
	s_mov_b32 s3, 0
	s_cbranch_vccnz .LBB18_2088
; %bb.2082:
	s_cmp_gt_i32 s2, 14
	s_mov_b32 s3, -1
	s_cbranch_scc0 .LBB18_2086
; %bb.2083:
	s_cmp_eq_u32 s2, 15
	s_mov_b32 s0, -1
	s_cbranch_scc0 .LBB18_2085
; %bb.2084:
	s_wait_xcnt 0x0
	v_bfe_u32 v2, v6, 16, 1
	v_cmp_o_f32_e32 vcc_lo, v6, v6
	s_mov_b32 s0, 0
	s_delay_alu instid0(VALU_DEP_2) | instskip(NEXT) | instid1(VALU_DEP_1)
	v_add3_u32 v2, v6, v2, 0x7fff
	v_lshrrev_b32_e32 v2, 16, v2
	s_delay_alu instid0(VALU_DEP_1)
	v_cndmask_b32_e32 v2, 0x7fc0, v2, vcc_lo
	global_store_b16 v[0:1], v2, off
.LBB18_2085:
	s_mov_b32 s3, 0
.LBB18_2086:
	s_delay_alu instid0(SALU_CYCLE_1)
	s_and_b32 vcc_lo, exec_lo, s3
	s_mov_b32 s3, 0
	s_cbranch_vccz .LBB18_2088
; %bb.2087:
	s_cmp_lg_u32 s2, 11
	s_mov_b32 s3, -1
	s_cselect_b32 s0, -1, 0
.LBB18_2088:
	s_delay_alu instid0(SALU_CYCLE_1)
	s_and_b32 vcc_lo, exec_lo, s0
	s_cbranch_vccnz .LBB18_2110
.LBB18_2089:
	s_mov_b32 s0, 0
	s_branch .LBB18_1691
.LBB18_2090:
	s_mov_b32 s0, 0
	s_mov_b32 s3, 0
                                        ; implicit-def: $sgpr12
                                        ; implicit-def: $vgpr0_vgpr1
	s_branch .LBB18_1691
.LBB18_2091:
	s_mov_b32 s3, 0
	s_mov_b32 s0, -1
	s_branch .LBB18_1691
.LBB18_2092:
	s_or_b32 s1, s1, exec_lo
	s_trap 2
	s_cbranch_execz .LBB18_1552
	s_branch .LBB18_1553
.LBB18_2093:
	s_and_not1_saveexec_b32 s9, s9
	s_cbranch_execz .LBB18_1640
.LBB18_2094:
	v_add_f32_e64 v1, 0x46000000, |v0|
	s_and_not1_b32 s8, s8, exec_lo
	s_delay_alu instid0(VALU_DEP_1) | instskip(NEXT) | instid1(VALU_DEP_1)
	v_and_b32_e32 v1, 0xff, v1
	v_cmp_ne_u32_e32 vcc_lo, 0, v1
	s_and_b32 s13, vcc_lo, exec_lo
	s_delay_alu instid0(SALU_CYCLE_1)
	s_or_b32 s8, s8, s13
	s_or_b32 exec_lo, exec_lo, s9
	v_mov_b32_e32 v3, 0
	s_and_saveexec_b32 s9, s8
	s_cbranch_execnz .LBB18_1641
	s_branch .LBB18_1642
.LBB18_2095:
	s_or_b32 s1, s1, exec_lo
	s_trap 2
	s_cbranch_execz .LBB18_1688
	s_branch .LBB18_1689
.LBB18_2096:
	s_and_not1_saveexec_b32 s8, s8
	s_cbranch_execz .LBB18_1653
.LBB18_2097:
	v_add_f32_e64 v1, 0x42800000, |v0|
	s_and_not1_b32 s7, s7, exec_lo
	s_delay_alu instid0(VALU_DEP_1) | instskip(NEXT) | instid1(VALU_DEP_1)
	v_and_b32_e32 v1, 0xff, v1
	v_cmp_ne_u32_e32 vcc_lo, 0, v1
	s_and_b32 s9, vcc_lo, exec_lo
	s_delay_alu instid0(SALU_CYCLE_1)
	s_or_b32 s7, s7, s9
	s_or_b32 exec_lo, exec_lo, s8
	v_mov_b32_e32 v3, 0
	s_and_saveexec_b32 s8, s7
	s_cbranch_execnz .LBB18_1654
	s_branch .LBB18_1655
.LBB18_2098:
	s_and_not1_saveexec_b32 s9, s9
	s_cbranch_execz .LBB18_1804
.LBB18_2099:
	v_add_f32_e64 v1, 0x46000000, |v2|
	s_and_not1_b32 s8, s8, exec_lo
	s_delay_alu instid0(VALU_DEP_1) | instskip(NEXT) | instid1(VALU_DEP_1)
	v_and_b32_e32 v1, 0xff, v1
	v_cmp_ne_u32_e32 vcc_lo, 0, v1
	s_and_b32 s13, vcc_lo, exec_lo
	s_delay_alu instid0(SALU_CYCLE_1)
	s_or_b32 s8, s8, s13
	s_or_b32 exec_lo, exec_lo, s9
	v_mov_b32_e32 v3, 0
	s_and_saveexec_b32 s9, s8
	s_cbranch_execnz .LBB18_1805
	s_branch .LBB18_1806
.LBB18_2100:
	s_or_b32 s1, s1, exec_lo
	s_trap 2
	s_cbranch_execz .LBB18_1852
	s_branch .LBB18_1853
.LBB18_2101:
	s_and_not1_saveexec_b32 s8, s8
	s_cbranch_execz .LBB18_1817
.LBB18_2102:
	v_add_f32_e64 v1, 0x42800000, |v2|
	s_and_not1_b32 s7, s7, exec_lo
	s_delay_alu instid0(VALU_DEP_1) | instskip(NEXT) | instid1(VALU_DEP_1)
	v_and_b32_e32 v1, 0xff, v1
	v_cmp_ne_u32_e32 vcc_lo, 0, v1
	s_and_b32 s9, vcc_lo, exec_lo
	s_delay_alu instid0(SALU_CYCLE_1)
	s_or_b32 s7, s7, s9
	s_or_b32 exec_lo, exec_lo, s8
	v_mov_b32_e32 v3, 0
	s_and_saveexec_b32 s8, s7
	s_cbranch_execnz .LBB18_1818
	s_branch .LBB18_1819
.LBB18_2103:
	s_and_not1_saveexec_b32 s9, s9
	s_cbranch_execz .LBB18_1923
.LBB18_2104:
	v_add_f32_e64 v1, 0x46000000, |v4|
	s_and_not1_b32 s8, s8, exec_lo
	s_delay_alu instid0(VALU_DEP_1) | instskip(NEXT) | instid1(VALU_DEP_1)
	v_and_b32_e32 v1, 0xff, v1
	v_cmp_ne_u32_e32 vcc_lo, 0, v1
	s_and_b32 s13, vcc_lo, exec_lo
	s_delay_alu instid0(SALU_CYCLE_1)
	s_or_b32 s8, s8, s13
	s_or_b32 exec_lo, exec_lo, s9
	v_mov_b32_e32 v5, 0
	s_and_saveexec_b32 s9, s8
	s_cbranch_execnz .LBB18_1924
	s_branch .LBB18_1925
.LBB18_2105:
	s_or_b32 s1, s1, exec_lo
	s_trap 2
	s_cbranch_execz .LBB18_1971
	s_branch .LBB18_1972
.LBB18_2106:
	s_and_not1_saveexec_b32 s8, s8
	s_cbranch_execz .LBB18_1936
.LBB18_2107:
	v_add_f32_e64 v1, 0x42800000, |v4|
	s_and_not1_b32 s7, s7, exec_lo
	s_delay_alu instid0(VALU_DEP_1) | instskip(NEXT) | instid1(VALU_DEP_1)
	v_and_b32_e32 v1, 0xff, v1
	v_cmp_ne_u32_e32 vcc_lo, 0, v1
	s_and_b32 s9, vcc_lo, exec_lo
	s_delay_alu instid0(SALU_CYCLE_1)
	s_or_b32 s7, s7, s9
	s_or_b32 exec_lo, exec_lo, s8
	v_mov_b32_e32 v5, 0
	s_and_saveexec_b32 s8, s7
	s_cbranch_execnz .LBB18_1937
	s_branch .LBB18_1938
.LBB18_2108:
	s_and_not1_saveexec_b32 s6, s6
	s_cbranch_execz .LBB18_2043
.LBB18_2109:
	v_add_f32_e64 v2, 0x46000000, |v6|
	s_and_not1_b32 s5, s5, exec_lo
	s_delay_alu instid0(VALU_DEP_1) | instskip(NEXT) | instid1(VALU_DEP_1)
	v_and_b32_e32 v2, 0xff, v2
	v_cmp_ne_u32_e32 vcc_lo, 0, v2
	s_and_b32 s7, vcc_lo, exec_lo
	s_delay_alu instid0(SALU_CYCLE_1)
	s_or_b32 s5, s5, s7
	s_or_b32 exec_lo, exec_lo, s6
	v_mov_b32_e32 v3, 0
	s_and_saveexec_b32 s6, s5
	s_cbranch_execnz .LBB18_2044
	s_branch .LBB18_2045
.LBB18_2110:
	s_mov_b32 s3, 0
	s_or_b32 s1, s1, exec_lo
	s_trap 2
	s_branch .LBB18_2089
.LBB18_2111:
	s_and_not1_saveexec_b32 s5, s5
	s_cbranch_execz .LBB18_2055
.LBB18_2112:
	v_add_f32_e64 v2, 0x42800000, |v6|
	s_and_not1_b32 s4, s4, exec_lo
	s_delay_alu instid0(VALU_DEP_1) | instskip(NEXT) | instid1(VALU_DEP_1)
	v_and_b32_e32 v2, 0xff, v2
	v_cmp_ne_u32_e32 vcc_lo, 0, v2
	s_and_b32 s6, vcc_lo, exec_lo
	s_delay_alu instid0(SALU_CYCLE_1)
	s_or_b32 s4, s4, s6
	s_or_b32 exec_lo, exec_lo, s5
	v_mov_b32_e32 v3, 0
	s_and_saveexec_b32 s5, s4
	s_cbranch_execnz .LBB18_2056
	s_branch .LBB18_2057
	.section	.rodata,"a",@progbits
	.p2align	6, 0x0
	.amdhsa_kernel _ZN2at6native32elementwise_kernel_manual_unrollILi128ELi4EZNS0_15gpu_kernel_implIZZZNS0_12_GLOBAL__N_137scaled_modified_bessel_k0_kernel_cudaERNS_18TensorIteratorBaseEENKUlvE_clEvENKUlvE0_clEvEUlfE_EEvS5_RKT_EUlibE_EEviT1_
		.amdhsa_group_segment_fixed_size 0
		.amdhsa_private_segment_fixed_size 0
		.amdhsa_kernarg_size 40
		.amdhsa_user_sgpr_count 2
		.amdhsa_user_sgpr_dispatch_ptr 0
		.amdhsa_user_sgpr_queue_ptr 0
		.amdhsa_user_sgpr_kernarg_segment_ptr 1
		.amdhsa_user_sgpr_dispatch_id 0
		.amdhsa_user_sgpr_kernarg_preload_length 0
		.amdhsa_user_sgpr_kernarg_preload_offset 0
		.amdhsa_user_sgpr_private_segment_size 0
		.amdhsa_wavefront_size32 1
		.amdhsa_uses_dynamic_stack 0
		.amdhsa_enable_private_segment 0
		.amdhsa_system_sgpr_workgroup_id_x 1
		.amdhsa_system_sgpr_workgroup_id_y 0
		.amdhsa_system_sgpr_workgroup_id_z 0
		.amdhsa_system_sgpr_workgroup_info 0
		.amdhsa_system_vgpr_workitem_id 0
		.amdhsa_next_free_vgpr 24
		.amdhsa_next_free_sgpr 26
		.amdhsa_named_barrier_count 0
		.amdhsa_reserve_vcc 1
		.amdhsa_float_round_mode_32 0
		.amdhsa_float_round_mode_16_64 0
		.amdhsa_float_denorm_mode_32 3
		.amdhsa_float_denorm_mode_16_64 3
		.amdhsa_fp16_overflow 0
		.amdhsa_memory_ordered 1
		.amdhsa_forward_progress 1
		.amdhsa_inst_pref_size 255
		.amdhsa_round_robin_scheduling 0
		.amdhsa_exception_fp_ieee_invalid_op 0
		.amdhsa_exception_fp_denorm_src 0
		.amdhsa_exception_fp_ieee_div_zero 0
		.amdhsa_exception_fp_ieee_overflow 0
		.amdhsa_exception_fp_ieee_underflow 0
		.amdhsa_exception_fp_ieee_inexact 0
		.amdhsa_exception_int_div_zero 0
	.end_amdhsa_kernel
	.section	.text._ZN2at6native32elementwise_kernel_manual_unrollILi128ELi4EZNS0_15gpu_kernel_implIZZZNS0_12_GLOBAL__N_137scaled_modified_bessel_k0_kernel_cudaERNS_18TensorIteratorBaseEENKUlvE_clEvENKUlvE0_clEvEUlfE_EEvS5_RKT_EUlibE_EEviT1_,"axG",@progbits,_ZN2at6native32elementwise_kernel_manual_unrollILi128ELi4EZNS0_15gpu_kernel_implIZZZNS0_12_GLOBAL__N_137scaled_modified_bessel_k0_kernel_cudaERNS_18TensorIteratorBaseEENKUlvE_clEvENKUlvE0_clEvEUlfE_EEvS5_RKT_EUlibE_EEviT1_,comdat
.Lfunc_end18:
	.size	_ZN2at6native32elementwise_kernel_manual_unrollILi128ELi4EZNS0_15gpu_kernel_implIZZZNS0_12_GLOBAL__N_137scaled_modified_bessel_k0_kernel_cudaERNS_18TensorIteratorBaseEENKUlvE_clEvENKUlvE0_clEvEUlfE_EEvS5_RKT_EUlibE_EEviT1_, .Lfunc_end18-_ZN2at6native32elementwise_kernel_manual_unrollILi128ELi4EZNS0_15gpu_kernel_implIZZZNS0_12_GLOBAL__N_137scaled_modified_bessel_k0_kernel_cudaERNS_18TensorIteratorBaseEENKUlvE_clEvENKUlvE0_clEvEUlfE_EEvS5_RKT_EUlibE_EEviT1_
                                        ; -- End function
	.set _ZN2at6native32elementwise_kernel_manual_unrollILi128ELi4EZNS0_15gpu_kernel_implIZZZNS0_12_GLOBAL__N_137scaled_modified_bessel_k0_kernel_cudaERNS_18TensorIteratorBaseEENKUlvE_clEvENKUlvE0_clEvEUlfE_EEvS5_RKT_EUlibE_EEviT1_.num_vgpr, 24
	.set _ZN2at6native32elementwise_kernel_manual_unrollILi128ELi4EZNS0_15gpu_kernel_implIZZZNS0_12_GLOBAL__N_137scaled_modified_bessel_k0_kernel_cudaERNS_18TensorIteratorBaseEENKUlvE_clEvENKUlvE0_clEvEUlfE_EEvS5_RKT_EUlibE_EEviT1_.num_agpr, 0
	.set _ZN2at6native32elementwise_kernel_manual_unrollILi128ELi4EZNS0_15gpu_kernel_implIZZZNS0_12_GLOBAL__N_137scaled_modified_bessel_k0_kernel_cudaERNS_18TensorIteratorBaseEENKUlvE_clEvENKUlvE0_clEvEUlfE_EEvS5_RKT_EUlibE_EEviT1_.numbered_sgpr, 26
	.set _ZN2at6native32elementwise_kernel_manual_unrollILi128ELi4EZNS0_15gpu_kernel_implIZZZNS0_12_GLOBAL__N_137scaled_modified_bessel_k0_kernel_cudaERNS_18TensorIteratorBaseEENKUlvE_clEvENKUlvE0_clEvEUlfE_EEvS5_RKT_EUlibE_EEviT1_.num_named_barrier, 0
	.set _ZN2at6native32elementwise_kernel_manual_unrollILi128ELi4EZNS0_15gpu_kernel_implIZZZNS0_12_GLOBAL__N_137scaled_modified_bessel_k0_kernel_cudaERNS_18TensorIteratorBaseEENKUlvE_clEvENKUlvE0_clEvEUlfE_EEvS5_RKT_EUlibE_EEviT1_.private_seg_size, 0
	.set _ZN2at6native32elementwise_kernel_manual_unrollILi128ELi4EZNS0_15gpu_kernel_implIZZZNS0_12_GLOBAL__N_137scaled_modified_bessel_k0_kernel_cudaERNS_18TensorIteratorBaseEENKUlvE_clEvENKUlvE0_clEvEUlfE_EEvS5_RKT_EUlibE_EEviT1_.uses_vcc, 1
	.set _ZN2at6native32elementwise_kernel_manual_unrollILi128ELi4EZNS0_15gpu_kernel_implIZZZNS0_12_GLOBAL__N_137scaled_modified_bessel_k0_kernel_cudaERNS_18TensorIteratorBaseEENKUlvE_clEvENKUlvE0_clEvEUlfE_EEvS5_RKT_EUlibE_EEviT1_.uses_flat_scratch, 0
	.set _ZN2at6native32elementwise_kernel_manual_unrollILi128ELi4EZNS0_15gpu_kernel_implIZZZNS0_12_GLOBAL__N_137scaled_modified_bessel_k0_kernel_cudaERNS_18TensorIteratorBaseEENKUlvE_clEvENKUlvE0_clEvEUlfE_EEvS5_RKT_EUlibE_EEviT1_.has_dyn_sized_stack, 0
	.set _ZN2at6native32elementwise_kernel_manual_unrollILi128ELi4EZNS0_15gpu_kernel_implIZZZNS0_12_GLOBAL__N_137scaled_modified_bessel_k0_kernel_cudaERNS_18TensorIteratorBaseEENKUlvE_clEvENKUlvE0_clEvEUlfE_EEvS5_RKT_EUlibE_EEviT1_.has_recursion, 0
	.set _ZN2at6native32elementwise_kernel_manual_unrollILi128ELi4EZNS0_15gpu_kernel_implIZZZNS0_12_GLOBAL__N_137scaled_modified_bessel_k0_kernel_cudaERNS_18TensorIteratorBaseEENKUlvE_clEvENKUlvE0_clEvEUlfE_EEvS5_RKT_EUlibE_EEviT1_.has_indirect_call, 0
	.section	.AMDGPU.csdata,"",@progbits
; Kernel info:
; codeLenInByte = 53188
; TotalNumSgprs: 28
; NumVgprs: 24
; ScratchSize: 0
; MemoryBound: 1
; FloatMode: 240
; IeeeMode: 1
; LDSByteSize: 0 bytes/workgroup (compile time only)
; SGPRBlocks: 0
; VGPRBlocks: 1
; NumSGPRsForWavesPerEU: 28
; NumVGPRsForWavesPerEU: 24
; NamedBarCnt: 0
; Occupancy: 16
; WaveLimiterHint : 0
; COMPUTE_PGM_RSRC2:SCRATCH_EN: 0
; COMPUTE_PGM_RSRC2:USER_SGPR: 2
; COMPUTE_PGM_RSRC2:TRAP_HANDLER: 0
; COMPUTE_PGM_RSRC2:TGID_X_EN: 1
; COMPUTE_PGM_RSRC2:TGID_Y_EN: 0
; COMPUTE_PGM_RSRC2:TGID_Z_EN: 0
; COMPUTE_PGM_RSRC2:TIDIG_COMP_CNT: 0
	.section	.text._ZN2at6native32elementwise_kernel_manual_unrollILi128ELi4EZNS0_15gpu_kernel_implIZZZNS0_12_GLOBAL__N_137scaled_modified_bessel_k0_kernel_cudaERNS_18TensorIteratorBaseEENKUlvE_clEvENKUlvE0_clEvEUlfE_EEvS5_RKT_EUlibE0_EEviT1_,"axG",@progbits,_ZN2at6native32elementwise_kernel_manual_unrollILi128ELi4EZNS0_15gpu_kernel_implIZZZNS0_12_GLOBAL__N_137scaled_modified_bessel_k0_kernel_cudaERNS_18TensorIteratorBaseEENKUlvE_clEvENKUlvE0_clEvEUlfE_EEvS5_RKT_EUlibE0_EEviT1_,comdat
	.globl	_ZN2at6native32elementwise_kernel_manual_unrollILi128ELi4EZNS0_15gpu_kernel_implIZZZNS0_12_GLOBAL__N_137scaled_modified_bessel_k0_kernel_cudaERNS_18TensorIteratorBaseEENKUlvE_clEvENKUlvE0_clEvEUlfE_EEvS5_RKT_EUlibE0_EEviT1_ ; -- Begin function _ZN2at6native32elementwise_kernel_manual_unrollILi128ELi4EZNS0_15gpu_kernel_implIZZZNS0_12_GLOBAL__N_137scaled_modified_bessel_k0_kernel_cudaERNS_18TensorIteratorBaseEENKUlvE_clEvENKUlvE0_clEvEUlfE_EEvS5_RKT_EUlibE0_EEviT1_
	.p2align	8
	.type	_ZN2at6native32elementwise_kernel_manual_unrollILi128ELi4EZNS0_15gpu_kernel_implIZZZNS0_12_GLOBAL__N_137scaled_modified_bessel_k0_kernel_cudaERNS_18TensorIteratorBaseEENKUlvE_clEvENKUlvE0_clEvEUlfE_EEvS5_RKT_EUlibE0_EEviT1_,@function
_ZN2at6native32elementwise_kernel_manual_unrollILi128ELi4EZNS0_15gpu_kernel_implIZZZNS0_12_GLOBAL__N_137scaled_modified_bessel_k0_kernel_cudaERNS_18TensorIteratorBaseEENKUlvE_clEvENKUlvE0_clEvEUlfE_EEvS5_RKT_EUlibE0_EEviT1_: ; @_ZN2at6native32elementwise_kernel_manual_unrollILi128ELi4EZNS0_15gpu_kernel_implIZZZNS0_12_GLOBAL__N_137scaled_modified_bessel_k0_kernel_cudaERNS_18TensorIteratorBaseEENKUlvE_clEvENKUlvE0_clEvEUlfE_EEvS5_RKT_EUlibE0_EEviT1_
; %bb.0:
	s_clause 0x1
	s_load_b32 s28, s[0:1], 0x8
	s_load_b32 s36, s[0:1], 0x0
	s_bfe_u32 s2, ttmp6, 0x4000c
	s_and_b32 s3, ttmp6, 15
	s_add_co_i32 s2, s2, 1
	s_getreg_b32 s4, hwreg(HW_REG_IB_STS2, 6, 4)
	s_mul_i32 s2, ttmp9, s2
	s_mov_b32 s30, 0
	s_add_co_i32 s3, s3, s2
	s_cmp_eq_u32 s4, 0
	s_mov_b32 s22, -1
	s_cselect_b32 s2, ttmp9, s3
	s_mov_b32 s8, 0
	v_lshl_or_b32 v0, s2, 9, v0
	s_add_nc_u64 s[2:3], s[0:1], 8
	s_wait_xcnt 0x0
	s_mov_b32 s0, exec_lo
	s_delay_alu instid0(VALU_DEP_1) | instskip(SKIP_2) | instid1(SALU_CYCLE_1)
	v_or_b32_e32 v9, 0x180, v0
	s_wait_kmcnt 0x0
	s_add_co_i32 s29, s28, -1
	s_cmp_gt_u32 s29, 1
	s_cselect_b32 s31, -1, 0
	v_cmpx_le_i32_e64 s36, v9
	s_xor_b32 s33, exec_lo, s0
	s_cbranch_execz .LBB19_1128
; %bb.1:
	v_mov_b32_e32 v1, 0
	s_clause 0x3
	s_load_b128 s[12:15], s[2:3], 0x4
	s_load_b64 s[0:1], s[2:3], 0x14
	s_load_b128 s[8:11], s[2:3], 0xc4
	s_load_b128 s[4:7], s[2:3], 0x148
	s_cmp_lg_u32 s28, 0
	s_mov_b32 s17, 0
	s_cselect_b32 s38, -1, 0
	global_load_u16 v1, v1, s[2:3] offset:345
	s_min_u32 s37, s29, 15
	s_cmp_gt_u32 s28, 1
	s_add_nc_u64 s[20:21], s[2:3], 0xc4
	s_cselect_b32 s35, -1, 0
	s_mov_b32 s19, s17
	s_mov_b32 s40, s17
	;; [unrolled: 1-line block ×3, first 2 shown]
	s_mov_b32 s41, exec_lo
	s_wait_kmcnt 0x0
	s_mov_b32 s16, s13
	s_mov_b32 s18, s0
	s_wait_loadcnt 0x0
	v_readfirstlane_b32 s34, v1
	s_and_b32 s13, 0xffff, s34
	s_delay_alu instid0(SALU_CYCLE_1)
	s_lshr_b32 s13, s13, 8
	v_cmpx_gt_i32_e64 s36, v0
	s_cbranch_execz .LBB19_275
; %bb.2:
	s_and_not1_b32 vcc_lo, exec_lo, s31
	s_cbranch_vccnz .LBB19_8
; %bb.3:
	s_and_not1_b32 vcc_lo, exec_lo, s38
	s_cbranch_vccnz .LBB19_9
; %bb.4:
	s_add_co_i32 s0, s37, 1
	s_cmp_eq_u32 s29, 2
	s_cbranch_scc1 .LBB19_10
; %bb.5:
	v_dual_mov_b32 v2, 0 :: v_dual_mov_b32 v4, 0
	v_mov_b32_e32 v1, v0
	s_and_b32 s22, s0, 28
	s_mov_b32 s23, 0
	s_mov_b64 s[24:25], s[2:3]
	s_mov_b64 s[26:27], s[20:21]
.LBB19_6:                               ; =>This Inner Loop Header: Depth=1
	s_clause 0x1
	s_load_b256 s[44:51], s[24:25], 0x4
	s_load_b128 s[60:63], s[24:25], 0x24
	s_load_b256 s[52:59], s[26:27], 0x0
	s_add_co_i32 s23, s23, 4
	s_wait_xcnt 0x0
	s_add_nc_u64 s[24:25], s[24:25], 48
	s_cmp_lg_u32 s22, s23
	s_add_nc_u64 s[26:27], s[26:27], 32
	s_wait_kmcnt 0x0
	v_mul_hi_u32 v3, s45, v1
	s_delay_alu instid0(VALU_DEP_1) | instskip(NEXT) | instid1(VALU_DEP_1)
	v_add_nc_u32_e32 v3, v1, v3
	v_lshrrev_b32_e32 v3, s46, v3
	s_delay_alu instid0(VALU_DEP_1) | instskip(NEXT) | instid1(VALU_DEP_1)
	v_mul_hi_u32 v5, s48, v3
	v_add_nc_u32_e32 v5, v3, v5
	s_delay_alu instid0(VALU_DEP_1) | instskip(NEXT) | instid1(VALU_DEP_1)
	v_lshrrev_b32_e32 v5, s49, v5
	v_mul_hi_u32 v6, s51, v5
	s_delay_alu instid0(VALU_DEP_1) | instskip(SKIP_1) | instid1(VALU_DEP_1)
	v_add_nc_u32_e32 v6, v5, v6
	v_mul_lo_u32 v7, v3, s44
	v_sub_nc_u32_e32 v1, v1, v7
	v_mul_lo_u32 v7, v5, s47
	s_delay_alu instid0(VALU_DEP_4) | instskip(NEXT) | instid1(VALU_DEP_3)
	v_lshrrev_b32_e32 v6, s60, v6
	v_mad_u32 v4, v1, s53, v4
	v_mad_u32 v1, v1, s52, v2
	s_delay_alu instid0(VALU_DEP_4) | instskip(NEXT) | instid1(VALU_DEP_4)
	v_sub_nc_u32_e32 v2, v3, v7
	v_mul_hi_u32 v8, s62, v6
	v_mul_lo_u32 v3, v6, s50
	s_delay_alu instid0(VALU_DEP_3) | instskip(SKIP_1) | instid1(VALU_DEP_3)
	v_mad_u32 v4, v2, s55, v4
	v_mad_u32 v2, v2, s54, v1
	v_dual_add_nc_u32 v7, v6, v8 :: v_dual_sub_nc_u32 v3, v5, v3
	s_delay_alu instid0(VALU_DEP_1) | instskip(NEXT) | instid1(VALU_DEP_2)
	v_lshrrev_b32_e32 v1, s63, v7
	v_mad_u32 v4, v3, s57, v4
	s_delay_alu instid0(VALU_DEP_4) | instskip(NEXT) | instid1(VALU_DEP_3)
	v_mad_u32 v2, v3, s56, v2
	v_mul_lo_u32 v5, v1, s61
	s_delay_alu instid0(VALU_DEP_1) | instskip(NEXT) | instid1(VALU_DEP_1)
	v_sub_nc_u32_e32 v3, v6, v5
	v_mad_u32 v4, v3, s59, v4
	s_delay_alu instid0(VALU_DEP_4)
	v_mad_u32 v2, v3, s58, v2
	s_cbranch_scc1 .LBB19_6
; %bb.7:
	s_delay_alu instid0(VALU_DEP_2)
	v_mov_b32_e32 v3, v4
	s_and_b32 s0, s0, 3
	s_mov_b32 s23, 0
	s_cmp_eq_u32 s0, 0
	s_cbranch_scc0 .LBB19_11
	s_branch .LBB19_14
.LBB19_8:
                                        ; implicit-def: $vgpr4
                                        ; implicit-def: $vgpr2
	s_branch .LBB19_15
.LBB19_9:
	v_dual_mov_b32 v4, 0 :: v_dual_mov_b32 v2, 0
	s_branch .LBB19_14
.LBB19_10:
	v_mov_b64_e32 v[2:3], 0
	v_mov_b32_e32 v1, v0
	s_mov_b32 s22, 0
                                        ; implicit-def: $vgpr4
	s_and_b32 s0, s0, 3
	s_mov_b32 s23, 0
	s_cmp_eq_u32 s0, 0
	s_cbranch_scc1 .LBB19_14
.LBB19_11:
	s_lshl_b32 s24, s22, 3
	s_mov_b32 s25, s23
	s_mul_u64 s[26:27], s[22:23], 12
	s_add_nc_u64 s[24:25], s[2:3], s[24:25]
	s_delay_alu instid0(SALU_CYCLE_1)
	s_add_nc_u64 s[22:23], s[24:25], 0xc4
	s_add_nc_u64 s[24:25], s[2:3], s[26:27]
.LBB19_12:                              ; =>This Inner Loop Header: Depth=1
	s_load_b96 s[44:46], s[24:25], 0x4
	s_load_b64 s[26:27], s[22:23], 0x0
	s_add_co_i32 s0, s0, -1
	s_wait_xcnt 0x0
	s_add_nc_u64 s[24:25], s[24:25], 12
	s_cmp_lg_u32 s0, 0
	s_add_nc_u64 s[22:23], s[22:23], 8
	s_wait_kmcnt 0x0
	v_mul_hi_u32 v4, s45, v1
	s_delay_alu instid0(VALU_DEP_1) | instskip(NEXT) | instid1(VALU_DEP_1)
	v_add_nc_u32_e32 v4, v1, v4
	v_lshrrev_b32_e32 v4, s46, v4
	s_delay_alu instid0(VALU_DEP_1) | instskip(NEXT) | instid1(VALU_DEP_1)
	v_mul_lo_u32 v5, v4, s44
	v_sub_nc_u32_e32 v1, v1, v5
	s_delay_alu instid0(VALU_DEP_1)
	v_mad_u32 v3, v1, s27, v3
	v_mad_u32 v2, v1, s26, v2
	v_mov_b32_e32 v1, v4
	s_cbranch_scc1 .LBB19_12
; %bb.13:
	s_delay_alu instid0(VALU_DEP_3)
	v_mov_b32_e32 v4, v3
.LBB19_14:
	s_cbranch_execnz .LBB19_17
.LBB19_15:
	v_mov_b32_e32 v1, 0
	s_and_not1_b32 vcc_lo, exec_lo, s35
	s_delay_alu instid0(VALU_DEP_1) | instskip(NEXT) | instid1(VALU_DEP_1)
	v_mul_u64_e32 v[2:3], s[16:17], v[0:1]
	v_add_nc_u32_e32 v2, v0, v3
	s_delay_alu instid0(VALU_DEP_1) | instskip(NEXT) | instid1(VALU_DEP_1)
	v_lshrrev_b32_e32 v6, s14, v2
	v_mul_lo_u32 v2, v6, s12
	s_delay_alu instid0(VALU_DEP_1) | instskip(NEXT) | instid1(VALU_DEP_1)
	v_sub_nc_u32_e32 v2, v0, v2
	v_mul_lo_u32 v4, v2, s9
	v_mul_lo_u32 v2, v2, s8
	s_cbranch_vccnz .LBB19_17
; %bb.16:
	v_mov_b32_e32 v7, v1
	s_delay_alu instid0(VALU_DEP_1) | instskip(NEXT) | instid1(VALU_DEP_1)
	v_mul_u64_e32 v[8:9], s[18:19], v[6:7]
	v_add_nc_u32_e32 v1, v6, v9
	s_delay_alu instid0(VALU_DEP_1) | instskip(NEXT) | instid1(VALU_DEP_1)
	v_lshrrev_b32_e32 v1, s1, v1
	v_mul_lo_u32 v1, v1, s15
	s_delay_alu instid0(VALU_DEP_1) | instskip(NEXT) | instid1(VALU_DEP_1)
	v_sub_nc_u32_e32 v1, v6, v1
	v_mad_u32 v2, v1, s10, v2
	v_mad_u32 v4, v1, s11, v4
.LBB19_17:
	v_mov_b32_e32 v5, 0
	s_and_b32 s0, 0xffff, s13
	s_delay_alu instid0(SALU_CYCLE_1) | instskip(NEXT) | instid1(VALU_DEP_1)
	s_cmp_lt_i32 s0, 11
	v_add_nc_u64_e32 v[4:5], s[6:7], v[4:5]
	s_cbranch_scc1 .LBB19_24
; %bb.18:
	s_cmp_gt_i32 s0, 25
	s_cbranch_scc0 .LBB19_41
; %bb.19:
	s_cmp_gt_i32 s0, 28
	s_cbranch_scc0 .LBB19_44
	;; [unrolled: 3-line block ×4, first 2 shown]
; %bb.22:
	s_cmp_eq_u32 s0, 46
	s_mov_b32 s24, 0
	s_cbranch_scc0 .LBB19_50
; %bb.23:
	global_load_b32 v1, v[4:5], off
	s_mov_b32 s23, -1
	s_mov_b32 s22, 0
	s_wait_loadcnt 0x0
	v_lshlrev_b32_e32 v6, 16, v1
	s_branch .LBB19_52
.LBB19_24:
	s_mov_b32 s22, 0
	s_mov_b32 s23, 0
                                        ; implicit-def: $vgpr6
	s_cbranch_execnz .LBB19_225
.LBB19_25:
	s_and_not1_b32 vcc_lo, exec_lo, s23
	s_cbranch_vccnz .LBB19_272
.LBB19_26:
	s_wait_xcnt 0x0
	v_mov_b32_e32 v4, 0x7f800000
	s_mov_b32 s23, exec_lo
	s_wait_loadcnt 0x0
	s_delay_alu instid0(VALU_DEP_2)
	v_cmpx_neq_f32_e32 0, v6
	s_cbranch_execz .LBB19_34
; %bb.27:
	v_mov_b32_e32 v4, 0x7fc00000
	s_mov_b32 s24, exec_lo
	v_cmpx_ngt_f32_e32 0, v6
	s_cbranch_execz .LBB19_33
; %bb.28:
                                        ; implicit-def: $vgpr4
	s_mov_b32 s0, exec_lo
	v_cmpx_ge_f32_e32 2.0, v6
	s_xor_b32 s25, exec_lo, s0
	s_cbranch_execz .LBB19_30
; %bb.29:
	v_mov_b32_e32 v7, 0.5
	s_mov_b32 s0, 0xa2a2e5b9
	v_mov_b64_e32 v[10:11], 0x3ad6e3ac293fd856
	v_mov_b64_e32 v[14:15], 0xbb8db2f12d3612e2
	;; [unrolled: 1-line block ×3, first 2 shown]
	v_pk_fma_f32 v[4:5], v[6:7], v[6:7], -2.0 op_sel_hi:[0,1,0]
	s_delay_alu instid0(VALU_DEP_1) | instskip(NEXT) | instid1(VALU_DEP_2)
	v_fmaak_f32 v1, s0, v5, 0x24199b15
	v_mul_f32_e32 v12, 0x251e770f, v4
	s_mov_b32 s0, 0xa51e770f
	s_delay_alu instid0(VALU_DEP_2) | instskip(NEXT) | instid1(VALU_DEP_1)
	v_fmaak_f32 v3, v5, v1, 0x22a2e5b9
	v_add_f32_e32 v3, 0xa58c275c, v3
	s_delay_alu instid0(VALU_DEP_1) | instskip(SKIP_1) | instid1(VALU_DEP_2)
	v_fma_f32 v1, v5, v3, -v1
	v_pk_mul_f32 v[16:17], v[6:7], v[6:7] op_sel_hi:[0,1]
	v_add_f32_e32 v1, 0x26f736c5, v1
	s_delay_alu instid0(VALU_DEP_2) | instskip(NEXT) | instid1(VALU_DEP_2)
	v_cmp_gt_f32_e32 vcc_lo, 0x800000, v17
	v_fma_f32 v3, v5, v1, -v3
	s_delay_alu instid0(VALU_DEP_1) | instskip(NEXT) | instid1(VALU_DEP_1)
	v_add_f32_e32 v3, 0xa8528116, v3
	v_fma_f32 v1, v5, v3, -v1
	s_delay_alu instid0(VALU_DEP_1) | instskip(NEXT) | instid1(VALU_DEP_1)
	v_add_f32_e32 v1, 0x29acda32, v1
	;; [unrolled: 3-line block ×17, first 2 shown]
	v_fma_f32 v13, v5, v9, -v1
	v_mul_f32_e32 v1, 0x3fb8aa3b, v6
	s_delay_alu instid0(VALU_DEP_2) | instskip(NEXT) | instid1(VALU_DEP_2)
	v_pk_add_f32 v[10:11], v[12:13], v[10:11]
	v_rndne_f32_e32 v3, v1
	v_mov_b32_e32 v8, 0xa51e770f
	v_mov_b64_e32 v[12:13], s[0:1]
	v_cmp_ngt_f32_e64 s0, 0xc2ce8ed0, v6
	s_delay_alu instid0(VALU_DEP_3) | instskip(NEXT) | instid1(VALU_DEP_3)
	v_pk_fma_f32 v[8:9], v[4:5], v[10:11], v[8:9] neg_lo:[0,0,1] neg_hi:[0,0,1]
	v_pk_fma_f32 v[12:13], v[4:5], v[10:11], v[12:13]
	s_delay_alu instid0(VALU_DEP_2) | instskip(NEXT) | instid1(VALU_DEP_1)
	v_mov_b32_e32 v13, v9
	v_pk_add_f32 v[8:9], v[12:13], v[14:15]
	v_mov_b64_e32 v[12:13], 0x3c2ccb103102e09b
	v_mov_b64_e32 v[14:15], 0xc000000037bfc808
	s_delay_alu instid0(VALU_DEP_3) | instskip(NEXT) | instid1(VALU_DEP_1)
	v_pk_fma_f32 v[10:11], v[4:5], v[8:9], v[10:11] neg_lo:[0,0,1] neg_hi:[0,0,1]
	v_pk_add_f32 v[10:11], v[10:11], v[12:13]
	v_mov_b64_e32 v[12:13], 0xbcc274f8348815e7
	s_delay_alu instid0(VALU_DEP_2) | instskip(NEXT) | instid1(VALU_DEP_1)
	v_pk_fma_f32 v[8:9], v[4:5], v[10:11], v[8:9] neg_lo:[0,0,1] neg_hi:[0,0,1]
	v_pk_add_f32 v[8:9], v[8:9], v[12:13]
	v_mov_b64_e32 v[12:13], 0x3d49f45637bfc808
	s_delay_alu instid0(VALU_DEP_2) | instskip(NEXT) | instid1(VALU_DEP_1)
	v_pk_fma_f32 v[10:11], v[4:5], v[8:9], v[10:11] neg_lo:[0,0,1] neg_hi:[0,0,1]
	v_mov_b32_e32 v16, v10
	s_delay_alu instid0(VALU_DEP_2) | instskip(SKIP_1) | instid1(VALU_DEP_3)
	v_pk_add_f32 v[10:11], v[10:11], v[12:13]
	v_mov_b32_e32 v12, v4
	v_pk_add_f32 v[14:15], v[16:17], v[14:15]
	s_delay_alu instid0(VALU_DEP_3) | instskip(NEXT) | instid1(VALU_DEP_1)
	v_mov_b32_e32 v13, v11
	v_pk_fma_f32 v[8:9], v[14:15], v[12:13], v[8:9] neg_lo:[0,0,1] neg_hi:[0,0,1]
	v_mov_b64_e32 v[12:13], 0x3e2fbd643d135fb3
	v_cndmask_b32_e64 v15, 0, 32, vcc_lo
	v_fma_f32 v14, 0x3fb8aa3b, v6, -v1
	v_sub_f32_e32 v1, v1, v3
	v_pk_add_f32 v[8:9], v[8:9], v[18:19]
	v_cvt_i32_f32_e32 v3, v3
	s_delay_alu instid0(VALU_DEP_4) | instskip(NEXT) | instid1(VALU_DEP_3)
	v_fmamk_f32 v14, v6, 0x32a5705f, v14
	v_pk_fma_f32 v[10:11], v[4:5], v[8:9], v[10:11] neg_lo:[0,0,1] neg_hi:[0,0,1]
	s_delay_alu instid0(VALU_DEP_1) | instskip(SKIP_1) | instid1(VALU_DEP_2)
	v_pk_add_f32 v[10:11], v[10:11], v[12:13]
	v_ldexp_f32 v12, v17, v15
	v_pk_fma_f32 v[8:9], v[4:5], v[10:11], v[8:9] neg_lo:[0,0,1] neg_hi:[0,0,1]
	s_delay_alu instid0(VALU_DEP_2) | instskip(SKIP_1) | instid1(VALU_DEP_2)
	v_log_f32_e32 v16, v12
	v_add_f32_e32 v1, v1, v14
	v_add_f32_e32 v9, 0xbe9bff5e, v9
	s_delay_alu instid0(VALU_DEP_3) | instskip(NEXT) | instid1(TRANS32_DEP_1)
	v_add_f32_e32 v8, 0x3eb046c4, v8
	v_mul_f32_e32 v12, 0x3f317217, v16
	s_delay_alu instid0(VALU_DEP_4) | instskip(NEXT) | instid1(VALU_DEP_2)
	v_exp_f32_e32 v1, v1
	v_dual_fma_f32 v5, v5, v9, -v11 :: v_dual_mul_f32 v4, v4, v8
	v_mov_b32_e32 v8, 0xbf090b37
	s_delay_alu instid0(VALU_DEP_2) | instskip(NEXT) | instid1(TRANS32_DEP_1)
	v_add_f32_e32 v5, 0x3f2d4275, v5
	v_ldexp_f32 v1, v1, v3
	v_fma_f32 v3, 0x3f317217, v16, -v12
	v_mov_b32_e32 v12, v10
	s_delay_alu instid0(VALU_DEP_4) | instskip(NEXT) | instid1(VALU_DEP_4)
	v_pk_add_f32 v[4:5], v[4:5], v[10:11] neg_lo:[0,1] neg_hi:[0,1]
	v_cndmask_b32_e64 v1, 0, v1, s0
	s_delay_alu instid0(VALU_DEP_4) | instskip(SKIP_1) | instid1(VALU_DEP_4)
	v_fmamk_f32 v3, v16, 0x3377d1cf, v3
	v_cmp_nlt_f32_e64 s0, 0x42b17218, v6
	v_pk_mul_f32 v[14:15], v[4:5], v[6:7]
	v_pk_add_f32 v[4:5], v[4:5], v[8:9]
	s_delay_alu instid0(VALU_DEP_4) | instskip(NEXT) | instid1(VALU_DEP_4)
	v_fmac_f32_e32 v3, 0x3f317217, v16
	v_cndmask_b32_e64 v13, 0x7f800000, v1, s0
	v_cndmask_b32_e64 v1, 0, 0x41b17218, vcc_lo
	v_cmp_gt_f32_e64 vcc_lo, 0x7f800000, |v16|
	v_pk_add_f32 v[4:5], v[4:5], v[10:11] neg_lo:[0,1] neg_hi:[0,1]
                                        ; implicit-def: $vgpr6
	s_delay_alu instid0(VALU_DEP_4) | instskip(SKIP_1) | instid1(VALU_DEP_1)
	v_pk_mul_f32 v[8:9], v[14:15], v[12:13]
	v_dual_mov_b32 v14, v7 :: v_dual_cndmask_b32 v3, v16, v3
	v_dual_mov_b32 v5, v9 :: v_dual_sub_f32 v15, v3, v1
	s_delay_alu instid0(VALU_DEP_1) | instskip(NEXT) | instid1(VALU_DEP_1)
	v_pk_mul_f32 v[4:5], v[14:15], v[4:5]
	v_sub_f32_e32 v1, v4, v5
	s_delay_alu instid0(VALU_DEP_1)
	v_mul_f32_e32 v4, v13, v1
.LBB19_30:
	s_and_not1_saveexec_b32 s25, s25
	s_cbranch_execz .LBB19_32
; %bb.31:
	v_div_scale_f32 v1, null, v6, v6, 0x41000000
	v_div_scale_f32 v5, vcc_lo, 0x41000000, v6, 0x41000000
	s_mov_b32 s0, 0x22c38d2e
	v_rcp_f32_e32 v3, v1
	v_nop
	s_delay_alu instid0(TRANS32_DEP_1) | instskip(NEXT) | instid1(VALU_DEP_1)
	v_fma_f32 v4, -v1, v3, 1.0
	v_fmac_f32_e32 v3, v4, v3
	s_delay_alu instid0(VALU_DEP_1) | instskip(NEXT) | instid1(VALU_DEP_1)
	v_mul_f32_e32 v4, v5, v3
	v_fma_f32 v7, -v1, v4, v5
	s_delay_alu instid0(VALU_DEP_1) | instskip(NEXT) | instid1(VALU_DEP_1)
	v_fmac_f32_e32 v4, v7, v3
	v_fma_f32 v1, -v1, v4, v5
	v_mul_f32_e32 v5, 0x4f800000, v6
	s_delay_alu instid0(VALU_DEP_2) | instskip(SKIP_1) | instid1(VALU_DEP_2)
	v_div_fmas_f32 v1, v1, v3, v4
	v_cmp_gt_f32_e32 vcc_lo, 0xf800000, v6
	v_div_fixup_f32 v1, v1, v6, 0x41000000
	s_delay_alu instid0(VALU_DEP_4) | instskip(NEXT) | instid1(VALU_DEP_2)
	v_cndmask_b32_e32 v5, v6, v5, vcc_lo
	v_add_f32_e32 v1, -2.0, v1
	s_delay_alu instid0(VALU_DEP_2) | instskip(SKIP_1) | instid1(TRANS32_DEP_1)
	v_sqrt_f32_e32 v6, v5
	v_nop
	v_dual_fmaak_f32 v3, s0, v1, 0xa397f665 :: v_dual_add_nc_u32 v8, 1, v6
	s_delay_alu instid0(VALU_DEP_1) | instskip(NEXT) | instid1(VALU_DEP_1)
	v_dual_fmaak_f32 v4, v1, v3, 0xa2c38d2e :: v_dual_add_nc_u32 v7, -1, v6
	v_fma_f32 v9, -v7, v6, v5
	s_delay_alu instid0(VALU_DEP_1) | instskip(NEXT) | instid1(VALU_DEP_1)
	v_cmp_ge_f32_e64 s0, 0, v9
	v_dual_fma_f32 v10, -v8, v6, v5 :: v_dual_cndmask_b32 v6, v6, v7, s0
	s_delay_alu instid0(VALU_DEP_1) | instskip(NEXT) | instid1(VALU_DEP_1)
	v_cmp_lt_f32_e64 s0, 0, v10
	v_cndmask_b32_e64 v6, v6, v8, s0
	v_add_f32_e32 v4, 0x24704972, v4
	s_delay_alu instid0(VALU_DEP_1) | instskip(NEXT) | instid1(VALU_DEP_1)
	v_fma_f32 v3, v1, v4, -v3
	v_add_f32_e32 v3, 0xa5417ca4, v3
	s_delay_alu instid0(VALU_DEP_1) | instskip(NEXT) | instid1(VALU_DEP_1)
	v_fma_f32 v4, v1, v3, -v4
	;; [unrolled: 3-line block ×21, first 2 shown]
	v_add_f32_e32 v3, 0xbd00cfb9, v3
	s_delay_alu instid0(VALU_DEP_1) | instskip(SKIP_1) | instid1(VALU_DEP_2)
	v_fma_f32 v1, v1, v3, -v4
	v_mul_f32_e32 v3, 0x37800000, v6
	v_add_f32_e32 v1, 0x401c2ded, v1
	s_delay_alu instid0(VALU_DEP_2) | instskip(SKIP_1) | instid1(VALU_DEP_1)
	v_cndmask_b32_e32 v3, v6, v3, vcc_lo
	v_cmp_class_f32_e64 vcc_lo, v5, 0x260
	v_dual_sub_f32 v1, v1, v4 :: v_dual_cndmask_b32 v3, v3, v5, vcc_lo
	s_delay_alu instid0(VALU_DEP_1) | instskip(NEXT) | instid1(VALU_DEP_1)
	v_mul_f32_e32 v1, 0.5, v1
	v_div_scale_f32 v4, null, v3, v3, v1
	s_delay_alu instid0(VALU_DEP_1) | instskip(SKIP_1) | instid1(TRANS32_DEP_1)
	v_rcp_f32_e32 v5, v4
	v_nop
	v_fma_f32 v6, -v4, v5, 1.0
	s_delay_alu instid0(VALU_DEP_1) | instskip(SKIP_1) | instid1(VALU_DEP_1)
	v_fmac_f32_e32 v5, v6, v5
	v_div_scale_f32 v6, vcc_lo, v1, v3, v1
	v_mul_f32_e32 v7, v6, v5
	s_delay_alu instid0(VALU_DEP_1) | instskip(NEXT) | instid1(VALU_DEP_1)
	v_fma_f32 v8, -v4, v7, v6
	v_fmac_f32_e32 v7, v8, v5
	s_delay_alu instid0(VALU_DEP_1) | instskip(NEXT) | instid1(VALU_DEP_1)
	v_fma_f32 v4, -v4, v7, v6
	v_div_fmas_f32 v4, v4, v5, v7
	s_delay_alu instid0(VALU_DEP_1)
	v_div_fixup_f32 v4, v4, v3, v1
.LBB19_32:
	s_or_b32 exec_lo, exec_lo, s25
.LBB19_33:
	s_delay_alu instid0(SALU_CYCLE_1)
	s_or_b32 exec_lo, exec_lo, s24
.LBB19_34:
	s_delay_alu instid0(SALU_CYCLE_1) | instskip(SKIP_2) | instid1(SALU_CYCLE_1)
	s_or_b32 exec_lo, exec_lo, s23
	v_mov_b32_e32 v3, 0
	s_and_b32 s23, s34, 0xff
	s_cmp_lt_i32 s23, 11
	s_delay_alu instid0(VALU_DEP_1)
	v_add_nc_u64_e32 v[2:3], s[4:5], v[2:3]
	s_cbranch_scc1 .LBB19_42
; %bb.35:
	s_and_b32 s24, 0xffff, s23
	s_delay_alu instid0(SALU_CYCLE_1)
	s_cmp_gt_i32 s24, 25
	s_cbranch_scc0 .LBB19_45
; %bb.36:
	s_cmp_gt_i32 s24, 28
	s_cbranch_scc0 .LBB19_47
; %bb.37:
	;; [unrolled: 3-line block ×4, first 2 shown]
	s_mov_b32 s26, 0
	s_mov_b32 s0, -1
	s_cmp_eq_u32 s24, 46
	s_mov_b32 s25, 0
	s_cbranch_scc0 .LBB19_56
; %bb.40:
	v_bfe_u32 v1, v4, 16, 1
	v_cmp_o_f32_e32 vcc_lo, v4, v4
	s_mov_b32 s25, -1
	s_mov_b32 s0, 0
	s_delay_alu instid0(VALU_DEP_2) | instskip(NEXT) | instid1(VALU_DEP_1)
	v_add3_u32 v1, v4, v1, 0x7fff
	v_lshrrev_b32_e32 v1, 16, v1
	s_delay_alu instid0(VALU_DEP_1)
	v_cndmask_b32_e32 v1, 0x7fc0, v1, vcc_lo
	global_store_b32 v[2:3], v1, off
	s_branch .LBB19_56
.LBB19_41:
	s_mov_b32 s22, 0
	s_mov_b32 s23, 0
                                        ; implicit-def: $vgpr6
	s_cbranch_execnz .LBB19_190
	s_branch .LBB19_224
.LBB19_42:
	s_mov_b32 s0, 0
	s_mov_b32 s25, 0
	s_cbranch_execnz .LBB19_125
.LBB19_43:
	s_and_not1_b32 vcc_lo, exec_lo, s25
	s_cbranch_vccz .LBB19_163
	s_branch .LBB19_273
.LBB19_44:
	s_mov_b32 s24, -1
	s_mov_b32 s22, 0
	s_mov_b32 s23, 0
                                        ; implicit-def: $vgpr6
	s_branch .LBB19_171
.LBB19_45:
	s_mov_b32 s26, -1
	s_mov_b32 s0, 0
	s_mov_b32 s25, 0
	s_branch .LBB19_83
.LBB19_46:
	s_mov_b32 s24, -1
	s_mov_b32 s22, 0
	s_mov_b32 s23, 0
                                        ; implicit-def: $vgpr6
	s_branch .LBB19_166
.LBB19_47:
	s_mov_b32 s26, -1
	s_mov_b32 s0, 0
	s_mov_b32 s25, 0
	s_branch .LBB19_66
.LBB19_48:
	s_mov_b32 s24, -1
	s_mov_b32 s22, 0
	s_branch .LBB19_51
.LBB19_49:
	s_mov_b32 s26, -1
	s_mov_b32 s0, 0
	s_mov_b32 s25, 0
	s_branch .LBB19_62
.LBB19_50:
	s_mov_b32 s22, -1
.LBB19_51:
	s_mov_b32 s23, 0
                                        ; implicit-def: $vgpr6
.LBB19_52:
	s_and_b32 vcc_lo, exec_lo, s24
	s_cbranch_vccz .LBB19_165
; %bb.53:
	s_cmp_eq_u32 s0, 44
	s_cbranch_scc0 .LBB19_164
; %bb.54:
	global_load_u8 v1, v[4:5], off
	s_mov_b32 s22, 0
	s_mov_b32 s23, -1
	s_wait_loadcnt 0x0
	v_lshlrev_b32_e32 v3, 23, v1
	v_cmp_ne_u32_e32 vcc_lo, 0xff, v1
	s_delay_alu instid0(VALU_DEP_2) | instskip(SKIP_1) | instid1(VALU_DEP_2)
	v_cndmask_b32_e32 v3, 0x7f800001, v3, vcc_lo
	v_cmp_ne_u32_e32 vcc_lo, 0, v1
	v_cndmask_b32_e32 v6, 0x400000, v3, vcc_lo
	s_branch .LBB19_165
.LBB19_55:
	s_mov_b32 s26, -1
	s_mov_b32 s0, 0
	s_mov_b32 s25, 0
.LBB19_56:
	s_and_b32 vcc_lo, exec_lo, s26
	s_cbranch_vccz .LBB19_61
; %bb.57:
	s_cmp_eq_u32 s24, 44
	s_mov_b32 s0, -1
	s_cbranch_scc0 .LBB19_61
; %bb.58:
	v_bfe_u32 v5, v4, 23, 8
	s_wait_xcnt 0x0
	v_mov_b32_e32 v1, 0xff
	s_mov_b32 s25, exec_lo
	s_delay_alu instid0(VALU_DEP_2)
	v_cmpx_ne_u32_e32 0xff, v5
	s_cbranch_execz .LBB19_60
; %bb.59:
	v_and_b32_e32 v1, 0x400000, v4
	v_and_or_b32 v5, 0x3fffff, v4, v5
	s_delay_alu instid0(VALU_DEP_2) | instskip(NEXT) | instid1(VALU_DEP_2)
	v_cmp_ne_u32_e32 vcc_lo, 0, v1
	v_cmp_ne_u32_e64 s0, 0, v5
	v_lshrrev_b32_e32 v1, 23, v4
	s_and_b32 s0, vcc_lo, s0
	s_delay_alu instid0(SALU_CYCLE_1) | instskip(NEXT) | instid1(VALU_DEP_1)
	v_cndmask_b32_e64 v5, 0, 1, s0
	v_add_nc_u32_e32 v1, v1, v5
.LBB19_60:
	s_or_b32 exec_lo, exec_lo, s25
	s_mov_b32 s25, -1
	s_mov_b32 s0, 0
	global_store_b8 v[2:3], v1, off
.LBB19_61:
	s_mov_b32 s26, 0
.LBB19_62:
	s_delay_alu instid0(SALU_CYCLE_1)
	s_and_b32 vcc_lo, exec_lo, s26
	s_cbranch_vccz .LBB19_65
; %bb.63:
	s_cmp_eq_u32 s24, 29
	s_mov_b32 s0, -1
	s_cbranch_scc0 .LBB19_65
; %bb.64:
	s_wait_xcnt 0x0
	v_trunc_f32_e32 v1, v4
	s_mov_b32 s25, -1
	s_mov_b32 s0, 0
	s_mov_b32 s26, 0
	s_delay_alu instid0(VALU_DEP_1) | instskip(NEXT) | instid1(VALU_DEP_1)
	v_mul_f32_e32 v5, 0x2f800000, v1
	v_floor_f32_e32 v5, v5
	s_delay_alu instid0(VALU_DEP_1) | instskip(SKIP_1) | instid1(VALU_DEP_2)
	v_fmamk_f32 v1, v5, 0xcf800000, v1
	v_cvt_u32_f32_e32 v7, v5
	v_cvt_u32_f32_e32 v6, v1
	global_store_b64 v[2:3], v[6:7], off
	s_branch .LBB19_66
.LBB19_65:
	s_mov_b32 s26, 0
.LBB19_66:
	s_delay_alu instid0(SALU_CYCLE_1)
	s_and_b32 vcc_lo, exec_lo, s26
	s_cbranch_vccz .LBB19_82
; %bb.67:
	s_cmp_lt_i32 s24, 27
	s_mov_b32 s25, -1
	s_cbranch_scc1 .LBB19_73
; %bb.68:
	s_wait_xcnt 0x0
	v_cvt_u32_f32_e32 v1, v4
	s_cmp_gt_i32 s24, 27
	s_cbranch_scc0 .LBB19_70
; %bb.69:
	s_mov_b32 s25, 0
	global_store_b32 v[2:3], v1, off
.LBB19_70:
	s_and_not1_b32 vcc_lo, exec_lo, s25
	s_cbranch_vccnz .LBB19_72
; %bb.71:
	global_store_b16 v[2:3], v1, off
.LBB19_72:
	s_mov_b32 s25, 0
.LBB19_73:
	s_delay_alu instid0(SALU_CYCLE_1)
	s_and_not1_b32 vcc_lo, exec_lo, s25
	s_cbranch_vccnz .LBB19_81
; %bb.74:
	s_wait_xcnt 0x0
	v_and_b32_e32 v1, 0x7fffffff, v4
	v_mov_b32_e32 v5, 0x80
	s_mov_b32 s25, exec_lo
	s_delay_alu instid0(VALU_DEP_2)
	v_cmpx_gt_u32_e32 0x43800000, v1
	s_cbranch_execz .LBB19_80
; %bb.75:
	v_cmp_lt_u32_e32 vcc_lo, 0x3bffffff, v1
	s_mov_b32 s26, 0
                                        ; implicit-def: $vgpr1
	s_and_saveexec_b32 s27, vcc_lo
	s_delay_alu instid0(SALU_CYCLE_1)
	s_xor_b32 s27, exec_lo, s27
	s_cbranch_execz .LBB19_326
; %bb.76:
	v_bfe_u32 v1, v4, 20, 1
	s_mov_b32 s26, exec_lo
	s_delay_alu instid0(VALU_DEP_1) | instskip(NEXT) | instid1(VALU_DEP_1)
	v_add3_u32 v1, v4, v1, 0x487ffff
	v_lshrrev_b32_e32 v1, 20, v1
	s_and_not1_saveexec_b32 s27, s27
	s_cbranch_execnz .LBB19_327
.LBB19_77:
	s_or_b32 exec_lo, exec_lo, s27
	v_mov_b32_e32 v5, 0
	s_and_saveexec_b32 s27, s26
.LBB19_78:
	v_lshrrev_b32_e32 v5, 24, v4
	s_delay_alu instid0(VALU_DEP_1)
	v_and_or_b32 v5, 0x80, v5, v1
.LBB19_79:
	s_or_b32 exec_lo, exec_lo, s27
.LBB19_80:
	s_delay_alu instid0(SALU_CYCLE_1)
	s_or_b32 exec_lo, exec_lo, s25
	global_store_b8 v[2:3], v5, off
.LBB19_81:
	s_mov_b32 s25, -1
.LBB19_82:
	s_mov_b32 s26, 0
.LBB19_83:
	s_delay_alu instid0(SALU_CYCLE_1)
	s_and_b32 vcc_lo, exec_lo, s26
	s_cbranch_vccz .LBB19_124
; %bb.84:
	s_cmp_gt_i32 s24, 22
	s_mov_b32 s26, -1
	s_cbranch_scc0 .LBB19_116
; %bb.85:
	s_cmp_lt_i32 s24, 24
	s_mov_b32 s25, -1
	s_cbranch_scc1 .LBB19_105
; %bb.86:
	s_cmp_gt_i32 s24, 24
	s_cbranch_scc0 .LBB19_94
; %bb.87:
	s_wait_xcnt 0x0
	v_and_b32_e32 v1, 0x7fffffff, v4
	v_mov_b32_e32 v5, 0x80
	s_mov_b32 s25, exec_lo
	s_delay_alu instid0(VALU_DEP_2)
	v_cmpx_gt_u32_e32 0x47800000, v1
	s_cbranch_execz .LBB19_93
; %bb.88:
	v_cmp_lt_u32_e32 vcc_lo, 0x37ffffff, v1
	s_mov_b32 s26, 0
                                        ; implicit-def: $vgpr1
	s_and_saveexec_b32 s27, vcc_lo
	s_delay_alu instid0(SALU_CYCLE_1)
	s_xor_b32 s27, exec_lo, s27
	s_cbranch_execz .LBB19_330
; %bb.89:
	v_bfe_u32 v1, v4, 21, 1
	s_mov_b32 s26, exec_lo
	s_delay_alu instid0(VALU_DEP_1) | instskip(NEXT) | instid1(VALU_DEP_1)
	v_add3_u32 v1, v4, v1, 0x88fffff
	v_lshrrev_b32_e32 v1, 21, v1
	s_and_not1_saveexec_b32 s27, s27
	s_cbranch_execnz .LBB19_331
.LBB19_90:
	s_or_b32 exec_lo, exec_lo, s27
	v_mov_b32_e32 v5, 0
	s_and_saveexec_b32 s27, s26
.LBB19_91:
	v_lshrrev_b32_e32 v5, 24, v4
	s_delay_alu instid0(VALU_DEP_1)
	v_and_or_b32 v5, 0x80, v5, v1
.LBB19_92:
	s_or_b32 exec_lo, exec_lo, s27
.LBB19_93:
	s_delay_alu instid0(SALU_CYCLE_1)
	s_or_b32 exec_lo, exec_lo, s25
	s_mov_b32 s25, 0
	global_store_b8 v[2:3], v5, off
.LBB19_94:
	s_and_b32 vcc_lo, exec_lo, s25
	s_cbranch_vccz .LBB19_104
; %bb.95:
	s_wait_xcnt 0x0
	v_and_b32_e32 v5, 0x7fffffff, v4
	s_mov_b32 s25, exec_lo
                                        ; implicit-def: $vgpr1
	s_delay_alu instid0(VALU_DEP_1)
	v_cmpx_gt_u32_e32 0x43f00000, v5
	s_xor_b32 s25, exec_lo, s25
	s_cbranch_execz .LBB19_101
; %bb.96:
	s_mov_b32 s26, exec_lo
                                        ; implicit-def: $vgpr1
	v_cmpx_lt_u32_e32 0x3c7fffff, v5
	s_xor_b32 s26, exec_lo, s26
; %bb.97:
	v_bfe_u32 v1, v4, 20, 1
	s_delay_alu instid0(VALU_DEP_1) | instskip(NEXT) | instid1(VALU_DEP_1)
	v_add3_u32 v1, v4, v1, 0x407ffff
	v_and_b32_e32 v5, 0xff00000, v1
	v_lshrrev_b32_e32 v1, 20, v1
	s_delay_alu instid0(VALU_DEP_2) | instskip(NEXT) | instid1(VALU_DEP_2)
	v_cmp_ne_u32_e32 vcc_lo, 0x7f00000, v5
	v_cndmask_b32_e32 v1, 0x7e, v1, vcc_lo
; %bb.98:
	s_and_not1_saveexec_b32 s26, s26
; %bb.99:
	v_add_f32_e64 v1, 0x46800000, |v4|
; %bb.100:
	s_or_b32 exec_lo, exec_lo, s26
                                        ; implicit-def: $vgpr5
.LBB19_101:
	s_and_not1_saveexec_b32 s25, s25
; %bb.102:
	v_mov_b32_e32 v1, 0x7f
	v_cmp_lt_u32_e32 vcc_lo, 0x7f800000, v5
	s_delay_alu instid0(VALU_DEP_2)
	v_cndmask_b32_e32 v1, 0x7e, v1, vcc_lo
; %bb.103:
	s_or_b32 exec_lo, exec_lo, s25
	v_lshrrev_b32_e32 v5, 24, v4
	s_delay_alu instid0(VALU_DEP_1)
	v_and_or_b32 v1, 0x80, v5, v1
	global_store_b8 v[2:3], v1, off
.LBB19_104:
	s_mov_b32 s25, 0
.LBB19_105:
	s_delay_alu instid0(SALU_CYCLE_1)
	s_and_not1_b32 vcc_lo, exec_lo, s25
	s_cbranch_vccnz .LBB19_115
; %bb.106:
	s_wait_xcnt 0x0
	v_and_b32_e32 v5, 0x7fffffff, v4
	s_mov_b32 s25, exec_lo
                                        ; implicit-def: $vgpr1
	s_delay_alu instid0(VALU_DEP_1)
	v_cmpx_gt_u32_e32 0x47800000, v5
	s_xor_b32 s25, exec_lo, s25
	s_cbranch_execz .LBB19_112
; %bb.107:
	s_mov_b32 s26, exec_lo
                                        ; implicit-def: $vgpr1
	v_cmpx_lt_u32_e32 0x387fffff, v5
	s_xor_b32 s26, exec_lo, s26
; %bb.108:
	v_bfe_u32 v1, v4, 21, 1
	s_delay_alu instid0(VALU_DEP_1) | instskip(NEXT) | instid1(VALU_DEP_1)
	v_add3_u32 v1, v4, v1, 0x80fffff
	v_lshrrev_b32_e32 v1, 21, v1
; %bb.109:
	s_and_not1_saveexec_b32 s26, s26
; %bb.110:
	v_add_f32_e64 v1, 0x43000000, |v4|
; %bb.111:
	s_or_b32 exec_lo, exec_lo, s26
                                        ; implicit-def: $vgpr5
.LBB19_112:
	s_and_not1_saveexec_b32 s25, s25
; %bb.113:
	v_mov_b32_e32 v1, 0x7f
	v_cmp_lt_u32_e32 vcc_lo, 0x7f800000, v5
	s_delay_alu instid0(VALU_DEP_2)
	v_cndmask_b32_e32 v1, 0x7c, v1, vcc_lo
; %bb.114:
	s_or_b32 exec_lo, exec_lo, s25
	v_lshrrev_b32_e32 v5, 24, v4
	s_delay_alu instid0(VALU_DEP_1)
	v_and_or_b32 v1, 0x80, v5, v1
	global_store_b8 v[2:3], v1, off
.LBB19_115:
	s_mov_b32 s26, 0
	s_mov_b32 s25, -1
.LBB19_116:
	s_and_not1_b32 vcc_lo, exec_lo, s26
	s_cbranch_vccnz .LBB19_124
; %bb.117:
	s_cmp_gt_i32 s24, 14
	s_mov_b32 s26, -1
	s_cbranch_scc0 .LBB19_121
; %bb.118:
	s_cmp_eq_u32 s24, 15
	s_mov_b32 s0, -1
	s_cbranch_scc0 .LBB19_120
; %bb.119:
	s_wait_xcnt 0x0
	v_bfe_u32 v1, v4, 16, 1
	v_cmp_o_f32_e32 vcc_lo, v4, v4
	s_mov_b32 s25, -1
	s_mov_b32 s0, 0
	s_delay_alu instid0(VALU_DEP_2) | instskip(NEXT) | instid1(VALU_DEP_1)
	v_add3_u32 v1, v4, v1, 0x7fff
	v_lshrrev_b32_e32 v1, 16, v1
	s_delay_alu instid0(VALU_DEP_1)
	v_cndmask_b32_e32 v1, 0x7fc0, v1, vcc_lo
	global_store_b16 v[2:3], v1, off
.LBB19_120:
	s_mov_b32 s26, 0
.LBB19_121:
	s_delay_alu instid0(SALU_CYCLE_1)
	s_and_b32 vcc_lo, exec_lo, s26
	s_cbranch_vccz .LBB19_124
; %bb.122:
	s_cmp_eq_u32 s24, 11
	s_mov_b32 s0, -1
	s_cbranch_scc0 .LBB19_124
; %bb.123:
	v_cmp_neq_f32_e32 vcc_lo, 0, v4
	s_mov_b32 s0, 0
	s_mov_b32 s25, -1
	s_wait_xcnt 0x0
	v_cndmask_b32_e64 v1, 0, 1, vcc_lo
	global_store_b8 v[2:3], v1, off
.LBB19_124:
	s_branch .LBB19_43
.LBB19_125:
	s_and_b32 s23, 0xffff, s23
	s_mov_b32 s24, -1
	s_cmp_lt_i32 s23, 5
	s_cbranch_scc1 .LBB19_146
; %bb.126:
	s_cmp_lt_i32 s23, 8
	s_cbranch_scc1 .LBB19_136
; %bb.127:
	;; [unrolled: 3-line block ×3, first 2 shown]
	s_cmp_gt_i32 s23, 9
	s_cbranch_scc0 .LBB19_130
; %bb.129:
	s_wait_xcnt 0x0
	v_cvt_f64_f32_e32 v[6:7], v4
	v_mov_b32_e32 v8, 0
	s_mov_b32 s24, 0
	s_delay_alu instid0(VALU_DEP_1)
	v_mov_b32_e32 v9, v8
	global_store_b128 v[2:3], v[6:9], off
.LBB19_130:
	s_and_not1_b32 vcc_lo, exec_lo, s24
	s_cbranch_vccnz .LBB19_132
; %bb.131:
	s_wait_xcnt 0x0
	v_mov_b32_e32 v5, 0
	global_store_b64 v[2:3], v[4:5], off
.LBB19_132:
	s_mov_b32 s24, 0
.LBB19_133:
	s_delay_alu instid0(SALU_CYCLE_1)
	s_and_not1_b32 vcc_lo, exec_lo, s24
	s_cbranch_vccnz .LBB19_135
; %bb.134:
	s_wait_xcnt 0x0
	v_cvt_f16_f32_e32 v1, v4
	s_delay_alu instid0(VALU_DEP_1)
	v_and_b32_e32 v1, 0xffff, v1
	global_store_b32 v[2:3], v1, off
.LBB19_135:
	s_mov_b32 s24, 0
.LBB19_136:
	s_delay_alu instid0(SALU_CYCLE_1)
	s_and_not1_b32 vcc_lo, exec_lo, s24
	s_cbranch_vccnz .LBB19_145
; %bb.137:
	s_cmp_lt_i32 s23, 6
	s_mov_b32 s24, -1
	s_cbranch_scc1 .LBB19_143
; %bb.138:
	s_cmp_gt_i32 s23, 6
	s_cbranch_scc0 .LBB19_140
; %bb.139:
	s_wait_xcnt 0x0
	v_cvt_f64_f32_e32 v[6:7], v4
	s_mov_b32 s24, 0
	global_store_b64 v[2:3], v[6:7], off
.LBB19_140:
	s_and_not1_b32 vcc_lo, exec_lo, s24
	s_cbranch_vccnz .LBB19_142
; %bb.141:
	global_store_b32 v[2:3], v4, off
.LBB19_142:
	s_mov_b32 s24, 0
.LBB19_143:
	s_delay_alu instid0(SALU_CYCLE_1)
	s_and_not1_b32 vcc_lo, exec_lo, s24
	s_cbranch_vccnz .LBB19_145
; %bb.144:
	s_wait_xcnt 0x0
	v_cvt_f16_f32_e32 v1, v4
	global_store_b16 v[2:3], v1, off
.LBB19_145:
	s_mov_b32 s24, 0
.LBB19_146:
	s_delay_alu instid0(SALU_CYCLE_1)
	s_and_not1_b32 vcc_lo, exec_lo, s24
	s_cbranch_vccnz .LBB19_162
; %bb.147:
	s_cmp_lt_i32 s23, 2
	s_mov_b32 s24, -1
	s_cbranch_scc1 .LBB19_157
; %bb.148:
	s_cmp_lt_i32 s23, 3
	s_cbranch_scc1 .LBB19_154
; %bb.149:
	s_cmp_gt_i32 s23, 3
	s_cbranch_scc0 .LBB19_151
; %bb.150:
	s_wait_xcnt 0x0
	v_trunc_f32_e32 v1, v4
	s_mov_b32 s24, 0
	s_delay_alu instid0(VALU_DEP_1) | instskip(SKIP_1) | instid1(VALU_DEP_2)
	v_mul_f32_e64 v5, 0x2f800000, |v1|
	v_ashrrev_i32_e32 v6, 31, v1
	v_floor_f32_e32 v5, v5
	s_delay_alu instid0(VALU_DEP_1) | instskip(SKIP_1) | instid1(VALU_DEP_2)
	v_fma_f32 v7, 0xcf800000, v5, |v1|
	v_cvt_u32_f32_e32 v1, v5
	v_cvt_u32_f32_e32 v5, v7
	s_delay_alu instid0(VALU_DEP_2) | instskip(NEXT) | instid1(VALU_DEP_2)
	v_dual_mov_b32 v7, v6 :: v_dual_bitop2_b32 v9, v1, v6 bitop3:0x14
	v_xor_b32_e32 v8, v5, v6
	s_delay_alu instid0(VALU_DEP_1)
	v_sub_nc_u64_e32 v[6:7], v[8:9], v[6:7]
	global_store_b64 v[2:3], v[6:7], off
.LBB19_151:
	s_and_not1_b32 vcc_lo, exec_lo, s24
	s_cbranch_vccnz .LBB19_153
; %bb.152:
	s_wait_xcnt 0x0
	v_cvt_i32_f32_e32 v1, v4
	global_store_b32 v[2:3], v1, off
.LBB19_153:
	s_mov_b32 s24, 0
.LBB19_154:
	s_delay_alu instid0(SALU_CYCLE_1)
	s_and_not1_b32 vcc_lo, exec_lo, s24
	s_cbranch_vccnz .LBB19_156
; %bb.155:
	s_wait_xcnt 0x0
	v_cvt_i32_f32_e32 v1, v4
	global_store_b16 v[2:3], v1, off
.LBB19_156:
	s_mov_b32 s24, 0
.LBB19_157:
	s_delay_alu instid0(SALU_CYCLE_1)
	s_and_not1_b32 vcc_lo, exec_lo, s24
	s_cbranch_vccnz .LBB19_162
; %bb.158:
	s_cmp_gt_i32 s23, 0
	s_mov_b32 s23, -1
	s_cbranch_scc0 .LBB19_160
; %bb.159:
	s_wait_xcnt 0x0
	v_cvt_i32_f32_e32 v1, v4
	s_mov_b32 s23, 0
	global_store_b8 v[2:3], v1, off
.LBB19_160:
	s_and_not1_b32 vcc_lo, exec_lo, s23
	s_cbranch_vccnz .LBB19_162
; %bb.161:
	s_wait_xcnt 0x0
	v_trunc_f32_e32 v1, v4
	s_delay_alu instid0(VALU_DEP_1) | instskip(NEXT) | instid1(VALU_DEP_1)
	v_mul_f32_e64 v4, 0x2f800000, |v1|
	v_floor_f32_e32 v4, v4
	s_delay_alu instid0(VALU_DEP_1) | instskip(SKIP_1) | instid1(VALU_DEP_2)
	v_fma_f32 v4, 0xcf800000, v4, |v1|
	v_ashrrev_i32_e32 v1, 31, v1
	v_cvt_u32_f32_e32 v4, v4
	s_delay_alu instid0(VALU_DEP_1) | instskip(NEXT) | instid1(VALU_DEP_1)
	v_xor_b32_e32 v4, v4, v1
	v_sub_nc_u32_e32 v1, v4, v1
	global_store_b8 v[2:3], v1, off
.LBB19_162:
.LBB19_163:
	v_add_nc_u32_e32 v0, 0x80, v0
	s_mov_b32 s23, -1
	s_branch .LBB19_274
.LBB19_164:
	s_mov_b32 s22, -1
                                        ; implicit-def: $vgpr6
.LBB19_165:
	s_mov_b32 s24, 0
.LBB19_166:
	s_delay_alu instid0(SALU_CYCLE_1)
	s_and_b32 vcc_lo, exec_lo, s24
	s_cbranch_vccz .LBB19_170
; %bb.167:
	s_cmp_eq_u32 s0, 29
	s_cbranch_scc0 .LBB19_169
; %bb.168:
	global_load_b64 v[6:7], v[4:5], off
	s_mov_b32 s23, -1
	s_mov_b32 s22, 0
	s_mov_b32 s24, 0
	s_wait_loadcnt 0x0
	v_clz_i32_u32_e32 v1, v7
	s_delay_alu instid0(VALU_DEP_1) | instskip(NEXT) | instid1(VALU_DEP_1)
	v_min_u32_e32 v1, 32, v1
	v_lshlrev_b64_e32 v[6:7], v1, v[6:7]
	v_sub_nc_u32_e32 v1, 32, v1
	s_delay_alu instid0(VALU_DEP_2) | instskip(NEXT) | instid1(VALU_DEP_1)
	v_min_u32_e32 v3, 1, v6
	v_or_b32_e32 v3, v7, v3
	s_delay_alu instid0(VALU_DEP_1) | instskip(NEXT) | instid1(VALU_DEP_1)
	v_cvt_f32_u32_e32 v3, v3
	v_ldexp_f32 v6, v3, v1
	s_branch .LBB19_171
.LBB19_169:
	s_mov_b32 s22, -1
                                        ; implicit-def: $vgpr6
.LBB19_170:
	s_mov_b32 s24, 0
.LBB19_171:
	s_delay_alu instid0(SALU_CYCLE_1)
	s_and_b32 vcc_lo, exec_lo, s24
	s_cbranch_vccz .LBB19_189
; %bb.172:
	s_cmp_lt_i32 s0, 27
	s_cbranch_scc1 .LBB19_175
; %bb.173:
	s_cmp_gt_i32 s0, 27
	s_cbranch_scc0 .LBB19_176
; %bb.174:
	global_load_b32 v1, v[4:5], off
	s_mov_b32 s23, 0
	s_wait_loadcnt 0x0
	v_cvt_f32_u32_e32 v6, v1
	s_branch .LBB19_177
.LBB19_175:
	s_mov_b32 s23, -1
                                        ; implicit-def: $vgpr6
	s_branch .LBB19_180
.LBB19_176:
	s_mov_b32 s23, -1
                                        ; implicit-def: $vgpr6
.LBB19_177:
	s_delay_alu instid0(SALU_CYCLE_1)
	s_and_not1_b32 vcc_lo, exec_lo, s23
	s_cbranch_vccnz .LBB19_179
; %bb.178:
	global_load_u16 v1, v[4:5], off
	s_wait_loadcnt 0x0
	v_cvt_f32_u32_e32 v6, v1
.LBB19_179:
	s_mov_b32 s23, 0
.LBB19_180:
	s_delay_alu instid0(SALU_CYCLE_1)
	s_and_not1_b32 vcc_lo, exec_lo, s23
	s_cbranch_vccnz .LBB19_188
; %bb.181:
	global_load_u8 v1, v[4:5], off
	s_mov_b32 s23, 0
	s_mov_b32 s24, exec_lo
	s_wait_loadcnt 0x0
	v_cmpx_lt_i16_e32 0x7f, v1
	s_xor_b32 s24, exec_lo, s24
	s_cbranch_execz .LBB19_201
; %bb.182:
	s_mov_b32 s23, -1
	s_mov_b32 s25, exec_lo
	v_cmpx_eq_u16_e32 0x80, v1
; %bb.183:
	s_xor_b32 s23, exec_lo, -1
; %bb.184:
	s_or_b32 exec_lo, exec_lo, s25
	s_delay_alu instid0(SALU_CYCLE_1)
	s_and_b32 s23, s23, exec_lo
	s_or_saveexec_b32 s24, s24
	v_mov_b32_e32 v6, 0x7f800001
	s_xor_b32 exec_lo, exec_lo, s24
	s_cbranch_execnz .LBB19_202
.LBB19_185:
	s_or_b32 exec_lo, exec_lo, s24
	s_and_saveexec_b32 s24, s23
	s_cbranch_execz .LBB19_187
.LBB19_186:
	v_and_b32_e32 v3, 0xffff, v1
	s_delay_alu instid0(VALU_DEP_1) | instskip(SKIP_1) | instid1(VALU_DEP_2)
	v_dual_lshlrev_b32 v1, 24, v1 :: v_dual_bitop2_b32 v6, 7, v3 bitop3:0x40
	v_bfe_u32 v9, v3, 3, 4
	v_and_b32_e32 v1, 0x80000000, v1
	s_delay_alu instid0(VALU_DEP_3) | instskip(NEXT) | instid1(VALU_DEP_3)
	v_clz_i32_u32_e32 v7, v6
	v_cmp_eq_u32_e32 vcc_lo, 0, v9
	s_delay_alu instid0(VALU_DEP_2) | instskip(NEXT) | instid1(VALU_DEP_1)
	v_min_u32_e32 v7, 32, v7
	v_subrev_nc_u32_e32 v8, 28, v7
	v_sub_nc_u32_e32 v7, 29, v7
	s_delay_alu instid0(VALU_DEP_2) | instskip(NEXT) | instid1(VALU_DEP_2)
	v_lshlrev_b32_e32 v3, v8, v3
	v_cndmask_b32_e32 v7, v9, v7, vcc_lo
	s_delay_alu instid0(VALU_DEP_2) | instskip(NEXT) | instid1(VALU_DEP_1)
	v_and_b32_e32 v3, 7, v3
	v_cndmask_b32_e32 v3, v6, v3, vcc_lo
	s_delay_alu instid0(VALU_DEP_3) | instskip(NEXT) | instid1(VALU_DEP_2)
	v_lshl_add_u32 v6, v7, 23, 0x3b800000
	v_lshlrev_b32_e32 v3, 20, v3
	s_delay_alu instid0(VALU_DEP_1)
	v_or3_b32 v6, v1, v6, v3
.LBB19_187:
	s_or_b32 exec_lo, exec_lo, s24
.LBB19_188:
	s_mov_b32 s23, -1
.LBB19_189:
	s_branch .LBB19_224
.LBB19_190:
	s_cmp_gt_i32 s0, 22
	s_cbranch_scc0 .LBB19_200
; %bb.191:
	s_cmp_lt_i32 s0, 24
	s_cbranch_scc1 .LBB19_203
; %bb.192:
	s_cmp_gt_i32 s0, 24
	s_cbranch_scc0 .LBB19_204
; %bb.193:
	global_load_u8 v1, v[4:5], off
	s_mov_b32 s23, 0
	s_mov_b32 s24, exec_lo
	s_wait_loadcnt 0x0
	v_cmpx_lt_i16_e32 0x7f, v1
	s_xor_b32 s24, exec_lo, s24
	s_cbranch_execz .LBB19_216
; %bb.194:
	s_mov_b32 s23, -1
	s_mov_b32 s25, exec_lo
	v_cmpx_eq_u16_e32 0x80, v1
; %bb.195:
	s_xor_b32 s23, exec_lo, -1
; %bb.196:
	s_or_b32 exec_lo, exec_lo, s25
	s_delay_alu instid0(SALU_CYCLE_1)
	s_and_b32 s23, s23, exec_lo
	s_or_saveexec_b32 s24, s24
	v_mov_b32_e32 v6, 0x7f800001
	s_xor_b32 exec_lo, exec_lo, s24
	s_cbranch_execnz .LBB19_217
.LBB19_197:
	s_or_b32 exec_lo, exec_lo, s24
	s_and_saveexec_b32 s24, s23
	s_cbranch_execz .LBB19_199
.LBB19_198:
	v_and_b32_e32 v3, 0xffff, v1
	s_delay_alu instid0(VALU_DEP_1) | instskip(SKIP_1) | instid1(VALU_DEP_2)
	v_dual_lshlrev_b32 v1, 24, v1 :: v_dual_bitop2_b32 v6, 3, v3 bitop3:0x40
	v_bfe_u32 v9, v3, 2, 5
	v_and_b32_e32 v1, 0x80000000, v1
	s_delay_alu instid0(VALU_DEP_3) | instskip(NEXT) | instid1(VALU_DEP_3)
	v_clz_i32_u32_e32 v7, v6
	v_cmp_eq_u32_e32 vcc_lo, 0, v9
	s_delay_alu instid0(VALU_DEP_2) | instskip(NEXT) | instid1(VALU_DEP_1)
	v_min_u32_e32 v7, 32, v7
	v_subrev_nc_u32_e32 v8, 29, v7
	v_sub_nc_u32_e32 v7, 30, v7
	s_delay_alu instid0(VALU_DEP_2) | instskip(NEXT) | instid1(VALU_DEP_2)
	v_lshlrev_b32_e32 v3, v8, v3
	v_cndmask_b32_e32 v7, v9, v7, vcc_lo
	s_delay_alu instid0(VALU_DEP_2) | instskip(NEXT) | instid1(VALU_DEP_1)
	v_and_b32_e32 v3, 3, v3
	v_cndmask_b32_e32 v3, v6, v3, vcc_lo
	s_delay_alu instid0(VALU_DEP_3) | instskip(NEXT) | instid1(VALU_DEP_2)
	v_lshl_add_u32 v6, v7, 23, 0x37800000
	v_lshlrev_b32_e32 v3, 21, v3
	s_delay_alu instid0(VALU_DEP_1)
	v_or3_b32 v6, v1, v6, v3
.LBB19_199:
	s_or_b32 exec_lo, exec_lo, s24
	s_mov_b32 s23, 0
	s_branch .LBB19_205
.LBB19_200:
	s_mov_b32 s24, -1
                                        ; implicit-def: $vgpr6
	s_branch .LBB19_211
.LBB19_201:
	s_or_saveexec_b32 s24, s24
	v_mov_b32_e32 v6, 0x7f800001
	s_xor_b32 exec_lo, exec_lo, s24
	s_cbranch_execz .LBB19_185
.LBB19_202:
	v_cmp_ne_u16_e32 vcc_lo, 0, v1
	v_mov_b32_e32 v6, 0
	s_and_not1_b32 s23, s23, exec_lo
	s_and_b32 s25, vcc_lo, exec_lo
	s_delay_alu instid0(SALU_CYCLE_1)
	s_or_b32 s23, s23, s25
	s_or_b32 exec_lo, exec_lo, s24
	s_and_saveexec_b32 s24, s23
	s_cbranch_execnz .LBB19_186
	s_branch .LBB19_187
.LBB19_203:
	s_mov_b32 s23, -1
                                        ; implicit-def: $vgpr6
	s_branch .LBB19_208
.LBB19_204:
	s_mov_b32 s23, -1
                                        ; implicit-def: $vgpr6
.LBB19_205:
	s_delay_alu instid0(SALU_CYCLE_1)
	s_and_b32 vcc_lo, exec_lo, s23
	s_cbranch_vccz .LBB19_207
; %bb.206:
	global_load_u8 v1, v[4:5], off
	s_wait_loadcnt 0x0
	v_lshlrev_b32_e32 v1, 24, v1
	s_delay_alu instid0(VALU_DEP_1) | instskip(NEXT) | instid1(VALU_DEP_1)
	v_and_b32_e32 v3, 0x7f000000, v1
	v_clz_i32_u32_e32 v6, v3
	v_cmp_ne_u32_e32 vcc_lo, 0, v3
	v_add_nc_u32_e32 v8, 0x1000000, v3
	s_delay_alu instid0(VALU_DEP_3) | instskip(NEXT) | instid1(VALU_DEP_1)
	v_min_u32_e32 v6, 32, v6
	v_sub_nc_u32_e64 v6, v6, 4 clamp
	s_delay_alu instid0(VALU_DEP_1) | instskip(NEXT) | instid1(VALU_DEP_1)
	v_dual_lshlrev_b32 v7, v6, v3 :: v_dual_lshlrev_b32 v6, 23, v6
	v_lshrrev_b32_e32 v7, 4, v7
	s_delay_alu instid0(VALU_DEP_1) | instskip(NEXT) | instid1(VALU_DEP_1)
	v_dual_sub_nc_u32 v6, v7, v6 :: v_dual_ashrrev_i32 v7, 8, v8
	v_add_nc_u32_e32 v6, 0x3c000000, v6
	s_delay_alu instid0(VALU_DEP_1) | instskip(NEXT) | instid1(VALU_DEP_1)
	v_and_or_b32 v6, 0x7f800000, v7, v6
	v_cndmask_b32_e32 v3, 0, v6, vcc_lo
	s_delay_alu instid0(VALU_DEP_1)
	v_and_or_b32 v6, 0x80000000, v1, v3
.LBB19_207:
	s_mov_b32 s23, 0
.LBB19_208:
	s_delay_alu instid0(SALU_CYCLE_1)
	s_and_not1_b32 vcc_lo, exec_lo, s23
	s_cbranch_vccnz .LBB19_210
; %bb.209:
	global_load_u8 v1, v[4:5], off
	s_wait_loadcnt 0x0
	v_lshlrev_b32_e32 v3, 25, v1
	v_lshlrev_b16 v1, 8, v1
	s_delay_alu instid0(VALU_DEP_1) | instskip(SKIP_1) | instid1(VALU_DEP_2)
	v_and_or_b32 v7, 0x7f00, v1, 0.5
	v_bfe_i32 v1, v1, 0, 16
	v_add_f32_e32 v7, -0.5, v7
	v_lshrrev_b32_e32 v6, 4, v3
	v_cmp_gt_u32_e32 vcc_lo, 0x8000000, v3
	s_delay_alu instid0(VALU_DEP_2) | instskip(NEXT) | instid1(VALU_DEP_1)
	v_or_b32_e32 v6, 0x70000000, v6
	v_mul_f32_e32 v6, 0x7800000, v6
	s_delay_alu instid0(VALU_DEP_1) | instskip(NEXT) | instid1(VALU_DEP_1)
	v_cndmask_b32_e32 v3, v6, v7, vcc_lo
	v_and_or_b32 v6, 0x80000000, v1, v3
.LBB19_210:
	s_mov_b32 s24, 0
	s_mov_b32 s23, -1
.LBB19_211:
	s_and_not1_b32 vcc_lo, exec_lo, s24
	s_cbranch_vccnz .LBB19_224
; %bb.212:
	s_cmp_gt_i32 s0, 14
	s_cbranch_scc0 .LBB19_215
; %bb.213:
	s_cmp_eq_u32 s0, 15
	s_cbranch_scc0 .LBB19_218
; %bb.214:
	global_load_u16 v1, v[4:5], off
	s_mov_b32 s23, -1
	s_mov_b32 s22, 0
	s_wait_loadcnt 0x0
	v_lshlrev_b32_e32 v6, 16, v1
	s_branch .LBB19_219
.LBB19_215:
	s_mov_b32 s24, -1
                                        ; implicit-def: $vgpr6
	s_branch .LBB19_220
.LBB19_216:
	s_or_saveexec_b32 s24, s24
	v_mov_b32_e32 v6, 0x7f800001
	s_xor_b32 exec_lo, exec_lo, s24
	s_cbranch_execz .LBB19_197
.LBB19_217:
	v_cmp_ne_u16_e32 vcc_lo, 0, v1
	v_mov_b32_e32 v6, 0
	s_and_not1_b32 s23, s23, exec_lo
	s_and_b32 s25, vcc_lo, exec_lo
	s_delay_alu instid0(SALU_CYCLE_1)
	s_or_b32 s23, s23, s25
	s_or_b32 exec_lo, exec_lo, s24
	s_and_saveexec_b32 s24, s23
	s_cbranch_execnz .LBB19_198
	s_branch .LBB19_199
.LBB19_218:
	s_mov_b32 s22, -1
                                        ; implicit-def: $vgpr6
.LBB19_219:
	s_mov_b32 s24, 0
.LBB19_220:
	s_delay_alu instid0(SALU_CYCLE_1)
	s_and_b32 vcc_lo, exec_lo, s24
	s_cbranch_vccz .LBB19_224
; %bb.221:
	s_cmp_eq_u32 s0, 11
	s_cbranch_scc0 .LBB19_223
; %bb.222:
	global_load_u8 v1, v[4:5], off
	s_mov_b32 s22, 0
	s_mov_b32 s23, -1
	s_wait_loadcnt 0x0
	v_cmp_ne_u16_e32 vcc_lo, 0, v1
	v_cndmask_b32_e64 v6, 0, 1.0, vcc_lo
	s_branch .LBB19_224
.LBB19_223:
	s_mov_b32 s22, -1
                                        ; implicit-def: $vgpr6
.LBB19_224:
	s_branch .LBB19_25
.LBB19_225:
	s_cmp_lt_i32 s0, 5
	s_cbranch_scc1 .LBB19_230
; %bb.226:
	s_cmp_lt_i32 s0, 8
	s_cbranch_scc1 .LBB19_231
; %bb.227:
	;; [unrolled: 3-line block ×3, first 2 shown]
	s_cmp_gt_i32 s0, 9
	s_cbranch_scc0 .LBB19_233
; %bb.229:
	global_load_b64 v[6:7], v[4:5], off
	s_mov_b32 s23, 0
	s_wait_loadcnt 0x0
	v_cvt_f32_f64_e32 v6, v[6:7]
	s_branch .LBB19_234
.LBB19_230:
                                        ; implicit-def: $vgpr6
	s_branch .LBB19_252
.LBB19_231:
	s_mov_b32 s23, -1
                                        ; implicit-def: $vgpr6
	s_branch .LBB19_240
.LBB19_232:
	s_mov_b32 s23, -1
                                        ; implicit-def: $vgpr6
	s_branch .LBB19_237
.LBB19_233:
	s_mov_b32 s23, -1
                                        ; implicit-def: $vgpr6
.LBB19_234:
	s_delay_alu instid0(SALU_CYCLE_1)
	s_and_not1_b32 vcc_lo, exec_lo, s23
	s_cbranch_vccnz .LBB19_236
; %bb.235:
	global_load_b32 v6, v[4:5], off
.LBB19_236:
	s_mov_b32 s23, 0
.LBB19_237:
	s_delay_alu instid0(SALU_CYCLE_1)
	s_and_not1_b32 vcc_lo, exec_lo, s23
	s_cbranch_vccnz .LBB19_239
; %bb.238:
	global_load_b32 v1, v[4:5], off
	s_wait_loadcnt 0x0
	v_cvt_f32_f16_e32 v6, v1
.LBB19_239:
	s_mov_b32 s23, 0
.LBB19_240:
	s_delay_alu instid0(SALU_CYCLE_1)
	s_and_not1_b32 vcc_lo, exec_lo, s23
	s_cbranch_vccnz .LBB19_251
; %bb.241:
	s_cmp_lt_i32 s0, 6
	s_cbranch_scc1 .LBB19_244
; %bb.242:
	s_cmp_gt_i32 s0, 6
	s_cbranch_scc0 .LBB19_245
; %bb.243:
	s_wait_loadcnt 0x0
	global_load_b64 v[6:7], v[4:5], off
	s_mov_b32 s23, 0
	s_wait_loadcnt 0x0
	v_cvt_f32_f64_e32 v6, v[6:7]
	s_branch .LBB19_246
.LBB19_244:
	s_mov_b32 s23, -1
                                        ; implicit-def: $vgpr6
	s_branch .LBB19_249
.LBB19_245:
	s_mov_b32 s23, -1
                                        ; implicit-def: $vgpr6
.LBB19_246:
	s_delay_alu instid0(SALU_CYCLE_1)
	s_and_not1_b32 vcc_lo, exec_lo, s23
	s_cbranch_vccnz .LBB19_248
; %bb.247:
	s_wait_loadcnt 0x0
	global_load_b32 v6, v[4:5], off
.LBB19_248:
	s_mov_b32 s23, 0
.LBB19_249:
	s_delay_alu instid0(SALU_CYCLE_1)
	s_and_not1_b32 vcc_lo, exec_lo, s23
	s_cbranch_vccnz .LBB19_251
; %bb.250:
	global_load_u16 v1, v[4:5], off
	s_wait_loadcnt 0x0
	v_cvt_f32_f16_e32 v6, v1
.LBB19_251:
	s_cbranch_execnz .LBB19_271
.LBB19_252:
	s_cmp_lt_i32 s0, 2
	s_cbranch_scc1 .LBB19_256
; %bb.253:
	s_cmp_lt_i32 s0, 3
	s_cbranch_scc1 .LBB19_257
; %bb.254:
	s_cmp_gt_i32 s0, 3
	s_cbranch_scc0 .LBB19_258
; %bb.255:
	s_wait_loadcnt 0x0
	global_load_b64 v[6:7], v[4:5], off
	s_mov_b32 s23, 0
	s_wait_loadcnt 0x0
	v_xor_b32_e32 v1, v6, v7
	v_cls_i32_e32 v3, v7
	s_delay_alu instid0(VALU_DEP_2) | instskip(NEXT) | instid1(VALU_DEP_1)
	v_ashrrev_i32_e32 v1, 31, v1
	v_add_nc_u32_e32 v1, 32, v1
	s_delay_alu instid0(VALU_DEP_1) | instskip(NEXT) | instid1(VALU_DEP_1)
	v_add_min_u32_e64 v1, v3, -1, v1
	v_lshlrev_b64_e32 v[6:7], v1, v[6:7]
	v_sub_nc_u32_e32 v1, 32, v1
	s_delay_alu instid0(VALU_DEP_2) | instskip(NEXT) | instid1(VALU_DEP_1)
	v_min_u32_e32 v3, 1, v6
	v_or_b32_e32 v3, v7, v3
	s_delay_alu instid0(VALU_DEP_1) | instskip(NEXT) | instid1(VALU_DEP_1)
	v_cvt_f32_i32_e32 v3, v3
	v_ldexp_f32 v6, v3, v1
	s_branch .LBB19_259
.LBB19_256:
	s_mov_b32 s23, -1
                                        ; implicit-def: $vgpr6
	s_branch .LBB19_265
.LBB19_257:
	s_mov_b32 s23, -1
                                        ; implicit-def: $vgpr6
	s_branch .LBB19_262
.LBB19_258:
	s_mov_b32 s23, -1
                                        ; implicit-def: $vgpr6
.LBB19_259:
	s_delay_alu instid0(SALU_CYCLE_1)
	s_and_not1_b32 vcc_lo, exec_lo, s23
	s_cbranch_vccnz .LBB19_261
; %bb.260:
	global_load_b32 v1, v[4:5], off
	s_wait_loadcnt 0x0
	v_cvt_f32_i32_e32 v6, v1
.LBB19_261:
	s_mov_b32 s23, 0
.LBB19_262:
	s_delay_alu instid0(SALU_CYCLE_1)
	s_and_not1_b32 vcc_lo, exec_lo, s23
	s_cbranch_vccnz .LBB19_264
; %bb.263:
	global_load_i16 v1, v[4:5], off
	s_wait_loadcnt 0x0
	v_cvt_f32_i32_e32 v6, v1
.LBB19_264:
	s_mov_b32 s23, 0
.LBB19_265:
	s_delay_alu instid0(SALU_CYCLE_1)
	s_and_not1_b32 vcc_lo, exec_lo, s23
	s_cbranch_vccnz .LBB19_271
; %bb.266:
	s_cmp_gt_i32 s0, 0
	s_mov_b32 s0, 0
	s_cbranch_scc0 .LBB19_268
; %bb.267:
	global_load_i8 v1, v[4:5], off
	s_wait_loadcnt 0x0
	v_cvt_f32_i32_e32 v6, v1
	s_branch .LBB19_269
.LBB19_268:
	s_mov_b32 s0, -1
                                        ; implicit-def: $vgpr6
.LBB19_269:
	s_delay_alu instid0(SALU_CYCLE_1)
	s_and_not1_b32 vcc_lo, exec_lo, s0
	s_cbranch_vccnz .LBB19_271
; %bb.270:
	global_load_u8 v1, v[4:5], off
	s_wait_loadcnt 0x0
	v_cvt_f32_ubyte0_e32 v6, v1
.LBB19_271:
	s_branch .LBB19_26
.LBB19_272:
	s_mov_b32 s0, 0
.LBB19_273:
	s_mov_b32 s23, 0
                                        ; implicit-def: $vgpr0
.LBB19_274:
	s_and_b32 s39, s0, exec_lo
	s_and_b32 s40, s22, exec_lo
	s_or_not1_b32 s22, s23, exec_lo
.LBB19_275:
	s_wait_xcnt 0x0
	s_or_b32 exec_lo, exec_lo, s41
	s_mov_b32 s23, 0
	s_mov_b32 s0, 0
                                        ; implicit-def: $vgpr4_vgpr5
                                        ; implicit-def: $vgpr2
                                        ; implicit-def: $vgpr6
	s_and_saveexec_b32 s41, s22
	s_cbranch_execz .LBB19_283
; %bb.276:
	s_mov_b32 s0, -1
	s_mov_b32 s42, s40
	s_mov_b32 s43, s39
	s_mov_b32 s44, exec_lo
	v_cmpx_gt_i32_e64 s36, v0
	s_cbranch_execz .LBB19_562
; %bb.277:
	s_and_not1_b32 vcc_lo, exec_lo, s31
	s_cbranch_vccnz .LBB19_286
; %bb.278:
	s_and_not1_b32 vcc_lo, exec_lo, s38
	s_cbranch_vccnz .LBB19_287
; %bb.279:
	s_add_co_i32 s0, s37, 1
	s_cmp_eq_u32 s29, 2
	s_cbranch_scc1 .LBB19_288
; %bb.280:
	v_dual_mov_b32 v2, 0 :: v_dual_mov_b32 v4, 0
	v_mov_b32_e32 v1, v0
	s_and_b32 s22, s0, 28
	s_mov_b64 s[24:25], s[2:3]
	s_mov_b64 s[26:27], s[20:21]
.LBB19_281:                             ; =>This Inner Loop Header: Depth=1
	s_clause 0x1
	s_load_b256 s[48:55], s[24:25], 0x4
	s_load_b128 s[64:67], s[24:25], 0x24
	s_load_b256 s[56:63], s[26:27], 0x0
	s_add_co_i32 s23, s23, 4
	s_wait_xcnt 0x0
	s_add_nc_u64 s[24:25], s[24:25], 48
	s_cmp_eq_u32 s22, s23
	s_add_nc_u64 s[26:27], s[26:27], 32
	s_wait_kmcnt 0x0
	v_mul_hi_u32 v3, s49, v1
	s_delay_alu instid0(VALU_DEP_1) | instskip(NEXT) | instid1(VALU_DEP_1)
	v_add_nc_u32_e32 v3, v1, v3
	v_lshrrev_b32_e32 v3, s50, v3
	s_delay_alu instid0(VALU_DEP_1) | instskip(NEXT) | instid1(VALU_DEP_1)
	v_mul_hi_u32 v5, s52, v3
	v_add_nc_u32_e32 v5, v3, v5
	s_delay_alu instid0(VALU_DEP_1) | instskip(SKIP_1) | instid1(VALU_DEP_1)
	v_lshrrev_b32_e32 v5, s53, v5
	s_wait_loadcnt 0x0
	v_mul_hi_u32 v6, s55, v5
	s_delay_alu instid0(VALU_DEP_1) | instskip(SKIP_1) | instid1(VALU_DEP_1)
	v_add_nc_u32_e32 v6, v5, v6
	v_mul_lo_u32 v7, v3, s48
	v_sub_nc_u32_e32 v1, v1, v7
	v_mul_lo_u32 v7, v5, s51
	s_delay_alu instid0(VALU_DEP_4) | instskip(NEXT) | instid1(VALU_DEP_3)
	v_lshrrev_b32_e32 v6, s64, v6
	v_mad_u32 v4, v1, s57, v4
	v_mad_u32 v1, v1, s56, v2
	s_delay_alu instid0(VALU_DEP_4) | instskip(NEXT) | instid1(VALU_DEP_4)
	v_sub_nc_u32_e32 v2, v3, v7
	v_mul_hi_u32 v8, s66, v6
	v_mul_lo_u32 v3, v6, s54
	s_delay_alu instid0(VALU_DEP_3) | instskip(SKIP_1) | instid1(VALU_DEP_3)
	v_mad_u32 v4, v2, s59, v4
	v_mad_u32 v2, v2, s58, v1
	v_dual_add_nc_u32 v7, v6, v8 :: v_dual_sub_nc_u32 v3, v5, v3
	s_delay_alu instid0(VALU_DEP_1) | instskip(NEXT) | instid1(VALU_DEP_2)
	v_lshrrev_b32_e32 v1, s67, v7
	v_mad_u32 v4, v3, s61, v4
	s_delay_alu instid0(VALU_DEP_4) | instskip(NEXT) | instid1(VALU_DEP_3)
	v_mad_u32 v2, v3, s60, v2
	v_mul_lo_u32 v5, v1, s65
	s_delay_alu instid0(VALU_DEP_1) | instskip(NEXT) | instid1(VALU_DEP_1)
	v_sub_nc_u32_e32 v3, v6, v5
	v_mad_u32 v4, v3, s63, v4
	s_delay_alu instid0(VALU_DEP_4)
	v_mad_u32 v2, v3, s62, v2
	s_cbranch_scc0 .LBB19_281
; %bb.282:
	s_delay_alu instid0(VALU_DEP_2)
	v_mov_b32_e32 v3, v4
	s_branch .LBB19_289
.LBB19_283:
	s_or_b32 exec_lo, exec_lo, s41
	s_mov_b32 s1, 0
	s_and_saveexec_b32 s6, s40
	s_cbranch_execnz .LBB19_952
.LBB19_284:
	s_or_b32 exec_lo, exec_lo, s6
	s_and_saveexec_b32 s6, s17
	s_delay_alu instid0(SALU_CYCLE_1)
	s_xor_b32 s6, exec_lo, s6
	s_cbranch_execz .LBB19_953
.LBB19_285:
	global_load_u8 v0, v[4:5], off
	s_or_b32 s0, s0, exec_lo
	s_wait_loadcnt 0x0
	v_cmp_ne_u16_e32 vcc_lo, 0, v0
	v_cndmask_b32_e64 v6, 0, 1.0, vcc_lo
	s_wait_xcnt 0x0
	s_or_b32 exec_lo, exec_lo, s6
	s_and_saveexec_b32 s6, s23
	s_cbranch_execz .LBB19_999
	s_branch .LBB19_954
.LBB19_286:
                                        ; implicit-def: $vgpr4
                                        ; implicit-def: $vgpr2
	s_and_not1_b32 vcc_lo, exec_lo, s0
	s_cbranch_vccnz .LBB19_296
	s_branch .LBB19_294
.LBB19_287:
	v_dual_mov_b32 v4, 0 :: v_dual_mov_b32 v2, 0
	s_branch .LBB19_293
.LBB19_288:
	v_mov_b64_e32 v[2:3], 0
	v_mov_b32_e32 v1, v0
	s_mov_b32 s22, 0
                                        ; implicit-def: $vgpr4
.LBB19_289:
	s_and_b32 s0, s0, 3
	s_mov_b32 s23, 0
	s_cmp_eq_u32 s0, 0
	s_cbranch_scc1 .LBB19_293
; %bb.290:
	s_lshl_b32 s24, s22, 3
	s_mov_b32 s25, s23
	s_mul_u64 s[26:27], s[22:23], 12
	s_add_nc_u64 s[24:25], s[2:3], s[24:25]
	s_delay_alu instid0(SALU_CYCLE_1)
	s_add_nc_u64 s[22:23], s[24:25], 0xc4
	s_add_nc_u64 s[24:25], s[2:3], s[26:27]
.LBB19_291:                             ; =>This Inner Loop Header: Depth=1
	s_load_b96 s[48:50], s[24:25], 0x4
	s_load_b64 s[26:27], s[22:23], 0x0
	s_add_co_i32 s0, s0, -1
	s_wait_xcnt 0x0
	s_add_nc_u64 s[24:25], s[24:25], 12
	s_cmp_lg_u32 s0, 0
	s_add_nc_u64 s[22:23], s[22:23], 8
	s_wait_kmcnt 0x0
	v_mul_hi_u32 v4, s49, v1
	s_delay_alu instid0(VALU_DEP_1) | instskip(NEXT) | instid1(VALU_DEP_1)
	v_add_nc_u32_e32 v4, v1, v4
	v_lshrrev_b32_e32 v4, s50, v4
	s_delay_alu instid0(VALU_DEP_1) | instskip(NEXT) | instid1(VALU_DEP_1)
	v_mul_lo_u32 v5, v4, s48
	v_sub_nc_u32_e32 v1, v1, v5
	s_delay_alu instid0(VALU_DEP_1)
	v_mad_u32 v3, v1, s27, v3
	v_mad_u32 v2, v1, s26, v2
	v_mov_b32_e32 v1, v4
	s_cbranch_scc1 .LBB19_291
; %bb.292:
	s_delay_alu instid0(VALU_DEP_3)
	v_mov_b32_e32 v4, v3
.LBB19_293:
	s_cbranch_execnz .LBB19_296
.LBB19_294:
	v_mov_b32_e32 v1, 0
	s_and_not1_b32 vcc_lo, exec_lo, s35
	s_delay_alu instid0(VALU_DEP_1) | instskip(NEXT) | instid1(VALU_DEP_1)
	v_mul_u64_e32 v[2:3], s[16:17], v[0:1]
	v_add_nc_u32_e32 v2, v0, v3
	s_wait_loadcnt 0x0
	s_delay_alu instid0(VALU_DEP_1) | instskip(NEXT) | instid1(VALU_DEP_1)
	v_lshrrev_b32_e32 v6, s14, v2
	v_mul_lo_u32 v2, v6, s12
	s_delay_alu instid0(VALU_DEP_1) | instskip(NEXT) | instid1(VALU_DEP_1)
	v_sub_nc_u32_e32 v2, v0, v2
	v_mul_lo_u32 v4, v2, s9
	v_mul_lo_u32 v2, v2, s8
	s_cbranch_vccnz .LBB19_296
; %bb.295:
	v_mov_b32_e32 v7, v1
	s_delay_alu instid0(VALU_DEP_1) | instskip(NEXT) | instid1(VALU_DEP_1)
	v_mul_u64_e32 v[8:9], s[18:19], v[6:7]
	v_add_nc_u32_e32 v1, v6, v9
	s_delay_alu instid0(VALU_DEP_1) | instskip(NEXT) | instid1(VALU_DEP_1)
	v_lshrrev_b32_e32 v1, s1, v1
	v_mul_lo_u32 v1, v1, s15
	s_delay_alu instid0(VALU_DEP_1) | instskip(NEXT) | instid1(VALU_DEP_1)
	v_sub_nc_u32_e32 v1, v6, v1
	v_mad_u32 v2, v1, s10, v2
	v_mad_u32 v4, v1, s11, v4
.LBB19_296:
	v_mov_b32_e32 v5, 0
	s_and_b32 s0, 0xffff, s13
	s_delay_alu instid0(SALU_CYCLE_1) | instskip(NEXT) | instid1(VALU_DEP_1)
	s_cmp_lt_i32 s0, 11
	v_add_nc_u64_e32 v[4:5], s[6:7], v[4:5]
	s_cbranch_scc1 .LBB19_303
; %bb.297:
	s_cmp_gt_i32 s0, 25
	s_cbranch_scc0 .LBB19_320
; %bb.298:
	s_cmp_gt_i32 s0, 28
	s_cbranch_scc0 .LBB19_322
	;; [unrolled: 3-line block ×4, first 2 shown]
; %bb.301:
	s_cmp_eq_u32 s0, 46
	s_mov_b32 s24, 0
	s_cbranch_scc0 .LBB19_332
; %bb.302:
	global_load_b32 v1, v[4:5], off
	s_mov_b32 s23, -1
	s_mov_b32 s22, 0
	s_wait_loadcnt 0x0
	v_lshlrev_b32_e32 v6, 16, v1
	s_branch .LBB19_334
.LBB19_303:
	s_mov_b32 s23, 0
	s_mov_b32 s22, s40
                                        ; implicit-def: $vgpr6
	s_cbranch_execnz .LBB19_511
.LBB19_304:
	s_and_not1_b32 vcc_lo, exec_lo, s23
	s_cbranch_vccnz .LBB19_559
.LBB19_305:
	s_wait_xcnt 0x0
	v_mov_b32_e32 v4, 0x7f800000
	s_mov_b32 s23, exec_lo
	s_wait_loadcnt 0x0
	s_delay_alu instid0(VALU_DEP_2)
	v_cmpx_neq_f32_e32 0, v6
	s_cbranch_execz .LBB19_313
; %bb.306:
	v_mov_b32_e32 v4, 0x7fc00000
	s_mov_b32 s24, exec_lo
	v_cmpx_ngt_f32_e32 0, v6
	s_cbranch_execz .LBB19_312
; %bb.307:
                                        ; implicit-def: $vgpr4
	s_mov_b32 s0, exec_lo
	v_cmpx_ge_f32_e32 2.0, v6
	s_xor_b32 s25, exec_lo, s0
	s_cbranch_execz .LBB19_309
; %bb.308:
	v_mov_b32_e32 v7, 0.5
	s_mov_b32 s0, 0xa2a2e5b9
	v_mov_b64_e32 v[10:11], 0x3ad6e3ac293fd856
	v_mov_b64_e32 v[14:15], 0xbb8db2f12d3612e2
	;; [unrolled: 1-line block ×3, first 2 shown]
	v_pk_fma_f32 v[4:5], v[6:7], v[6:7], -2.0 op_sel_hi:[0,1,0]
	s_delay_alu instid0(VALU_DEP_1) | instskip(NEXT) | instid1(VALU_DEP_2)
	v_fmaak_f32 v1, s0, v5, 0x24199b15
	v_mul_f32_e32 v12, 0x251e770f, v4
	s_mov_b32 s0, 0xa51e770f
	s_delay_alu instid0(VALU_DEP_2) | instskip(NEXT) | instid1(VALU_DEP_1)
	v_fmaak_f32 v3, v5, v1, 0x22a2e5b9
	v_add_f32_e32 v3, 0xa58c275c, v3
	s_delay_alu instid0(VALU_DEP_1) | instskip(SKIP_1) | instid1(VALU_DEP_2)
	v_fma_f32 v1, v5, v3, -v1
	v_pk_mul_f32 v[16:17], v[6:7], v[6:7] op_sel_hi:[0,1]
	v_add_f32_e32 v1, 0x26f736c5, v1
	s_delay_alu instid0(VALU_DEP_2) | instskip(NEXT) | instid1(VALU_DEP_2)
	v_cmp_gt_f32_e32 vcc_lo, 0x800000, v17
	v_fma_f32 v3, v5, v1, -v3
	s_delay_alu instid0(VALU_DEP_1) | instskip(NEXT) | instid1(VALU_DEP_1)
	v_add_f32_e32 v3, 0xa8528116, v3
	v_fma_f32 v1, v5, v3, -v1
	s_delay_alu instid0(VALU_DEP_1) | instskip(NEXT) | instid1(VALU_DEP_1)
	v_add_f32_e32 v1, 0x29acda32, v1
	;; [unrolled: 3-line block ×17, first 2 shown]
	v_fma_f32 v13, v5, v9, -v1
	v_mul_f32_e32 v1, 0x3fb8aa3b, v6
	s_delay_alu instid0(VALU_DEP_2) | instskip(NEXT) | instid1(VALU_DEP_2)
	v_pk_add_f32 v[10:11], v[12:13], v[10:11]
	v_rndne_f32_e32 v3, v1
	v_mov_b32_e32 v8, 0xa51e770f
	v_mov_b64_e32 v[12:13], s[0:1]
	v_cmp_ngt_f32_e64 s0, 0xc2ce8ed0, v6
	s_delay_alu instid0(VALU_DEP_3) | instskip(NEXT) | instid1(VALU_DEP_3)
	v_pk_fma_f32 v[8:9], v[4:5], v[10:11], v[8:9] neg_lo:[0,0,1] neg_hi:[0,0,1]
	v_pk_fma_f32 v[12:13], v[4:5], v[10:11], v[12:13]
	s_delay_alu instid0(VALU_DEP_2) | instskip(NEXT) | instid1(VALU_DEP_1)
	v_mov_b32_e32 v13, v9
	v_pk_add_f32 v[8:9], v[12:13], v[14:15]
	v_mov_b64_e32 v[12:13], 0x3c2ccb103102e09b
	v_mov_b64_e32 v[14:15], 0xc000000037bfc808
	s_delay_alu instid0(VALU_DEP_3) | instskip(NEXT) | instid1(VALU_DEP_1)
	v_pk_fma_f32 v[10:11], v[4:5], v[8:9], v[10:11] neg_lo:[0,0,1] neg_hi:[0,0,1]
	v_pk_add_f32 v[10:11], v[10:11], v[12:13]
	v_mov_b64_e32 v[12:13], 0xbcc274f8348815e7
	s_delay_alu instid0(VALU_DEP_2) | instskip(NEXT) | instid1(VALU_DEP_1)
	v_pk_fma_f32 v[8:9], v[4:5], v[10:11], v[8:9] neg_lo:[0,0,1] neg_hi:[0,0,1]
	v_pk_add_f32 v[8:9], v[8:9], v[12:13]
	v_mov_b64_e32 v[12:13], 0x3d49f45637bfc808
	s_delay_alu instid0(VALU_DEP_2) | instskip(NEXT) | instid1(VALU_DEP_1)
	v_pk_fma_f32 v[10:11], v[4:5], v[8:9], v[10:11] neg_lo:[0,0,1] neg_hi:[0,0,1]
	v_mov_b32_e32 v16, v10
	s_delay_alu instid0(VALU_DEP_2) | instskip(SKIP_1) | instid1(VALU_DEP_3)
	v_pk_add_f32 v[10:11], v[10:11], v[12:13]
	v_mov_b32_e32 v12, v4
	v_pk_add_f32 v[14:15], v[16:17], v[14:15]
	s_delay_alu instid0(VALU_DEP_3) | instskip(NEXT) | instid1(VALU_DEP_1)
	v_mov_b32_e32 v13, v11
	v_pk_fma_f32 v[8:9], v[14:15], v[12:13], v[8:9] neg_lo:[0,0,1] neg_hi:[0,0,1]
	v_mov_b64_e32 v[12:13], 0x3e2fbd643d135fb3
	v_cndmask_b32_e64 v15, 0, 32, vcc_lo
	v_fma_f32 v14, 0x3fb8aa3b, v6, -v1
	v_sub_f32_e32 v1, v1, v3
	v_pk_add_f32 v[8:9], v[8:9], v[18:19]
	v_cvt_i32_f32_e32 v3, v3
	s_delay_alu instid0(VALU_DEP_4) | instskip(NEXT) | instid1(VALU_DEP_3)
	v_fmamk_f32 v14, v6, 0x32a5705f, v14
	v_pk_fma_f32 v[10:11], v[4:5], v[8:9], v[10:11] neg_lo:[0,0,1] neg_hi:[0,0,1]
	s_delay_alu instid0(VALU_DEP_1) | instskip(SKIP_1) | instid1(VALU_DEP_2)
	v_pk_add_f32 v[10:11], v[10:11], v[12:13]
	v_ldexp_f32 v12, v17, v15
	v_pk_fma_f32 v[8:9], v[4:5], v[10:11], v[8:9] neg_lo:[0,0,1] neg_hi:[0,0,1]
	s_delay_alu instid0(VALU_DEP_2) | instskip(SKIP_1) | instid1(VALU_DEP_2)
	v_log_f32_e32 v16, v12
	v_add_f32_e32 v1, v1, v14
	v_add_f32_e32 v9, 0xbe9bff5e, v9
	s_delay_alu instid0(VALU_DEP_3) | instskip(NEXT) | instid1(TRANS32_DEP_1)
	v_add_f32_e32 v8, 0x3eb046c4, v8
	v_mul_f32_e32 v12, 0x3f317217, v16
	s_delay_alu instid0(VALU_DEP_4) | instskip(NEXT) | instid1(VALU_DEP_2)
	v_exp_f32_e32 v1, v1
	v_dual_fma_f32 v5, v5, v9, -v11 :: v_dual_mul_f32 v4, v4, v8
	v_mov_b32_e32 v8, 0xbf090b37
	s_delay_alu instid0(VALU_DEP_2) | instskip(NEXT) | instid1(TRANS32_DEP_1)
	v_add_f32_e32 v5, 0x3f2d4275, v5
	v_ldexp_f32 v1, v1, v3
	v_fma_f32 v3, 0x3f317217, v16, -v12
	v_mov_b32_e32 v12, v10
	s_delay_alu instid0(VALU_DEP_4) | instskip(NEXT) | instid1(VALU_DEP_4)
	v_pk_add_f32 v[4:5], v[4:5], v[10:11] neg_lo:[0,1] neg_hi:[0,1]
	v_cndmask_b32_e64 v1, 0, v1, s0
	s_delay_alu instid0(VALU_DEP_4) | instskip(SKIP_1) | instid1(VALU_DEP_4)
	v_fmamk_f32 v3, v16, 0x3377d1cf, v3
	v_cmp_nlt_f32_e64 s0, 0x42b17218, v6
	v_pk_mul_f32 v[14:15], v[4:5], v[6:7]
	v_pk_add_f32 v[4:5], v[4:5], v[8:9]
	s_delay_alu instid0(VALU_DEP_4) | instskip(NEXT) | instid1(VALU_DEP_4)
	v_fmac_f32_e32 v3, 0x3f317217, v16
	v_cndmask_b32_e64 v13, 0x7f800000, v1, s0
	v_cndmask_b32_e64 v1, 0, 0x41b17218, vcc_lo
	v_cmp_gt_f32_e64 vcc_lo, 0x7f800000, |v16|
	v_pk_add_f32 v[4:5], v[4:5], v[10:11] neg_lo:[0,1] neg_hi:[0,1]
                                        ; implicit-def: $vgpr6
	s_delay_alu instid0(VALU_DEP_4) | instskip(SKIP_1) | instid1(VALU_DEP_1)
	v_pk_mul_f32 v[8:9], v[14:15], v[12:13]
	v_dual_mov_b32 v14, v7 :: v_dual_cndmask_b32 v3, v16, v3
	v_dual_mov_b32 v5, v9 :: v_dual_sub_f32 v15, v3, v1
	s_delay_alu instid0(VALU_DEP_1) | instskip(NEXT) | instid1(VALU_DEP_1)
	v_pk_mul_f32 v[4:5], v[14:15], v[4:5]
	v_sub_f32_e32 v1, v4, v5
	s_delay_alu instid0(VALU_DEP_1)
	v_mul_f32_e32 v4, v13, v1
.LBB19_309:
	s_and_not1_saveexec_b32 s25, s25
	s_cbranch_execz .LBB19_311
; %bb.310:
	v_div_scale_f32 v1, null, v6, v6, 0x41000000
	v_div_scale_f32 v5, vcc_lo, 0x41000000, v6, 0x41000000
	s_mov_b32 s0, 0x22c38d2e
	v_rcp_f32_e32 v3, v1
	v_nop
	s_delay_alu instid0(TRANS32_DEP_1) | instskip(NEXT) | instid1(VALU_DEP_1)
	v_fma_f32 v4, -v1, v3, 1.0
	v_fmac_f32_e32 v3, v4, v3
	s_delay_alu instid0(VALU_DEP_1) | instskip(NEXT) | instid1(VALU_DEP_1)
	v_mul_f32_e32 v4, v5, v3
	v_fma_f32 v7, -v1, v4, v5
	s_delay_alu instid0(VALU_DEP_1) | instskip(NEXT) | instid1(VALU_DEP_1)
	v_fmac_f32_e32 v4, v7, v3
	v_fma_f32 v1, -v1, v4, v5
	v_mul_f32_e32 v5, 0x4f800000, v6
	s_delay_alu instid0(VALU_DEP_2) | instskip(SKIP_1) | instid1(VALU_DEP_2)
	v_div_fmas_f32 v1, v1, v3, v4
	v_cmp_gt_f32_e32 vcc_lo, 0xf800000, v6
	v_div_fixup_f32 v1, v1, v6, 0x41000000
	s_delay_alu instid0(VALU_DEP_4) | instskip(NEXT) | instid1(VALU_DEP_2)
	v_cndmask_b32_e32 v5, v6, v5, vcc_lo
	v_add_f32_e32 v1, -2.0, v1
	s_delay_alu instid0(VALU_DEP_2) | instskip(SKIP_1) | instid1(TRANS32_DEP_1)
	v_sqrt_f32_e32 v6, v5
	v_nop
	v_dual_fmaak_f32 v3, s0, v1, 0xa397f665 :: v_dual_add_nc_u32 v8, 1, v6
	s_delay_alu instid0(VALU_DEP_1) | instskip(NEXT) | instid1(VALU_DEP_1)
	v_dual_fmaak_f32 v4, v1, v3, 0xa2c38d2e :: v_dual_add_nc_u32 v7, -1, v6
	v_fma_f32 v9, -v7, v6, v5
	s_delay_alu instid0(VALU_DEP_1) | instskip(NEXT) | instid1(VALU_DEP_1)
	v_cmp_ge_f32_e64 s0, 0, v9
	v_dual_fma_f32 v10, -v8, v6, v5 :: v_dual_cndmask_b32 v6, v6, v7, s0
	s_delay_alu instid0(VALU_DEP_1) | instskip(NEXT) | instid1(VALU_DEP_1)
	v_cmp_lt_f32_e64 s0, 0, v10
	v_cndmask_b32_e64 v6, v6, v8, s0
	v_add_f32_e32 v4, 0x24704972, v4
	s_delay_alu instid0(VALU_DEP_1) | instskip(NEXT) | instid1(VALU_DEP_1)
	v_fma_f32 v3, v1, v4, -v3
	v_add_f32_e32 v3, 0xa5417ca4, v3
	s_delay_alu instid0(VALU_DEP_1) | instskip(NEXT) | instid1(VALU_DEP_1)
	v_fma_f32 v4, v1, v3, -v4
	;; [unrolled: 3-line block ×21, first 2 shown]
	v_add_f32_e32 v3, 0xbd00cfb9, v3
	s_delay_alu instid0(VALU_DEP_1) | instskip(SKIP_1) | instid1(VALU_DEP_2)
	v_fma_f32 v1, v1, v3, -v4
	v_mul_f32_e32 v3, 0x37800000, v6
	v_add_f32_e32 v1, 0x401c2ded, v1
	s_delay_alu instid0(VALU_DEP_2) | instskip(SKIP_1) | instid1(VALU_DEP_1)
	v_cndmask_b32_e32 v3, v6, v3, vcc_lo
	v_cmp_class_f32_e64 vcc_lo, v5, 0x260
	v_dual_sub_f32 v1, v1, v4 :: v_dual_cndmask_b32 v3, v3, v5, vcc_lo
	s_delay_alu instid0(VALU_DEP_1) | instskip(NEXT) | instid1(VALU_DEP_1)
	v_mul_f32_e32 v1, 0.5, v1
	v_div_scale_f32 v4, null, v3, v3, v1
	s_delay_alu instid0(VALU_DEP_1) | instskip(SKIP_1) | instid1(TRANS32_DEP_1)
	v_rcp_f32_e32 v5, v4
	v_nop
	v_fma_f32 v6, -v4, v5, 1.0
	s_delay_alu instid0(VALU_DEP_1) | instskip(SKIP_1) | instid1(VALU_DEP_1)
	v_fmac_f32_e32 v5, v6, v5
	v_div_scale_f32 v6, vcc_lo, v1, v3, v1
	v_mul_f32_e32 v7, v6, v5
	s_delay_alu instid0(VALU_DEP_1) | instskip(NEXT) | instid1(VALU_DEP_1)
	v_fma_f32 v8, -v4, v7, v6
	v_fmac_f32_e32 v7, v8, v5
	s_delay_alu instid0(VALU_DEP_1) | instskip(NEXT) | instid1(VALU_DEP_1)
	v_fma_f32 v4, -v4, v7, v6
	v_div_fmas_f32 v4, v4, v5, v7
	s_delay_alu instid0(VALU_DEP_1)
	v_div_fixup_f32 v4, v4, v3, v1
.LBB19_311:
	s_or_b32 exec_lo, exec_lo, s25
.LBB19_312:
	s_delay_alu instid0(SALU_CYCLE_1)
	s_or_b32 exec_lo, exec_lo, s24
.LBB19_313:
	s_delay_alu instid0(SALU_CYCLE_1) | instskip(SKIP_2) | instid1(SALU_CYCLE_1)
	s_or_b32 exec_lo, exec_lo, s23
	v_mov_b32_e32 v3, 0
	s_and_b32 s23, s34, 0xff
	s_cmp_lt_i32 s23, 11
	s_delay_alu instid0(VALU_DEP_1)
	v_add_nc_u64_e32 v[2:3], s[4:5], v[2:3]
	s_cbranch_scc1 .LBB19_321
; %bb.314:
	s_and_b32 s24, 0xffff, s23
	s_delay_alu instid0(SALU_CYCLE_1)
	s_cmp_gt_i32 s24, 25
	s_cbranch_scc0 .LBB19_323
; %bb.315:
	s_cmp_gt_i32 s24, 28
	s_cbranch_scc0 .LBB19_325
; %bb.316:
	s_cmp_gt_i32 s24, 43
	s_cbranch_scc0 .LBB19_329
; %bb.317:
	s_cmp_gt_i32 s24, 45
	s_cbranch_scc0 .LBB19_337
; %bb.318:
	s_mov_b32 s26, 0
	s_mov_b32 s0, -1
	s_cmp_eq_u32 s24, 46
	s_mov_b32 s25, 0
	s_cbranch_scc0 .LBB19_338
; %bb.319:
	v_bfe_u32 v1, v4, 16, 1
	v_cmp_o_f32_e32 vcc_lo, v4, v4
	s_mov_b32 s25, -1
	s_mov_b32 s0, 0
	s_delay_alu instid0(VALU_DEP_2) | instskip(NEXT) | instid1(VALU_DEP_1)
	v_add3_u32 v1, v4, v1, 0x7fff
	v_lshrrev_b32_e32 v1, 16, v1
	s_delay_alu instid0(VALU_DEP_1)
	v_cndmask_b32_e32 v1, 0x7fc0, v1, vcc_lo
	global_store_b32 v[2:3], v1, off
	s_branch .LBB19_338
.LBB19_320:
	s_mov_b32 s24, -1
	s_mov_b32 s23, 0
	s_mov_b32 s22, s40
                                        ; implicit-def: $vgpr6
	s_branch .LBB19_475
.LBB19_321:
	s_mov_b32 s24, -1
	s_mov_b32 s25, 0
	s_mov_b32 s0, s39
	s_branch .LBB19_407
.LBB19_322:
	s_mov_b32 s24, -1
	s_mov_b32 s23, 0
	s_mov_b32 s22, s40
                                        ; implicit-def: $vgpr6
	s_branch .LBB19_456
.LBB19_323:
	s_mov_b32 s26, -1
	s_mov_b32 s25, 0
	s_mov_b32 s0, s39
	s_branch .LBB19_365
.LBB19_324:
	s_mov_b32 s24, -1
	s_mov_b32 s23, 0
	s_mov_b32 s22, s40
                                        ; implicit-def: $vgpr6
	s_branch .LBB19_451
.LBB19_325:
	s_mov_b32 s26, -1
	s_mov_b32 s25, 0
	s_mov_b32 s0, s39
	s_branch .LBB19_348
.LBB19_326:
	s_and_not1_saveexec_b32 s27, s27
	s_cbranch_execz .LBB19_77
.LBB19_327:
	v_add_f32_e64 v1, 0x46000000, |v4|
	s_and_not1_b32 s26, s26, exec_lo
	s_delay_alu instid0(VALU_DEP_1) | instskip(NEXT) | instid1(VALU_DEP_1)
	v_and_b32_e32 v1, 0xff, v1
	v_cmp_ne_u32_e32 vcc_lo, 0, v1
	s_and_b32 s39, vcc_lo, exec_lo
	s_delay_alu instid0(SALU_CYCLE_1)
	s_or_b32 s26, s26, s39
	s_or_b32 exec_lo, exec_lo, s27
	v_mov_b32_e32 v5, 0
	s_and_saveexec_b32 s27, s26
	s_cbranch_execnz .LBB19_78
	s_branch .LBB19_79
.LBB19_328:
	s_mov_b32 s24, -1
	s_mov_b32 s23, 0
	s_mov_b32 s22, s40
	s_branch .LBB19_333
.LBB19_329:
	s_mov_b32 s26, -1
	s_mov_b32 s25, 0
	s_mov_b32 s0, s39
	s_branch .LBB19_344
.LBB19_330:
	s_and_not1_saveexec_b32 s27, s27
	s_cbranch_execz .LBB19_90
.LBB19_331:
	v_add_f32_e64 v1, 0x42800000, |v4|
	s_and_not1_b32 s26, s26, exec_lo
	s_delay_alu instid0(VALU_DEP_1) | instskip(NEXT) | instid1(VALU_DEP_1)
	v_and_b32_e32 v1, 0xff, v1
	v_cmp_ne_u32_e32 vcc_lo, 0, v1
	s_and_b32 s39, vcc_lo, exec_lo
	s_delay_alu instid0(SALU_CYCLE_1)
	s_or_b32 s26, s26, s39
	s_or_b32 exec_lo, exec_lo, s27
	v_mov_b32_e32 v5, 0
	s_and_saveexec_b32 s27, s26
	s_cbranch_execnz .LBB19_91
	s_branch .LBB19_92
.LBB19_332:
	s_mov_b32 s22, -1
	s_mov_b32 s23, 0
.LBB19_333:
                                        ; implicit-def: $vgpr6
.LBB19_334:
	s_and_b32 vcc_lo, exec_lo, s24
	s_cbranch_vccz .LBB19_450
; %bb.335:
	s_cmp_eq_u32 s0, 44
	s_cbranch_scc0 .LBB19_449
; %bb.336:
	global_load_u8 v1, v[4:5], off
	s_mov_b32 s22, 0
	s_mov_b32 s23, -1
	s_wait_loadcnt 0x0
	v_lshlrev_b32_e32 v3, 23, v1
	v_cmp_ne_u32_e32 vcc_lo, 0xff, v1
	s_delay_alu instid0(VALU_DEP_2) | instskip(SKIP_1) | instid1(VALU_DEP_2)
	v_cndmask_b32_e32 v3, 0x7f800001, v3, vcc_lo
	v_cmp_ne_u32_e32 vcc_lo, 0, v1
	v_cndmask_b32_e32 v6, 0x400000, v3, vcc_lo
	s_branch .LBB19_450
.LBB19_337:
	s_mov_b32 s26, -1
	s_mov_b32 s25, 0
	s_mov_b32 s0, s39
.LBB19_338:
	s_and_b32 vcc_lo, exec_lo, s26
	s_cbranch_vccz .LBB19_343
; %bb.339:
	s_cmp_eq_u32 s24, 44
	s_mov_b32 s0, -1
	s_cbranch_scc0 .LBB19_343
; %bb.340:
	v_bfe_u32 v5, v4, 23, 8
	s_wait_xcnt 0x0
	v_mov_b32_e32 v1, 0xff
	s_mov_b32 s25, exec_lo
	s_delay_alu instid0(VALU_DEP_2)
	v_cmpx_ne_u32_e32 0xff, v5
	s_cbranch_execz .LBB19_342
; %bb.341:
	v_and_b32_e32 v1, 0x400000, v4
	v_and_or_b32 v5, 0x3fffff, v4, v5
	s_delay_alu instid0(VALU_DEP_2) | instskip(NEXT) | instid1(VALU_DEP_2)
	v_cmp_ne_u32_e32 vcc_lo, 0, v1
	v_cmp_ne_u32_e64 s0, 0, v5
	v_lshrrev_b32_e32 v1, 23, v4
	s_and_b32 s0, vcc_lo, s0
	s_delay_alu instid0(SALU_CYCLE_1) | instskip(NEXT) | instid1(VALU_DEP_1)
	v_cndmask_b32_e64 v5, 0, 1, s0
	v_add_nc_u32_e32 v1, v1, v5
.LBB19_342:
	s_or_b32 exec_lo, exec_lo, s25
	s_mov_b32 s25, -1
	s_mov_b32 s0, 0
	global_store_b8 v[2:3], v1, off
.LBB19_343:
	s_mov_b32 s26, 0
.LBB19_344:
	s_delay_alu instid0(SALU_CYCLE_1)
	s_and_b32 vcc_lo, exec_lo, s26
	s_cbranch_vccz .LBB19_347
; %bb.345:
	s_cmp_eq_u32 s24, 29
	s_mov_b32 s0, -1
	s_cbranch_scc0 .LBB19_347
; %bb.346:
	s_wait_xcnt 0x0
	v_trunc_f32_e32 v1, v4
	s_mov_b32 s25, -1
	s_mov_b32 s0, 0
	s_mov_b32 s26, 0
	s_delay_alu instid0(VALU_DEP_1) | instskip(NEXT) | instid1(VALU_DEP_1)
	v_mul_f32_e32 v5, 0x2f800000, v1
	v_floor_f32_e32 v5, v5
	s_delay_alu instid0(VALU_DEP_1) | instskip(SKIP_1) | instid1(VALU_DEP_2)
	v_fmamk_f32 v1, v5, 0xcf800000, v1
	v_cvt_u32_f32_e32 v7, v5
	v_cvt_u32_f32_e32 v6, v1
	global_store_b64 v[2:3], v[6:7], off
	s_branch .LBB19_348
.LBB19_347:
	s_mov_b32 s26, 0
.LBB19_348:
	s_delay_alu instid0(SALU_CYCLE_1)
	s_and_b32 vcc_lo, exec_lo, s26
	s_cbranch_vccz .LBB19_364
; %bb.349:
	s_cmp_lt_i32 s24, 27
	s_mov_b32 s25, -1
	s_cbranch_scc1 .LBB19_355
; %bb.350:
	s_wait_xcnt 0x0
	v_cvt_u32_f32_e32 v1, v4
	s_cmp_gt_i32 s24, 27
	s_cbranch_scc0 .LBB19_352
; %bb.351:
	s_mov_b32 s25, 0
	global_store_b32 v[2:3], v1, off
.LBB19_352:
	s_and_not1_b32 vcc_lo, exec_lo, s25
	s_cbranch_vccnz .LBB19_354
; %bb.353:
	global_store_b16 v[2:3], v1, off
.LBB19_354:
	s_mov_b32 s25, 0
.LBB19_355:
	s_delay_alu instid0(SALU_CYCLE_1)
	s_and_not1_b32 vcc_lo, exec_lo, s25
	s_cbranch_vccnz .LBB19_363
; %bb.356:
	s_wait_xcnt 0x0
	v_and_b32_e32 v1, 0x7fffffff, v4
	v_mov_b32_e32 v5, 0x80
	s_mov_b32 s25, exec_lo
	s_delay_alu instid0(VALU_DEP_2)
	v_cmpx_gt_u32_e32 0x43800000, v1
	s_cbranch_execz .LBB19_362
; %bb.357:
	v_cmp_lt_u32_e32 vcc_lo, 0x3bffffff, v1
	s_mov_b32 s26, 0
                                        ; implicit-def: $vgpr1
	s_and_saveexec_b32 s27, vcc_lo
	s_delay_alu instid0(SALU_CYCLE_1)
	s_xor_b32 s27, exec_lo, s27
	s_cbranch_execz .LBB19_592
; %bb.358:
	v_bfe_u32 v1, v4, 20, 1
	s_mov_b32 s26, exec_lo
	s_delay_alu instid0(VALU_DEP_1) | instskip(NEXT) | instid1(VALU_DEP_1)
	v_add3_u32 v1, v4, v1, 0x487ffff
	v_lshrrev_b32_e32 v1, 20, v1
	s_and_not1_saveexec_b32 s27, s27
	s_cbranch_execnz .LBB19_593
.LBB19_359:
	s_or_b32 exec_lo, exec_lo, s27
	v_mov_b32_e32 v5, 0
	s_and_saveexec_b32 s27, s26
.LBB19_360:
	v_lshrrev_b32_e32 v5, 24, v4
	s_delay_alu instid0(VALU_DEP_1)
	v_and_or_b32 v5, 0x80, v5, v1
.LBB19_361:
	s_or_b32 exec_lo, exec_lo, s27
.LBB19_362:
	s_delay_alu instid0(SALU_CYCLE_1)
	s_or_b32 exec_lo, exec_lo, s25
	global_store_b8 v[2:3], v5, off
.LBB19_363:
	s_mov_b32 s25, -1
.LBB19_364:
	s_mov_b32 s26, 0
.LBB19_365:
	s_delay_alu instid0(SALU_CYCLE_1)
	s_and_b32 vcc_lo, exec_lo, s26
	s_cbranch_vccz .LBB19_406
; %bb.366:
	s_cmp_gt_i32 s24, 22
	s_mov_b32 s26, -1
	s_cbranch_scc0 .LBB19_398
; %bb.367:
	s_cmp_lt_i32 s24, 24
	s_mov_b32 s25, -1
	s_cbranch_scc1 .LBB19_387
; %bb.368:
	s_cmp_gt_i32 s24, 24
	s_cbranch_scc0 .LBB19_376
; %bb.369:
	s_wait_xcnt 0x0
	v_and_b32_e32 v1, 0x7fffffff, v4
	v_mov_b32_e32 v5, 0x80
	s_mov_b32 s25, exec_lo
	s_delay_alu instid0(VALU_DEP_2)
	v_cmpx_gt_u32_e32 0x47800000, v1
	s_cbranch_execz .LBB19_375
; %bb.370:
	v_cmp_lt_u32_e32 vcc_lo, 0x37ffffff, v1
	s_mov_b32 s26, 0
                                        ; implicit-def: $vgpr1
	s_and_saveexec_b32 s27, vcc_lo
	s_delay_alu instid0(SALU_CYCLE_1)
	s_xor_b32 s27, exec_lo, s27
	s_cbranch_execz .LBB19_595
; %bb.371:
	v_bfe_u32 v1, v4, 21, 1
	s_mov_b32 s26, exec_lo
	s_delay_alu instid0(VALU_DEP_1) | instskip(NEXT) | instid1(VALU_DEP_1)
	v_add3_u32 v1, v4, v1, 0x88fffff
	v_lshrrev_b32_e32 v1, 21, v1
	s_and_not1_saveexec_b32 s27, s27
	s_cbranch_execnz .LBB19_596
.LBB19_372:
	s_or_b32 exec_lo, exec_lo, s27
	v_mov_b32_e32 v5, 0
	s_and_saveexec_b32 s27, s26
.LBB19_373:
	v_lshrrev_b32_e32 v5, 24, v4
	s_delay_alu instid0(VALU_DEP_1)
	v_and_or_b32 v5, 0x80, v5, v1
.LBB19_374:
	s_or_b32 exec_lo, exec_lo, s27
.LBB19_375:
	s_delay_alu instid0(SALU_CYCLE_1)
	s_or_b32 exec_lo, exec_lo, s25
	s_mov_b32 s25, 0
	global_store_b8 v[2:3], v5, off
.LBB19_376:
	s_and_b32 vcc_lo, exec_lo, s25
	s_cbranch_vccz .LBB19_386
; %bb.377:
	s_wait_xcnt 0x0
	v_and_b32_e32 v5, 0x7fffffff, v4
	s_mov_b32 s25, exec_lo
                                        ; implicit-def: $vgpr1
	s_delay_alu instid0(VALU_DEP_1)
	v_cmpx_gt_u32_e32 0x43f00000, v5
	s_xor_b32 s25, exec_lo, s25
	s_cbranch_execz .LBB19_383
; %bb.378:
	s_mov_b32 s26, exec_lo
                                        ; implicit-def: $vgpr1
	v_cmpx_lt_u32_e32 0x3c7fffff, v5
	s_xor_b32 s26, exec_lo, s26
; %bb.379:
	v_bfe_u32 v1, v4, 20, 1
	s_delay_alu instid0(VALU_DEP_1) | instskip(NEXT) | instid1(VALU_DEP_1)
	v_add3_u32 v1, v4, v1, 0x407ffff
	v_and_b32_e32 v5, 0xff00000, v1
	v_lshrrev_b32_e32 v1, 20, v1
	s_delay_alu instid0(VALU_DEP_2) | instskip(NEXT) | instid1(VALU_DEP_2)
	v_cmp_ne_u32_e32 vcc_lo, 0x7f00000, v5
	v_cndmask_b32_e32 v1, 0x7e, v1, vcc_lo
; %bb.380:
	s_and_not1_saveexec_b32 s26, s26
; %bb.381:
	v_add_f32_e64 v1, 0x46800000, |v4|
; %bb.382:
	s_or_b32 exec_lo, exec_lo, s26
                                        ; implicit-def: $vgpr5
.LBB19_383:
	s_and_not1_saveexec_b32 s25, s25
; %bb.384:
	v_mov_b32_e32 v1, 0x7f
	v_cmp_lt_u32_e32 vcc_lo, 0x7f800000, v5
	s_delay_alu instid0(VALU_DEP_2)
	v_cndmask_b32_e32 v1, 0x7e, v1, vcc_lo
; %bb.385:
	s_or_b32 exec_lo, exec_lo, s25
	v_lshrrev_b32_e32 v5, 24, v4
	s_delay_alu instid0(VALU_DEP_1)
	v_and_or_b32 v1, 0x80, v5, v1
	global_store_b8 v[2:3], v1, off
.LBB19_386:
	s_mov_b32 s25, 0
.LBB19_387:
	s_delay_alu instid0(SALU_CYCLE_1)
	s_and_not1_b32 vcc_lo, exec_lo, s25
	s_cbranch_vccnz .LBB19_397
; %bb.388:
	s_wait_xcnt 0x0
	v_and_b32_e32 v5, 0x7fffffff, v4
	s_mov_b32 s25, exec_lo
                                        ; implicit-def: $vgpr1
	s_delay_alu instid0(VALU_DEP_1)
	v_cmpx_gt_u32_e32 0x47800000, v5
	s_xor_b32 s25, exec_lo, s25
	s_cbranch_execz .LBB19_394
; %bb.389:
	s_mov_b32 s26, exec_lo
                                        ; implicit-def: $vgpr1
	v_cmpx_lt_u32_e32 0x387fffff, v5
	s_xor_b32 s26, exec_lo, s26
; %bb.390:
	v_bfe_u32 v1, v4, 21, 1
	s_delay_alu instid0(VALU_DEP_1) | instskip(NEXT) | instid1(VALU_DEP_1)
	v_add3_u32 v1, v4, v1, 0x80fffff
	v_lshrrev_b32_e32 v1, 21, v1
; %bb.391:
	s_and_not1_saveexec_b32 s26, s26
; %bb.392:
	v_add_f32_e64 v1, 0x43000000, |v4|
; %bb.393:
	s_or_b32 exec_lo, exec_lo, s26
                                        ; implicit-def: $vgpr5
.LBB19_394:
	s_and_not1_saveexec_b32 s25, s25
; %bb.395:
	v_mov_b32_e32 v1, 0x7f
	v_cmp_lt_u32_e32 vcc_lo, 0x7f800000, v5
	s_delay_alu instid0(VALU_DEP_2)
	v_cndmask_b32_e32 v1, 0x7c, v1, vcc_lo
; %bb.396:
	s_or_b32 exec_lo, exec_lo, s25
	v_lshrrev_b32_e32 v5, 24, v4
	s_delay_alu instid0(VALU_DEP_1)
	v_and_or_b32 v1, 0x80, v5, v1
	global_store_b8 v[2:3], v1, off
.LBB19_397:
	s_mov_b32 s26, 0
	s_mov_b32 s25, -1
.LBB19_398:
	s_and_not1_b32 vcc_lo, exec_lo, s26
	s_cbranch_vccnz .LBB19_406
; %bb.399:
	s_cmp_gt_i32 s24, 14
	s_mov_b32 s26, -1
	s_cbranch_scc0 .LBB19_403
; %bb.400:
	s_cmp_eq_u32 s24, 15
	s_mov_b32 s0, -1
	s_cbranch_scc0 .LBB19_402
; %bb.401:
	s_wait_xcnt 0x0
	v_bfe_u32 v1, v4, 16, 1
	v_cmp_o_f32_e32 vcc_lo, v4, v4
	s_mov_b32 s25, -1
	s_mov_b32 s0, 0
	s_delay_alu instid0(VALU_DEP_2) | instskip(NEXT) | instid1(VALU_DEP_1)
	v_add3_u32 v1, v4, v1, 0x7fff
	v_lshrrev_b32_e32 v1, 16, v1
	s_delay_alu instid0(VALU_DEP_1)
	v_cndmask_b32_e32 v1, 0x7fc0, v1, vcc_lo
	global_store_b16 v[2:3], v1, off
.LBB19_402:
	s_mov_b32 s26, 0
.LBB19_403:
	s_delay_alu instid0(SALU_CYCLE_1)
	s_and_b32 vcc_lo, exec_lo, s26
	s_cbranch_vccz .LBB19_406
; %bb.404:
	s_cmp_eq_u32 s24, 11
	s_mov_b32 s0, -1
	s_cbranch_scc0 .LBB19_406
; %bb.405:
	v_cmp_neq_f32_e32 vcc_lo, 0, v4
	s_mov_b32 s0, 0
	s_mov_b32 s25, -1
	s_wait_xcnt 0x0
	v_cndmask_b32_e64 v1, 0, 1, vcc_lo
	global_store_b8 v[2:3], v1, off
.LBB19_406:
	s_mov_b32 s24, 0
.LBB19_407:
	s_delay_alu instid0(SALU_CYCLE_1)
	s_and_b32 vcc_lo, exec_lo, s24
	s_cbranch_vccz .LBB19_446
; %bb.408:
	s_and_b32 s23, 0xffff, s23
	s_mov_b32 s24, -1
	s_cmp_lt_i32 s23, 5
	s_cbranch_scc1 .LBB19_429
; %bb.409:
	s_cmp_lt_i32 s23, 8
	s_cbranch_scc1 .LBB19_419
; %bb.410:
	s_cmp_lt_i32 s23, 9
	s_cbranch_scc1 .LBB19_416
; %bb.411:
	s_cmp_gt_i32 s23, 9
	s_cbranch_scc0 .LBB19_413
; %bb.412:
	s_wait_xcnt 0x0
	v_cvt_f64_f32_e32 v[6:7], v4
	v_mov_b32_e32 v8, 0
	s_mov_b32 s24, 0
	s_delay_alu instid0(VALU_DEP_1)
	v_mov_b32_e32 v9, v8
	global_store_b128 v[2:3], v[6:9], off
.LBB19_413:
	s_and_not1_b32 vcc_lo, exec_lo, s24
	s_cbranch_vccnz .LBB19_415
; %bb.414:
	s_wait_xcnt 0x0
	v_mov_b32_e32 v5, 0
	global_store_b64 v[2:3], v[4:5], off
.LBB19_415:
	s_mov_b32 s24, 0
.LBB19_416:
	s_delay_alu instid0(SALU_CYCLE_1)
	s_and_not1_b32 vcc_lo, exec_lo, s24
	s_cbranch_vccnz .LBB19_418
; %bb.417:
	s_wait_xcnt 0x0
	v_cvt_f16_f32_e32 v1, v4
	s_delay_alu instid0(VALU_DEP_1)
	v_and_b32_e32 v1, 0xffff, v1
	global_store_b32 v[2:3], v1, off
.LBB19_418:
	s_mov_b32 s24, 0
.LBB19_419:
	s_delay_alu instid0(SALU_CYCLE_1)
	s_and_not1_b32 vcc_lo, exec_lo, s24
	s_cbranch_vccnz .LBB19_428
; %bb.420:
	s_cmp_lt_i32 s23, 6
	s_mov_b32 s24, -1
	s_cbranch_scc1 .LBB19_426
; %bb.421:
	s_cmp_gt_i32 s23, 6
	s_cbranch_scc0 .LBB19_423
; %bb.422:
	s_wait_xcnt 0x0
	v_cvt_f64_f32_e32 v[6:7], v4
	s_mov_b32 s24, 0
	global_store_b64 v[2:3], v[6:7], off
.LBB19_423:
	s_and_not1_b32 vcc_lo, exec_lo, s24
	s_cbranch_vccnz .LBB19_425
; %bb.424:
	global_store_b32 v[2:3], v4, off
.LBB19_425:
	s_mov_b32 s24, 0
.LBB19_426:
	s_delay_alu instid0(SALU_CYCLE_1)
	s_and_not1_b32 vcc_lo, exec_lo, s24
	s_cbranch_vccnz .LBB19_428
; %bb.427:
	s_wait_xcnt 0x0
	v_cvt_f16_f32_e32 v1, v4
	global_store_b16 v[2:3], v1, off
.LBB19_428:
	s_mov_b32 s24, 0
.LBB19_429:
	s_delay_alu instid0(SALU_CYCLE_1)
	s_and_not1_b32 vcc_lo, exec_lo, s24
	s_cbranch_vccnz .LBB19_445
; %bb.430:
	s_cmp_lt_i32 s23, 2
	s_mov_b32 s24, -1
	s_cbranch_scc1 .LBB19_440
; %bb.431:
	s_cmp_lt_i32 s23, 3
	s_cbranch_scc1 .LBB19_437
; %bb.432:
	s_cmp_gt_i32 s23, 3
	s_cbranch_scc0 .LBB19_434
; %bb.433:
	s_wait_xcnt 0x0
	v_trunc_f32_e32 v1, v4
	s_mov_b32 s24, 0
	s_delay_alu instid0(VALU_DEP_1) | instskip(SKIP_1) | instid1(VALU_DEP_2)
	v_mul_f32_e64 v5, 0x2f800000, |v1|
	v_ashrrev_i32_e32 v6, 31, v1
	v_floor_f32_e32 v5, v5
	s_delay_alu instid0(VALU_DEP_1) | instskip(SKIP_1) | instid1(VALU_DEP_2)
	v_fma_f32 v7, 0xcf800000, v5, |v1|
	v_cvt_u32_f32_e32 v1, v5
	v_cvt_u32_f32_e32 v5, v7
	s_delay_alu instid0(VALU_DEP_2) | instskip(NEXT) | instid1(VALU_DEP_2)
	v_dual_mov_b32 v7, v6 :: v_dual_bitop2_b32 v9, v1, v6 bitop3:0x14
	v_xor_b32_e32 v8, v5, v6
	s_delay_alu instid0(VALU_DEP_1)
	v_sub_nc_u64_e32 v[6:7], v[8:9], v[6:7]
	global_store_b64 v[2:3], v[6:7], off
.LBB19_434:
	s_and_not1_b32 vcc_lo, exec_lo, s24
	s_cbranch_vccnz .LBB19_436
; %bb.435:
	s_wait_xcnt 0x0
	v_cvt_i32_f32_e32 v1, v4
	global_store_b32 v[2:3], v1, off
.LBB19_436:
	s_mov_b32 s24, 0
.LBB19_437:
	s_delay_alu instid0(SALU_CYCLE_1)
	s_and_not1_b32 vcc_lo, exec_lo, s24
	s_cbranch_vccnz .LBB19_439
; %bb.438:
	s_wait_xcnt 0x0
	v_cvt_i32_f32_e32 v1, v4
	global_store_b16 v[2:3], v1, off
.LBB19_439:
	s_mov_b32 s24, 0
.LBB19_440:
	s_delay_alu instid0(SALU_CYCLE_1)
	s_and_not1_b32 vcc_lo, exec_lo, s24
	s_cbranch_vccnz .LBB19_445
; %bb.441:
	s_cmp_gt_i32 s23, 0
	s_mov_b32 s23, -1
	s_cbranch_scc0 .LBB19_443
; %bb.442:
	s_wait_xcnt 0x0
	v_cvt_i32_f32_e32 v1, v4
	s_mov_b32 s23, 0
	global_store_b8 v[2:3], v1, off
.LBB19_443:
	s_and_not1_b32 vcc_lo, exec_lo, s23
	s_cbranch_vccnz .LBB19_445
; %bb.444:
	s_wait_xcnt 0x0
	v_trunc_f32_e32 v1, v4
	s_delay_alu instid0(VALU_DEP_1) | instskip(NEXT) | instid1(VALU_DEP_1)
	v_mul_f32_e64 v4, 0x2f800000, |v1|
	v_floor_f32_e32 v4, v4
	s_delay_alu instid0(VALU_DEP_1) | instskip(SKIP_1) | instid1(VALU_DEP_2)
	v_fma_f32 v4, 0xcf800000, v4, |v1|
	v_ashrrev_i32_e32 v1, 31, v1
	v_cvt_u32_f32_e32 v4, v4
	s_delay_alu instid0(VALU_DEP_1) | instskip(NEXT) | instid1(VALU_DEP_1)
	v_xor_b32_e32 v4, v4, v1
	v_sub_nc_u32_e32 v1, v4, v1
	global_store_b8 v[2:3], v1, off
.LBB19_445:
	s_mov_b32 s25, -1
.LBB19_446:
	s_delay_alu instid0(SALU_CYCLE_1)
	s_and_not1_b32 vcc_lo, exec_lo, s25
	s_cbranch_vccnz .LBB19_448
; %bb.447:
	v_add_nc_u32_e32 v0, 0x80, v0
	s_mov_b32 s23, -1
	s_branch .LBB19_561
.LBB19_448:
	s_mov_b32 s23, 0
	s_branch .LBB19_560
.LBB19_449:
	s_mov_b32 s22, -1
                                        ; implicit-def: $vgpr6
.LBB19_450:
	s_mov_b32 s24, 0
.LBB19_451:
	s_delay_alu instid0(SALU_CYCLE_1)
	s_and_b32 vcc_lo, exec_lo, s24
	s_cbranch_vccz .LBB19_455
; %bb.452:
	s_cmp_eq_u32 s0, 29
	s_cbranch_scc0 .LBB19_454
; %bb.453:
	s_wait_loadcnt 0x0
	global_load_b64 v[6:7], v[4:5], off
	s_mov_b32 s23, -1
	s_mov_b32 s22, 0
	s_mov_b32 s24, 0
	s_wait_loadcnt 0x0
	v_clz_i32_u32_e32 v1, v7
	s_delay_alu instid0(VALU_DEP_1) | instskip(NEXT) | instid1(VALU_DEP_1)
	v_min_u32_e32 v1, 32, v1
	v_lshlrev_b64_e32 v[6:7], v1, v[6:7]
	v_sub_nc_u32_e32 v1, 32, v1
	s_delay_alu instid0(VALU_DEP_2) | instskip(NEXT) | instid1(VALU_DEP_1)
	v_min_u32_e32 v3, 1, v6
	v_or_b32_e32 v3, v7, v3
	s_delay_alu instid0(VALU_DEP_1) | instskip(NEXT) | instid1(VALU_DEP_1)
	v_cvt_f32_u32_e32 v3, v3
	v_ldexp_f32 v6, v3, v1
	s_branch .LBB19_456
.LBB19_454:
	s_mov_b32 s22, -1
                                        ; implicit-def: $vgpr6
.LBB19_455:
	s_mov_b32 s24, 0
.LBB19_456:
	s_delay_alu instid0(SALU_CYCLE_1)
	s_and_b32 vcc_lo, exec_lo, s24
	s_cbranch_vccz .LBB19_474
; %bb.457:
	s_cmp_lt_i32 s0, 27
	s_cbranch_scc1 .LBB19_460
; %bb.458:
	s_cmp_gt_i32 s0, 27
	s_cbranch_scc0 .LBB19_461
; %bb.459:
	global_load_b32 v1, v[4:5], off
	s_mov_b32 s23, 0
	s_wait_loadcnt 0x0
	v_cvt_f32_u32_e32 v6, v1
	s_branch .LBB19_462
.LBB19_460:
	s_mov_b32 s23, -1
                                        ; implicit-def: $vgpr6
	s_branch .LBB19_465
.LBB19_461:
	s_mov_b32 s23, -1
                                        ; implicit-def: $vgpr6
.LBB19_462:
	s_delay_alu instid0(SALU_CYCLE_1)
	s_and_not1_b32 vcc_lo, exec_lo, s23
	s_cbranch_vccnz .LBB19_464
; %bb.463:
	global_load_u16 v1, v[4:5], off
	s_wait_loadcnt 0x0
	v_cvt_f32_u32_e32 v6, v1
.LBB19_464:
	s_mov_b32 s23, 0
.LBB19_465:
	s_delay_alu instid0(SALU_CYCLE_1)
	s_and_not1_b32 vcc_lo, exec_lo, s23
	s_cbranch_vccnz .LBB19_473
; %bb.466:
	global_load_u8 v1, v[4:5], off
	s_mov_b32 s23, 0
	s_mov_b32 s24, exec_lo
	s_wait_loadcnt 0x0
	v_cmpx_lt_i16_e32 0x7f, v1
	s_xor_b32 s24, exec_lo, s24
	s_cbranch_execz .LBB19_487
; %bb.467:
	s_mov_b32 s23, -1
	s_mov_b32 s25, exec_lo
	v_cmpx_eq_u16_e32 0x80, v1
; %bb.468:
	s_xor_b32 s23, exec_lo, -1
; %bb.469:
	s_or_b32 exec_lo, exec_lo, s25
	s_delay_alu instid0(SALU_CYCLE_1)
	s_and_b32 s23, s23, exec_lo
	s_or_saveexec_b32 s24, s24
	v_mov_b32_e32 v6, 0x7f800001
	s_xor_b32 exec_lo, exec_lo, s24
	s_cbranch_execnz .LBB19_488
.LBB19_470:
	s_or_b32 exec_lo, exec_lo, s24
	s_and_saveexec_b32 s24, s23
	s_cbranch_execz .LBB19_472
.LBB19_471:
	v_and_b32_e32 v3, 0xffff, v1
	s_delay_alu instid0(VALU_DEP_1) | instskip(SKIP_1) | instid1(VALU_DEP_2)
	v_dual_lshlrev_b32 v1, 24, v1 :: v_dual_bitop2_b32 v6, 7, v3 bitop3:0x40
	v_bfe_u32 v9, v3, 3, 4
	v_and_b32_e32 v1, 0x80000000, v1
	s_delay_alu instid0(VALU_DEP_3) | instskip(NEXT) | instid1(VALU_DEP_3)
	v_clz_i32_u32_e32 v7, v6
	v_cmp_eq_u32_e32 vcc_lo, 0, v9
	s_delay_alu instid0(VALU_DEP_2) | instskip(NEXT) | instid1(VALU_DEP_1)
	v_min_u32_e32 v7, 32, v7
	v_subrev_nc_u32_e32 v8, 28, v7
	v_sub_nc_u32_e32 v7, 29, v7
	s_delay_alu instid0(VALU_DEP_2) | instskip(NEXT) | instid1(VALU_DEP_2)
	v_lshlrev_b32_e32 v3, v8, v3
	v_cndmask_b32_e32 v7, v9, v7, vcc_lo
	s_delay_alu instid0(VALU_DEP_2) | instskip(NEXT) | instid1(VALU_DEP_1)
	v_and_b32_e32 v3, 7, v3
	v_cndmask_b32_e32 v3, v6, v3, vcc_lo
	s_delay_alu instid0(VALU_DEP_3) | instskip(NEXT) | instid1(VALU_DEP_2)
	v_lshl_add_u32 v6, v7, 23, 0x3b800000
	v_lshlrev_b32_e32 v3, 20, v3
	s_delay_alu instid0(VALU_DEP_1)
	v_or3_b32 v6, v1, v6, v3
.LBB19_472:
	s_or_b32 exec_lo, exec_lo, s24
.LBB19_473:
	s_mov_b32 s23, -1
.LBB19_474:
	s_mov_b32 s24, 0
.LBB19_475:
	s_delay_alu instid0(SALU_CYCLE_1)
	s_and_b32 vcc_lo, exec_lo, s24
	s_cbranch_vccz .LBB19_510
; %bb.476:
	s_cmp_gt_i32 s0, 22
	s_cbranch_scc0 .LBB19_486
; %bb.477:
	s_cmp_lt_i32 s0, 24
	s_cbranch_scc1 .LBB19_489
; %bb.478:
	s_cmp_gt_i32 s0, 24
	s_cbranch_scc0 .LBB19_490
; %bb.479:
	global_load_u8 v1, v[4:5], off
	s_mov_b32 s23, 0
	s_mov_b32 s24, exec_lo
	s_wait_loadcnt 0x0
	v_cmpx_lt_i16_e32 0x7f, v1
	s_xor_b32 s24, exec_lo, s24
	s_cbranch_execz .LBB19_502
; %bb.480:
	s_mov_b32 s23, -1
	s_mov_b32 s25, exec_lo
	v_cmpx_eq_u16_e32 0x80, v1
; %bb.481:
	s_xor_b32 s23, exec_lo, -1
; %bb.482:
	s_or_b32 exec_lo, exec_lo, s25
	s_delay_alu instid0(SALU_CYCLE_1)
	s_and_b32 s23, s23, exec_lo
	s_or_saveexec_b32 s24, s24
	v_mov_b32_e32 v6, 0x7f800001
	s_xor_b32 exec_lo, exec_lo, s24
	s_cbranch_execnz .LBB19_503
.LBB19_483:
	s_or_b32 exec_lo, exec_lo, s24
	s_and_saveexec_b32 s24, s23
	s_cbranch_execz .LBB19_485
.LBB19_484:
	v_and_b32_e32 v3, 0xffff, v1
	s_delay_alu instid0(VALU_DEP_1) | instskip(SKIP_1) | instid1(VALU_DEP_2)
	v_dual_lshlrev_b32 v1, 24, v1 :: v_dual_bitop2_b32 v6, 3, v3 bitop3:0x40
	v_bfe_u32 v9, v3, 2, 5
	v_and_b32_e32 v1, 0x80000000, v1
	s_delay_alu instid0(VALU_DEP_3) | instskip(NEXT) | instid1(VALU_DEP_3)
	v_clz_i32_u32_e32 v7, v6
	v_cmp_eq_u32_e32 vcc_lo, 0, v9
	s_delay_alu instid0(VALU_DEP_2) | instskip(NEXT) | instid1(VALU_DEP_1)
	v_min_u32_e32 v7, 32, v7
	v_subrev_nc_u32_e32 v8, 29, v7
	v_sub_nc_u32_e32 v7, 30, v7
	s_delay_alu instid0(VALU_DEP_2) | instskip(NEXT) | instid1(VALU_DEP_2)
	v_lshlrev_b32_e32 v3, v8, v3
	v_cndmask_b32_e32 v7, v9, v7, vcc_lo
	s_delay_alu instid0(VALU_DEP_2) | instskip(NEXT) | instid1(VALU_DEP_1)
	v_and_b32_e32 v3, 3, v3
	v_cndmask_b32_e32 v3, v6, v3, vcc_lo
	s_delay_alu instid0(VALU_DEP_3) | instskip(NEXT) | instid1(VALU_DEP_2)
	v_lshl_add_u32 v6, v7, 23, 0x37800000
	v_lshlrev_b32_e32 v3, 21, v3
	s_delay_alu instid0(VALU_DEP_1)
	v_or3_b32 v6, v1, v6, v3
.LBB19_485:
	s_or_b32 exec_lo, exec_lo, s24
	s_mov_b32 s23, 0
	s_branch .LBB19_491
.LBB19_486:
	s_mov_b32 s24, -1
                                        ; implicit-def: $vgpr6
	s_branch .LBB19_497
.LBB19_487:
	s_or_saveexec_b32 s24, s24
	v_mov_b32_e32 v6, 0x7f800001
	s_xor_b32 exec_lo, exec_lo, s24
	s_cbranch_execz .LBB19_470
.LBB19_488:
	v_cmp_ne_u16_e32 vcc_lo, 0, v1
	v_mov_b32_e32 v6, 0
	s_and_not1_b32 s23, s23, exec_lo
	s_and_b32 s25, vcc_lo, exec_lo
	s_delay_alu instid0(SALU_CYCLE_1)
	s_or_b32 s23, s23, s25
	s_or_b32 exec_lo, exec_lo, s24
	s_and_saveexec_b32 s24, s23
	s_cbranch_execnz .LBB19_471
	s_branch .LBB19_472
.LBB19_489:
	s_mov_b32 s23, -1
                                        ; implicit-def: $vgpr6
	s_branch .LBB19_494
.LBB19_490:
	s_mov_b32 s23, -1
                                        ; implicit-def: $vgpr6
.LBB19_491:
	s_delay_alu instid0(SALU_CYCLE_1)
	s_and_b32 vcc_lo, exec_lo, s23
	s_cbranch_vccz .LBB19_493
; %bb.492:
	global_load_u8 v1, v[4:5], off
	s_wait_loadcnt 0x0
	v_lshlrev_b32_e32 v1, 24, v1
	s_delay_alu instid0(VALU_DEP_1) | instskip(NEXT) | instid1(VALU_DEP_1)
	v_and_b32_e32 v3, 0x7f000000, v1
	v_clz_i32_u32_e32 v6, v3
	v_cmp_ne_u32_e32 vcc_lo, 0, v3
	v_add_nc_u32_e32 v8, 0x1000000, v3
	s_delay_alu instid0(VALU_DEP_3) | instskip(NEXT) | instid1(VALU_DEP_1)
	v_min_u32_e32 v6, 32, v6
	v_sub_nc_u32_e64 v6, v6, 4 clamp
	s_delay_alu instid0(VALU_DEP_1) | instskip(NEXT) | instid1(VALU_DEP_1)
	v_dual_lshlrev_b32 v7, v6, v3 :: v_dual_lshlrev_b32 v6, 23, v6
	v_lshrrev_b32_e32 v7, 4, v7
	s_delay_alu instid0(VALU_DEP_1) | instskip(NEXT) | instid1(VALU_DEP_1)
	v_dual_sub_nc_u32 v6, v7, v6 :: v_dual_ashrrev_i32 v7, 8, v8
	v_add_nc_u32_e32 v6, 0x3c000000, v6
	s_delay_alu instid0(VALU_DEP_1) | instskip(NEXT) | instid1(VALU_DEP_1)
	v_and_or_b32 v6, 0x7f800000, v7, v6
	v_cndmask_b32_e32 v3, 0, v6, vcc_lo
	s_delay_alu instid0(VALU_DEP_1)
	v_and_or_b32 v6, 0x80000000, v1, v3
.LBB19_493:
	s_mov_b32 s23, 0
.LBB19_494:
	s_delay_alu instid0(SALU_CYCLE_1)
	s_and_not1_b32 vcc_lo, exec_lo, s23
	s_cbranch_vccnz .LBB19_496
; %bb.495:
	global_load_u8 v1, v[4:5], off
	s_wait_loadcnt 0x0
	v_lshlrev_b32_e32 v3, 25, v1
	v_lshlrev_b16 v1, 8, v1
	s_delay_alu instid0(VALU_DEP_1) | instskip(SKIP_1) | instid1(VALU_DEP_2)
	v_and_or_b32 v7, 0x7f00, v1, 0.5
	v_bfe_i32 v1, v1, 0, 16
	v_add_f32_e32 v7, -0.5, v7
	v_lshrrev_b32_e32 v6, 4, v3
	v_cmp_gt_u32_e32 vcc_lo, 0x8000000, v3
	s_delay_alu instid0(VALU_DEP_2) | instskip(NEXT) | instid1(VALU_DEP_1)
	v_or_b32_e32 v6, 0x70000000, v6
	v_mul_f32_e32 v6, 0x7800000, v6
	s_delay_alu instid0(VALU_DEP_1) | instskip(NEXT) | instid1(VALU_DEP_1)
	v_cndmask_b32_e32 v3, v6, v7, vcc_lo
	v_and_or_b32 v6, 0x80000000, v1, v3
.LBB19_496:
	s_mov_b32 s24, 0
	s_mov_b32 s23, -1
.LBB19_497:
	s_and_not1_b32 vcc_lo, exec_lo, s24
	s_cbranch_vccnz .LBB19_510
; %bb.498:
	s_cmp_gt_i32 s0, 14
	s_cbranch_scc0 .LBB19_501
; %bb.499:
	s_cmp_eq_u32 s0, 15
	s_cbranch_scc0 .LBB19_504
; %bb.500:
	global_load_u16 v1, v[4:5], off
	s_mov_b32 s23, -1
	s_mov_b32 s22, 0
	s_wait_loadcnt 0x0
	v_lshlrev_b32_e32 v6, 16, v1
	s_branch .LBB19_505
.LBB19_501:
	s_mov_b32 s24, -1
                                        ; implicit-def: $vgpr6
	s_branch .LBB19_506
.LBB19_502:
	s_or_saveexec_b32 s24, s24
	v_mov_b32_e32 v6, 0x7f800001
	s_xor_b32 exec_lo, exec_lo, s24
	s_cbranch_execz .LBB19_483
.LBB19_503:
	v_cmp_ne_u16_e32 vcc_lo, 0, v1
	v_mov_b32_e32 v6, 0
	s_and_not1_b32 s23, s23, exec_lo
	s_and_b32 s25, vcc_lo, exec_lo
	s_delay_alu instid0(SALU_CYCLE_1)
	s_or_b32 s23, s23, s25
	s_or_b32 exec_lo, exec_lo, s24
	s_and_saveexec_b32 s24, s23
	s_cbranch_execnz .LBB19_484
	s_branch .LBB19_485
.LBB19_504:
	s_mov_b32 s22, -1
                                        ; implicit-def: $vgpr6
.LBB19_505:
	s_mov_b32 s24, 0
.LBB19_506:
	s_delay_alu instid0(SALU_CYCLE_1)
	s_and_b32 vcc_lo, exec_lo, s24
	s_cbranch_vccz .LBB19_510
; %bb.507:
	s_cmp_eq_u32 s0, 11
	s_cbranch_scc0 .LBB19_509
; %bb.508:
	global_load_u8 v1, v[4:5], off
	s_mov_b32 s22, 0
	s_mov_b32 s23, -1
	s_wait_loadcnt 0x0
	v_cmp_ne_u16_e32 vcc_lo, 0, v1
	v_cndmask_b32_e64 v6, 0, 1.0, vcc_lo
	s_branch .LBB19_510
.LBB19_509:
	s_mov_b32 s22, -1
                                        ; implicit-def: $vgpr6
.LBB19_510:
	s_branch .LBB19_304
.LBB19_511:
	s_cmp_lt_i32 s0, 5
	s_cbranch_scc1 .LBB19_516
; %bb.512:
	s_cmp_lt_i32 s0, 8
	s_cbranch_scc1 .LBB19_517
; %bb.513:
	;; [unrolled: 3-line block ×3, first 2 shown]
	s_cmp_gt_i32 s0, 9
	s_cbranch_scc0 .LBB19_519
; %bb.515:
	s_wait_loadcnt 0x0
	global_load_b64 v[6:7], v[4:5], off
	s_mov_b32 s23, 0
	s_wait_loadcnt 0x0
	v_cvt_f32_f64_e32 v6, v[6:7]
	s_branch .LBB19_520
.LBB19_516:
	s_mov_b32 s23, -1
                                        ; implicit-def: $vgpr6
	s_branch .LBB19_538
.LBB19_517:
	s_mov_b32 s23, -1
                                        ; implicit-def: $vgpr6
	s_branch .LBB19_526
.LBB19_518:
	s_mov_b32 s23, -1
                                        ; implicit-def: $vgpr6
	s_branch .LBB19_523
.LBB19_519:
	s_mov_b32 s23, -1
                                        ; implicit-def: $vgpr6
.LBB19_520:
	s_delay_alu instid0(SALU_CYCLE_1)
	s_and_not1_b32 vcc_lo, exec_lo, s23
	s_cbranch_vccnz .LBB19_522
; %bb.521:
	s_wait_loadcnt 0x0
	global_load_b32 v6, v[4:5], off
.LBB19_522:
	s_mov_b32 s23, 0
.LBB19_523:
	s_delay_alu instid0(SALU_CYCLE_1)
	s_and_not1_b32 vcc_lo, exec_lo, s23
	s_cbranch_vccnz .LBB19_525
; %bb.524:
	global_load_b32 v1, v[4:5], off
	s_wait_loadcnt 0x0
	v_cvt_f32_f16_e32 v6, v1
.LBB19_525:
	s_mov_b32 s23, 0
.LBB19_526:
	s_delay_alu instid0(SALU_CYCLE_1)
	s_and_not1_b32 vcc_lo, exec_lo, s23
	s_cbranch_vccnz .LBB19_537
; %bb.527:
	s_cmp_lt_i32 s0, 6
	s_cbranch_scc1 .LBB19_530
; %bb.528:
	s_cmp_gt_i32 s0, 6
	s_cbranch_scc0 .LBB19_531
; %bb.529:
	s_wait_loadcnt 0x0
	global_load_b64 v[6:7], v[4:5], off
	s_mov_b32 s23, 0
	s_wait_loadcnt 0x0
	v_cvt_f32_f64_e32 v6, v[6:7]
	s_branch .LBB19_532
.LBB19_530:
	s_mov_b32 s23, -1
                                        ; implicit-def: $vgpr6
	s_branch .LBB19_535
.LBB19_531:
	s_mov_b32 s23, -1
                                        ; implicit-def: $vgpr6
.LBB19_532:
	s_delay_alu instid0(SALU_CYCLE_1)
	s_and_not1_b32 vcc_lo, exec_lo, s23
	s_cbranch_vccnz .LBB19_534
; %bb.533:
	s_wait_loadcnt 0x0
	global_load_b32 v6, v[4:5], off
.LBB19_534:
	s_mov_b32 s23, 0
.LBB19_535:
	s_delay_alu instid0(SALU_CYCLE_1)
	s_and_not1_b32 vcc_lo, exec_lo, s23
	s_cbranch_vccnz .LBB19_537
; %bb.536:
	global_load_u16 v1, v[4:5], off
	s_wait_loadcnt 0x0
	v_cvt_f32_f16_e32 v6, v1
.LBB19_537:
	s_mov_b32 s23, 0
.LBB19_538:
	s_delay_alu instid0(SALU_CYCLE_1)
	s_and_not1_b32 vcc_lo, exec_lo, s23
	s_cbranch_vccnz .LBB19_558
; %bb.539:
	s_cmp_lt_i32 s0, 2
	s_cbranch_scc1 .LBB19_543
; %bb.540:
	s_cmp_lt_i32 s0, 3
	s_cbranch_scc1 .LBB19_544
; %bb.541:
	s_cmp_gt_i32 s0, 3
	s_cbranch_scc0 .LBB19_545
; %bb.542:
	s_wait_loadcnt 0x0
	global_load_b64 v[6:7], v[4:5], off
	s_mov_b32 s23, 0
	s_wait_loadcnt 0x0
	v_xor_b32_e32 v1, v6, v7
	v_cls_i32_e32 v3, v7
	s_delay_alu instid0(VALU_DEP_2) | instskip(NEXT) | instid1(VALU_DEP_1)
	v_ashrrev_i32_e32 v1, 31, v1
	v_add_nc_u32_e32 v1, 32, v1
	s_delay_alu instid0(VALU_DEP_1) | instskip(NEXT) | instid1(VALU_DEP_1)
	v_add_min_u32_e64 v1, v3, -1, v1
	v_lshlrev_b64_e32 v[6:7], v1, v[6:7]
	v_sub_nc_u32_e32 v1, 32, v1
	s_delay_alu instid0(VALU_DEP_2) | instskip(NEXT) | instid1(VALU_DEP_1)
	v_min_u32_e32 v3, 1, v6
	v_or_b32_e32 v3, v7, v3
	s_delay_alu instid0(VALU_DEP_1) | instskip(NEXT) | instid1(VALU_DEP_1)
	v_cvt_f32_i32_e32 v3, v3
	v_ldexp_f32 v6, v3, v1
	s_branch .LBB19_546
.LBB19_543:
	s_mov_b32 s23, -1
                                        ; implicit-def: $vgpr6
	s_branch .LBB19_552
.LBB19_544:
	s_mov_b32 s23, -1
                                        ; implicit-def: $vgpr6
	s_branch .LBB19_549
.LBB19_545:
	s_mov_b32 s23, -1
                                        ; implicit-def: $vgpr6
.LBB19_546:
	s_delay_alu instid0(SALU_CYCLE_1)
	s_and_not1_b32 vcc_lo, exec_lo, s23
	s_cbranch_vccnz .LBB19_548
; %bb.547:
	global_load_b32 v1, v[4:5], off
	s_wait_loadcnt 0x0
	v_cvt_f32_i32_e32 v6, v1
.LBB19_548:
	s_mov_b32 s23, 0
.LBB19_549:
	s_delay_alu instid0(SALU_CYCLE_1)
	s_and_not1_b32 vcc_lo, exec_lo, s23
	s_cbranch_vccnz .LBB19_551
; %bb.550:
	global_load_i16 v1, v[4:5], off
	s_wait_loadcnt 0x0
	v_cvt_f32_i32_e32 v6, v1
.LBB19_551:
	s_mov_b32 s23, 0
.LBB19_552:
	s_delay_alu instid0(SALU_CYCLE_1)
	s_and_not1_b32 vcc_lo, exec_lo, s23
	s_cbranch_vccnz .LBB19_558
; %bb.553:
	s_cmp_gt_i32 s0, 0
	s_mov_b32 s0, 0
	s_cbranch_scc0 .LBB19_555
; %bb.554:
	global_load_i8 v1, v[4:5], off
	s_wait_loadcnt 0x0
	v_cvt_f32_i32_e32 v6, v1
	s_branch .LBB19_556
.LBB19_555:
	s_mov_b32 s0, -1
                                        ; implicit-def: $vgpr6
.LBB19_556:
	s_delay_alu instid0(SALU_CYCLE_1)
	s_and_not1_b32 vcc_lo, exec_lo, s0
	s_cbranch_vccnz .LBB19_558
; %bb.557:
	global_load_u8 v1, v[4:5], off
	s_wait_loadcnt 0x0
	v_cvt_f32_ubyte0_e32 v6, v1
.LBB19_558:
	s_branch .LBB19_305
.LBB19_559:
	s_mov_b32 s23, 0
	s_mov_b32 s0, s39
.LBB19_560:
                                        ; implicit-def: $vgpr0
.LBB19_561:
	s_and_not1_b32 s24, s39, exec_lo
	s_and_b32 s0, s0, exec_lo
	s_and_not1_b32 s25, s40, exec_lo
	s_and_b32 s22, s22, exec_lo
	s_or_b32 s43, s24, s0
	s_or_b32 s42, s25, s22
	s_or_not1_b32 s0, s23, exec_lo
.LBB19_562:
	s_wait_xcnt 0x0
	s_or_b32 exec_lo, exec_lo, s44
	s_mov_b32 s22, 0
	s_mov_b32 s23, 0
	;; [unrolled: 1-line block ×3, first 2 shown]
                                        ; implicit-def: $vgpr4_vgpr5
                                        ; implicit-def: $vgpr2
                                        ; implicit-def: $vgpr6
	s_and_saveexec_b32 s44, s0
	s_cbranch_execz .LBB19_951
; %bb.563:
	s_mov_b32 s25, -1
	s_mov_b32 s0, s42
	s_mov_b32 s26, s43
	s_mov_b32 s45, exec_lo
	v_cmpx_gt_i32_e64 s36, v0
	s_cbranch_execz .LBB19_848
; %bb.564:
	s_and_not1_b32 vcc_lo, exec_lo, s31
	s_cbranch_vccnz .LBB19_570
; %bb.565:
	s_and_not1_b32 vcc_lo, exec_lo, s38
	s_cbranch_vccnz .LBB19_571
; %bb.566:
	s_add_co_i32 s0, s37, 1
	s_cmp_eq_u32 s29, 2
	s_cbranch_scc1 .LBB19_572
; %bb.567:
	v_dual_mov_b32 v2, 0 :: v_dual_mov_b32 v4, 0
	v_mov_b32_e32 v1, v0
	s_and_b32 s22, s0, 28
	s_mov_b64 s[24:25], s[2:3]
	s_mov_b64 s[26:27], s[20:21]
.LBB19_568:                             ; =>This Inner Loop Header: Depth=1
	s_clause 0x1
	s_load_b256 s[48:55], s[24:25], 0x4
	s_load_b128 s[64:67], s[24:25], 0x24
	s_load_b256 s[56:63], s[26:27], 0x0
	s_add_co_i32 s23, s23, 4
	s_wait_xcnt 0x0
	s_add_nc_u64 s[24:25], s[24:25], 48
	s_cmp_eq_u32 s22, s23
	s_add_nc_u64 s[26:27], s[26:27], 32
	s_wait_kmcnt 0x0
	v_mul_hi_u32 v3, s49, v1
	s_delay_alu instid0(VALU_DEP_1) | instskip(NEXT) | instid1(VALU_DEP_1)
	v_add_nc_u32_e32 v3, v1, v3
	v_lshrrev_b32_e32 v3, s50, v3
	s_delay_alu instid0(VALU_DEP_1) | instskip(NEXT) | instid1(VALU_DEP_1)
	v_mul_hi_u32 v5, s52, v3
	v_add_nc_u32_e32 v5, v3, v5
	s_delay_alu instid0(VALU_DEP_1) | instskip(SKIP_1) | instid1(VALU_DEP_1)
	v_lshrrev_b32_e32 v5, s53, v5
	s_wait_loadcnt 0x0
	v_mul_hi_u32 v6, s55, v5
	s_delay_alu instid0(VALU_DEP_1) | instskip(SKIP_1) | instid1(VALU_DEP_1)
	v_add_nc_u32_e32 v6, v5, v6
	v_mul_lo_u32 v7, v3, s48
	v_sub_nc_u32_e32 v1, v1, v7
	v_mul_lo_u32 v7, v5, s51
	s_delay_alu instid0(VALU_DEP_4) | instskip(NEXT) | instid1(VALU_DEP_3)
	v_lshrrev_b32_e32 v6, s64, v6
	v_mad_u32 v4, v1, s57, v4
	v_mad_u32 v1, v1, s56, v2
	s_delay_alu instid0(VALU_DEP_4) | instskip(NEXT) | instid1(VALU_DEP_4)
	v_sub_nc_u32_e32 v2, v3, v7
	v_mul_hi_u32 v8, s66, v6
	v_mul_lo_u32 v3, v6, s54
	s_delay_alu instid0(VALU_DEP_3) | instskip(SKIP_1) | instid1(VALU_DEP_3)
	v_mad_u32 v4, v2, s59, v4
	v_mad_u32 v2, v2, s58, v1
	v_dual_add_nc_u32 v7, v6, v8 :: v_dual_sub_nc_u32 v3, v5, v3
	s_delay_alu instid0(VALU_DEP_1) | instskip(NEXT) | instid1(VALU_DEP_2)
	v_lshrrev_b32_e32 v1, s67, v7
	v_mad_u32 v4, v3, s61, v4
	s_delay_alu instid0(VALU_DEP_4) | instskip(NEXT) | instid1(VALU_DEP_3)
	v_mad_u32 v2, v3, s60, v2
	v_mul_lo_u32 v5, v1, s65
	s_delay_alu instid0(VALU_DEP_1) | instskip(NEXT) | instid1(VALU_DEP_1)
	v_sub_nc_u32_e32 v3, v6, v5
	v_mad_u32 v4, v3, s63, v4
	s_delay_alu instid0(VALU_DEP_4)
	v_mad_u32 v2, v3, s62, v2
	s_cbranch_scc0 .LBB19_568
; %bb.569:
	s_delay_alu instid0(VALU_DEP_2)
	v_mov_b32_e32 v3, v4
	s_branch .LBB19_573
.LBB19_570:
	s_mov_b32 s0, -1
                                        ; implicit-def: $vgpr4
                                        ; implicit-def: $vgpr2
	s_branch .LBB19_578
.LBB19_571:
	v_dual_mov_b32 v4, 0 :: v_dual_mov_b32 v2, 0
	s_branch .LBB19_577
.LBB19_572:
	v_mov_b64_e32 v[2:3], 0
	v_mov_b32_e32 v1, v0
                                        ; implicit-def: $vgpr4
.LBB19_573:
	s_and_b32 s0, s0, 3
	s_mov_b32 s23, 0
	s_cmp_eq_u32 s0, 0
	s_cbranch_scc1 .LBB19_577
; %bb.574:
	s_lshl_b32 s24, s22, 3
	s_mov_b32 s25, s23
	s_mul_u64 s[26:27], s[22:23], 12
	s_add_nc_u64 s[24:25], s[2:3], s[24:25]
	s_delay_alu instid0(SALU_CYCLE_1)
	s_add_nc_u64 s[22:23], s[24:25], 0xc4
	s_add_nc_u64 s[24:25], s[2:3], s[26:27]
.LBB19_575:                             ; =>This Inner Loop Header: Depth=1
	s_load_b96 s[48:50], s[24:25], 0x4
	s_load_b64 s[26:27], s[22:23], 0x0
	s_add_co_i32 s0, s0, -1
	s_wait_xcnt 0x0
	s_add_nc_u64 s[24:25], s[24:25], 12
	s_cmp_lg_u32 s0, 0
	s_add_nc_u64 s[22:23], s[22:23], 8
	s_wait_kmcnt 0x0
	v_mul_hi_u32 v4, s49, v1
	s_delay_alu instid0(VALU_DEP_1) | instskip(NEXT) | instid1(VALU_DEP_1)
	v_add_nc_u32_e32 v4, v1, v4
	v_lshrrev_b32_e32 v4, s50, v4
	s_delay_alu instid0(VALU_DEP_1) | instskip(NEXT) | instid1(VALU_DEP_1)
	v_mul_lo_u32 v5, v4, s48
	v_sub_nc_u32_e32 v1, v1, v5
	s_delay_alu instid0(VALU_DEP_1)
	v_mad_u32 v3, v1, s27, v3
	v_mad_u32 v2, v1, s26, v2
	v_mov_b32_e32 v1, v4
	s_cbranch_scc1 .LBB19_575
; %bb.576:
	s_delay_alu instid0(VALU_DEP_3)
	v_mov_b32_e32 v4, v3
.LBB19_577:
	s_mov_b32 s0, 0
.LBB19_578:
	s_delay_alu instid0(SALU_CYCLE_1)
	s_and_not1_b32 vcc_lo, exec_lo, s0
	s_cbranch_vccnz .LBB19_581
; %bb.579:
	v_mov_b32_e32 v1, 0
	s_and_not1_b32 vcc_lo, exec_lo, s35
	s_delay_alu instid0(VALU_DEP_1) | instskip(NEXT) | instid1(VALU_DEP_1)
	v_mul_u64_e32 v[2:3], s[16:17], v[0:1]
	v_add_nc_u32_e32 v2, v0, v3
	s_wait_loadcnt 0x0
	s_delay_alu instid0(VALU_DEP_1) | instskip(NEXT) | instid1(VALU_DEP_1)
	v_lshrrev_b32_e32 v6, s14, v2
	v_mul_lo_u32 v2, v6, s12
	s_delay_alu instid0(VALU_DEP_1) | instskip(NEXT) | instid1(VALU_DEP_1)
	v_sub_nc_u32_e32 v2, v0, v2
	v_mul_lo_u32 v4, v2, s9
	v_mul_lo_u32 v2, v2, s8
	s_cbranch_vccnz .LBB19_581
; %bb.580:
	v_mov_b32_e32 v7, v1
	s_delay_alu instid0(VALU_DEP_1) | instskip(NEXT) | instid1(VALU_DEP_1)
	v_mul_u64_e32 v[8:9], s[18:19], v[6:7]
	v_add_nc_u32_e32 v1, v6, v9
	s_delay_alu instid0(VALU_DEP_1) | instskip(NEXT) | instid1(VALU_DEP_1)
	v_lshrrev_b32_e32 v1, s1, v1
	v_mul_lo_u32 v1, v1, s15
	s_delay_alu instid0(VALU_DEP_1) | instskip(NEXT) | instid1(VALU_DEP_1)
	v_sub_nc_u32_e32 v1, v6, v1
	v_mad_u32 v2, v1, s10, v2
	v_mad_u32 v4, v1, s11, v4
.LBB19_581:
	v_mov_b32_e32 v5, 0
	s_and_b32 s0, 0xffff, s13
	s_delay_alu instid0(SALU_CYCLE_1) | instskip(NEXT) | instid1(VALU_DEP_1)
	s_cmp_lt_i32 s0, 11
	v_add_nc_u64_e32 v[4:5], s[6:7], v[4:5]
	s_cbranch_scc1 .LBB19_588
; %bb.582:
	s_cmp_gt_i32 s0, 25
	s_cbranch_scc0 .LBB19_589
; %bb.583:
	s_cmp_gt_i32 s0, 28
	s_cbranch_scc0 .LBB19_590
	;; [unrolled: 3-line block ×4, first 2 shown]
; %bb.586:
	s_cmp_eq_u32 s0, 46
	s_mov_b32 s24, 0
	s_cbranch_scc0 .LBB19_597
; %bb.587:
	global_load_b32 v1, v[4:5], off
	s_mov_b32 s23, -1
	s_mov_b32 s22, 0
	s_wait_loadcnt 0x0
	v_lshlrev_b32_e32 v6, 16, v1
	s_branch .LBB19_599
.LBB19_588:
	s_mov_b32 s24, -1
	s_mov_b32 s23, 0
	s_mov_b32 s22, s42
                                        ; implicit-def: $vgpr6
	s_branch .LBB19_664
.LBB19_589:
	s_mov_b32 s24, -1
	s_mov_b32 s23, 0
	s_mov_b32 s22, s42
                                        ; implicit-def: $vgpr6
	s_branch .LBB19_628
.LBB19_590:
	s_mov_b32 s24, -1
	s_mov_b32 s23, 0
	s_mov_b32 s22, s42
                                        ; implicit-def: $vgpr6
	s_branch .LBB19_609
.LBB19_591:
	s_mov_b32 s24, -1
	s_mov_b32 s23, 0
	s_mov_b32 s22, s42
                                        ; implicit-def: $vgpr6
	s_branch .LBB19_604
.LBB19_592:
	s_and_not1_saveexec_b32 s27, s27
	s_cbranch_execz .LBB19_359
.LBB19_593:
	v_add_f32_e64 v1, 0x46000000, |v4|
	s_and_not1_b32 s26, s26, exec_lo
	s_delay_alu instid0(VALU_DEP_1) | instskip(NEXT) | instid1(VALU_DEP_1)
	v_and_b32_e32 v1, 0xff, v1
	v_cmp_ne_u32_e32 vcc_lo, 0, v1
	s_and_b32 s42, vcc_lo, exec_lo
	s_delay_alu instid0(SALU_CYCLE_1)
	s_or_b32 s26, s26, s42
	s_or_b32 exec_lo, exec_lo, s27
	v_mov_b32_e32 v5, 0
	s_and_saveexec_b32 s27, s26
	s_cbranch_execnz .LBB19_360
	s_branch .LBB19_361
.LBB19_594:
	s_mov_b32 s24, -1
	s_mov_b32 s23, 0
	s_mov_b32 s22, s42
	s_branch .LBB19_598
.LBB19_595:
	s_and_not1_saveexec_b32 s27, s27
	s_cbranch_execz .LBB19_372
.LBB19_596:
	v_add_f32_e64 v1, 0x42800000, |v4|
	s_and_not1_b32 s26, s26, exec_lo
	s_delay_alu instid0(VALU_DEP_1) | instskip(NEXT) | instid1(VALU_DEP_1)
	v_and_b32_e32 v1, 0xff, v1
	v_cmp_ne_u32_e32 vcc_lo, 0, v1
	s_and_b32 s42, vcc_lo, exec_lo
	s_delay_alu instid0(SALU_CYCLE_1)
	s_or_b32 s26, s26, s42
	s_or_b32 exec_lo, exec_lo, s27
	v_mov_b32_e32 v5, 0
	s_and_saveexec_b32 s27, s26
	s_cbranch_execnz .LBB19_373
	s_branch .LBB19_374
.LBB19_597:
	s_mov_b32 s22, -1
	s_mov_b32 s23, 0
.LBB19_598:
                                        ; implicit-def: $vgpr6
.LBB19_599:
	s_and_b32 vcc_lo, exec_lo, s24
	s_cbranch_vccz .LBB19_603
; %bb.600:
	s_cmp_eq_u32 s0, 44
	s_cbranch_scc0 .LBB19_602
; %bb.601:
	global_load_u8 v1, v[4:5], off
	s_mov_b32 s22, 0
	s_mov_b32 s23, -1
	s_wait_loadcnt 0x0
	v_lshlrev_b32_e32 v3, 23, v1
	v_cmp_ne_u32_e32 vcc_lo, 0xff, v1
	s_delay_alu instid0(VALU_DEP_2) | instskip(SKIP_1) | instid1(VALU_DEP_2)
	v_cndmask_b32_e32 v3, 0x7f800001, v3, vcc_lo
	v_cmp_ne_u32_e32 vcc_lo, 0, v1
	v_cndmask_b32_e32 v6, 0x400000, v3, vcc_lo
	s_branch .LBB19_603
.LBB19_602:
	s_mov_b32 s22, -1
                                        ; implicit-def: $vgpr6
.LBB19_603:
	s_mov_b32 s24, 0
.LBB19_604:
	s_delay_alu instid0(SALU_CYCLE_1)
	s_and_b32 vcc_lo, exec_lo, s24
	s_cbranch_vccz .LBB19_608
; %bb.605:
	s_cmp_eq_u32 s0, 29
	s_cbranch_scc0 .LBB19_607
; %bb.606:
	s_wait_loadcnt 0x0
	global_load_b64 v[6:7], v[4:5], off
	s_mov_b32 s23, -1
	s_mov_b32 s22, 0
	s_mov_b32 s24, 0
	s_wait_loadcnt 0x0
	v_clz_i32_u32_e32 v1, v7
	s_delay_alu instid0(VALU_DEP_1) | instskip(NEXT) | instid1(VALU_DEP_1)
	v_min_u32_e32 v1, 32, v1
	v_lshlrev_b64_e32 v[6:7], v1, v[6:7]
	v_sub_nc_u32_e32 v1, 32, v1
	s_delay_alu instid0(VALU_DEP_2) | instskip(NEXT) | instid1(VALU_DEP_1)
	v_min_u32_e32 v3, 1, v6
	v_or_b32_e32 v3, v7, v3
	s_delay_alu instid0(VALU_DEP_1) | instskip(NEXT) | instid1(VALU_DEP_1)
	v_cvt_f32_u32_e32 v3, v3
	v_ldexp_f32 v6, v3, v1
	s_branch .LBB19_609
.LBB19_607:
	s_mov_b32 s22, -1
                                        ; implicit-def: $vgpr6
.LBB19_608:
	s_mov_b32 s24, 0
.LBB19_609:
	s_delay_alu instid0(SALU_CYCLE_1)
	s_and_b32 vcc_lo, exec_lo, s24
	s_cbranch_vccz .LBB19_627
; %bb.610:
	s_cmp_lt_i32 s0, 27
	s_cbranch_scc1 .LBB19_613
; %bb.611:
	s_cmp_gt_i32 s0, 27
	s_cbranch_scc0 .LBB19_614
; %bb.612:
	global_load_b32 v1, v[4:5], off
	s_mov_b32 s23, 0
	s_wait_loadcnt 0x0
	v_cvt_f32_u32_e32 v6, v1
	s_branch .LBB19_615
.LBB19_613:
	s_mov_b32 s23, -1
                                        ; implicit-def: $vgpr6
	s_branch .LBB19_618
.LBB19_614:
	s_mov_b32 s23, -1
                                        ; implicit-def: $vgpr6
.LBB19_615:
	s_delay_alu instid0(SALU_CYCLE_1)
	s_and_not1_b32 vcc_lo, exec_lo, s23
	s_cbranch_vccnz .LBB19_617
; %bb.616:
	global_load_u16 v1, v[4:5], off
	s_wait_loadcnt 0x0
	v_cvt_f32_u32_e32 v6, v1
.LBB19_617:
	s_mov_b32 s23, 0
.LBB19_618:
	s_delay_alu instid0(SALU_CYCLE_1)
	s_and_not1_b32 vcc_lo, exec_lo, s23
	s_cbranch_vccnz .LBB19_626
; %bb.619:
	global_load_u8 v1, v[4:5], off
	s_mov_b32 s23, 0
	s_mov_b32 s24, exec_lo
	s_wait_loadcnt 0x0
	v_cmpx_lt_i16_e32 0x7f, v1
	s_xor_b32 s24, exec_lo, s24
	s_cbranch_execz .LBB19_640
; %bb.620:
	s_mov_b32 s23, -1
	s_mov_b32 s25, exec_lo
	v_cmpx_eq_u16_e32 0x80, v1
; %bb.621:
	s_xor_b32 s23, exec_lo, -1
; %bb.622:
	s_or_b32 exec_lo, exec_lo, s25
	s_delay_alu instid0(SALU_CYCLE_1)
	s_and_b32 s23, s23, exec_lo
	s_or_saveexec_b32 s24, s24
	v_mov_b32_e32 v6, 0x7f800001
	s_xor_b32 exec_lo, exec_lo, s24
	s_cbranch_execnz .LBB19_641
.LBB19_623:
	s_or_b32 exec_lo, exec_lo, s24
	s_and_saveexec_b32 s24, s23
	s_cbranch_execz .LBB19_625
.LBB19_624:
	v_and_b32_e32 v3, 0xffff, v1
	s_delay_alu instid0(VALU_DEP_1) | instskip(SKIP_1) | instid1(VALU_DEP_2)
	v_dual_lshlrev_b32 v1, 24, v1 :: v_dual_bitop2_b32 v6, 7, v3 bitop3:0x40
	v_bfe_u32 v9, v3, 3, 4
	v_and_b32_e32 v1, 0x80000000, v1
	s_delay_alu instid0(VALU_DEP_3) | instskip(NEXT) | instid1(VALU_DEP_3)
	v_clz_i32_u32_e32 v7, v6
	v_cmp_eq_u32_e32 vcc_lo, 0, v9
	s_delay_alu instid0(VALU_DEP_2) | instskip(NEXT) | instid1(VALU_DEP_1)
	v_min_u32_e32 v7, 32, v7
	v_subrev_nc_u32_e32 v8, 28, v7
	v_sub_nc_u32_e32 v7, 29, v7
	s_delay_alu instid0(VALU_DEP_2) | instskip(NEXT) | instid1(VALU_DEP_2)
	v_lshlrev_b32_e32 v3, v8, v3
	v_cndmask_b32_e32 v7, v9, v7, vcc_lo
	s_delay_alu instid0(VALU_DEP_2) | instskip(NEXT) | instid1(VALU_DEP_1)
	v_and_b32_e32 v3, 7, v3
	v_cndmask_b32_e32 v3, v6, v3, vcc_lo
	s_delay_alu instid0(VALU_DEP_3) | instskip(NEXT) | instid1(VALU_DEP_2)
	v_lshl_add_u32 v6, v7, 23, 0x3b800000
	v_lshlrev_b32_e32 v3, 20, v3
	s_delay_alu instid0(VALU_DEP_1)
	v_or3_b32 v6, v1, v6, v3
.LBB19_625:
	s_or_b32 exec_lo, exec_lo, s24
.LBB19_626:
	s_mov_b32 s23, -1
.LBB19_627:
	s_mov_b32 s24, 0
.LBB19_628:
	s_delay_alu instid0(SALU_CYCLE_1)
	s_and_b32 vcc_lo, exec_lo, s24
	s_cbranch_vccz .LBB19_663
; %bb.629:
	s_cmp_gt_i32 s0, 22
	s_cbranch_scc0 .LBB19_639
; %bb.630:
	s_cmp_lt_i32 s0, 24
	s_cbranch_scc1 .LBB19_642
; %bb.631:
	s_cmp_gt_i32 s0, 24
	s_cbranch_scc0 .LBB19_643
; %bb.632:
	global_load_u8 v1, v[4:5], off
	s_mov_b32 s23, 0
	s_mov_b32 s24, exec_lo
	s_wait_loadcnt 0x0
	v_cmpx_lt_i16_e32 0x7f, v1
	s_xor_b32 s24, exec_lo, s24
	s_cbranch_execz .LBB19_655
; %bb.633:
	s_mov_b32 s23, -1
	s_mov_b32 s25, exec_lo
	v_cmpx_eq_u16_e32 0x80, v1
; %bb.634:
	s_xor_b32 s23, exec_lo, -1
; %bb.635:
	s_or_b32 exec_lo, exec_lo, s25
	s_delay_alu instid0(SALU_CYCLE_1)
	s_and_b32 s23, s23, exec_lo
	s_or_saveexec_b32 s24, s24
	v_mov_b32_e32 v6, 0x7f800001
	s_xor_b32 exec_lo, exec_lo, s24
	s_cbranch_execnz .LBB19_656
.LBB19_636:
	s_or_b32 exec_lo, exec_lo, s24
	s_and_saveexec_b32 s24, s23
	s_cbranch_execz .LBB19_638
.LBB19_637:
	v_and_b32_e32 v3, 0xffff, v1
	s_delay_alu instid0(VALU_DEP_1) | instskip(SKIP_1) | instid1(VALU_DEP_2)
	v_dual_lshlrev_b32 v1, 24, v1 :: v_dual_bitop2_b32 v6, 3, v3 bitop3:0x40
	v_bfe_u32 v9, v3, 2, 5
	v_and_b32_e32 v1, 0x80000000, v1
	s_delay_alu instid0(VALU_DEP_3) | instskip(NEXT) | instid1(VALU_DEP_3)
	v_clz_i32_u32_e32 v7, v6
	v_cmp_eq_u32_e32 vcc_lo, 0, v9
	s_delay_alu instid0(VALU_DEP_2) | instskip(NEXT) | instid1(VALU_DEP_1)
	v_min_u32_e32 v7, 32, v7
	v_subrev_nc_u32_e32 v8, 29, v7
	v_sub_nc_u32_e32 v7, 30, v7
	s_delay_alu instid0(VALU_DEP_2) | instskip(NEXT) | instid1(VALU_DEP_2)
	v_lshlrev_b32_e32 v3, v8, v3
	v_cndmask_b32_e32 v7, v9, v7, vcc_lo
	s_delay_alu instid0(VALU_DEP_2) | instskip(NEXT) | instid1(VALU_DEP_1)
	v_and_b32_e32 v3, 3, v3
	v_cndmask_b32_e32 v3, v6, v3, vcc_lo
	s_delay_alu instid0(VALU_DEP_3) | instskip(NEXT) | instid1(VALU_DEP_2)
	v_lshl_add_u32 v6, v7, 23, 0x37800000
	v_lshlrev_b32_e32 v3, 21, v3
	s_delay_alu instid0(VALU_DEP_1)
	v_or3_b32 v6, v1, v6, v3
.LBB19_638:
	s_or_b32 exec_lo, exec_lo, s24
	s_mov_b32 s23, 0
	s_branch .LBB19_644
.LBB19_639:
	s_mov_b32 s24, -1
                                        ; implicit-def: $vgpr6
	s_branch .LBB19_650
.LBB19_640:
	s_or_saveexec_b32 s24, s24
	v_mov_b32_e32 v6, 0x7f800001
	s_xor_b32 exec_lo, exec_lo, s24
	s_cbranch_execz .LBB19_623
.LBB19_641:
	v_cmp_ne_u16_e32 vcc_lo, 0, v1
	v_mov_b32_e32 v6, 0
	s_and_not1_b32 s23, s23, exec_lo
	s_and_b32 s25, vcc_lo, exec_lo
	s_delay_alu instid0(SALU_CYCLE_1)
	s_or_b32 s23, s23, s25
	s_or_b32 exec_lo, exec_lo, s24
	s_and_saveexec_b32 s24, s23
	s_cbranch_execnz .LBB19_624
	s_branch .LBB19_625
.LBB19_642:
	s_mov_b32 s23, -1
                                        ; implicit-def: $vgpr6
	s_branch .LBB19_647
.LBB19_643:
	s_mov_b32 s23, -1
                                        ; implicit-def: $vgpr6
.LBB19_644:
	s_delay_alu instid0(SALU_CYCLE_1)
	s_and_b32 vcc_lo, exec_lo, s23
	s_cbranch_vccz .LBB19_646
; %bb.645:
	global_load_u8 v1, v[4:5], off
	s_wait_loadcnt 0x0
	v_lshlrev_b32_e32 v1, 24, v1
	s_delay_alu instid0(VALU_DEP_1) | instskip(NEXT) | instid1(VALU_DEP_1)
	v_and_b32_e32 v3, 0x7f000000, v1
	v_clz_i32_u32_e32 v6, v3
	v_cmp_ne_u32_e32 vcc_lo, 0, v3
	v_add_nc_u32_e32 v8, 0x1000000, v3
	s_delay_alu instid0(VALU_DEP_3) | instskip(NEXT) | instid1(VALU_DEP_1)
	v_min_u32_e32 v6, 32, v6
	v_sub_nc_u32_e64 v6, v6, 4 clamp
	s_delay_alu instid0(VALU_DEP_1) | instskip(NEXT) | instid1(VALU_DEP_1)
	v_dual_lshlrev_b32 v7, v6, v3 :: v_dual_lshlrev_b32 v6, 23, v6
	v_lshrrev_b32_e32 v7, 4, v7
	s_delay_alu instid0(VALU_DEP_1) | instskip(NEXT) | instid1(VALU_DEP_1)
	v_dual_sub_nc_u32 v6, v7, v6 :: v_dual_ashrrev_i32 v7, 8, v8
	v_add_nc_u32_e32 v6, 0x3c000000, v6
	s_delay_alu instid0(VALU_DEP_1) | instskip(NEXT) | instid1(VALU_DEP_1)
	v_and_or_b32 v6, 0x7f800000, v7, v6
	v_cndmask_b32_e32 v3, 0, v6, vcc_lo
	s_delay_alu instid0(VALU_DEP_1)
	v_and_or_b32 v6, 0x80000000, v1, v3
.LBB19_646:
	s_mov_b32 s23, 0
.LBB19_647:
	s_delay_alu instid0(SALU_CYCLE_1)
	s_and_not1_b32 vcc_lo, exec_lo, s23
	s_cbranch_vccnz .LBB19_649
; %bb.648:
	global_load_u8 v1, v[4:5], off
	s_wait_loadcnt 0x0
	v_lshlrev_b32_e32 v3, 25, v1
	v_lshlrev_b16 v1, 8, v1
	s_delay_alu instid0(VALU_DEP_1) | instskip(SKIP_1) | instid1(VALU_DEP_2)
	v_and_or_b32 v7, 0x7f00, v1, 0.5
	v_bfe_i32 v1, v1, 0, 16
	v_add_f32_e32 v7, -0.5, v7
	v_lshrrev_b32_e32 v6, 4, v3
	v_cmp_gt_u32_e32 vcc_lo, 0x8000000, v3
	s_delay_alu instid0(VALU_DEP_2) | instskip(NEXT) | instid1(VALU_DEP_1)
	v_or_b32_e32 v6, 0x70000000, v6
	v_mul_f32_e32 v6, 0x7800000, v6
	s_delay_alu instid0(VALU_DEP_1) | instskip(NEXT) | instid1(VALU_DEP_1)
	v_cndmask_b32_e32 v3, v6, v7, vcc_lo
	v_and_or_b32 v6, 0x80000000, v1, v3
.LBB19_649:
	s_mov_b32 s24, 0
	s_mov_b32 s23, -1
.LBB19_650:
	s_and_not1_b32 vcc_lo, exec_lo, s24
	s_cbranch_vccnz .LBB19_663
; %bb.651:
	s_cmp_gt_i32 s0, 14
	s_cbranch_scc0 .LBB19_654
; %bb.652:
	s_cmp_eq_u32 s0, 15
	s_cbranch_scc0 .LBB19_657
; %bb.653:
	global_load_u16 v1, v[4:5], off
	s_mov_b32 s23, -1
	s_mov_b32 s22, 0
	s_wait_loadcnt 0x0
	v_lshlrev_b32_e32 v6, 16, v1
	s_branch .LBB19_658
.LBB19_654:
	s_mov_b32 s24, -1
                                        ; implicit-def: $vgpr6
	s_branch .LBB19_659
.LBB19_655:
	s_or_saveexec_b32 s24, s24
	v_mov_b32_e32 v6, 0x7f800001
	s_xor_b32 exec_lo, exec_lo, s24
	s_cbranch_execz .LBB19_636
.LBB19_656:
	v_cmp_ne_u16_e32 vcc_lo, 0, v1
	v_mov_b32_e32 v6, 0
	s_and_not1_b32 s23, s23, exec_lo
	s_and_b32 s25, vcc_lo, exec_lo
	s_delay_alu instid0(SALU_CYCLE_1)
	s_or_b32 s23, s23, s25
	s_or_b32 exec_lo, exec_lo, s24
	s_and_saveexec_b32 s24, s23
	s_cbranch_execnz .LBB19_637
	s_branch .LBB19_638
.LBB19_657:
	s_mov_b32 s22, -1
                                        ; implicit-def: $vgpr6
.LBB19_658:
	s_mov_b32 s24, 0
.LBB19_659:
	s_delay_alu instid0(SALU_CYCLE_1)
	s_and_b32 vcc_lo, exec_lo, s24
	s_cbranch_vccz .LBB19_663
; %bb.660:
	s_cmp_eq_u32 s0, 11
	s_cbranch_scc0 .LBB19_662
; %bb.661:
	global_load_u8 v1, v[4:5], off
	s_mov_b32 s22, 0
	s_mov_b32 s23, -1
	s_wait_loadcnt 0x0
	v_cmp_ne_u16_e32 vcc_lo, 0, v1
	v_cndmask_b32_e64 v6, 0, 1.0, vcc_lo
	s_branch .LBB19_663
.LBB19_662:
	s_mov_b32 s22, -1
                                        ; implicit-def: $vgpr6
.LBB19_663:
	s_mov_b32 s24, 0
.LBB19_664:
	s_delay_alu instid0(SALU_CYCLE_1)
	s_and_b32 vcc_lo, exec_lo, s24
	s_cbranch_vccz .LBB19_713
; %bb.665:
	s_cmp_lt_i32 s0, 5
	s_cbranch_scc1 .LBB19_670
; %bb.666:
	s_cmp_lt_i32 s0, 8
	s_cbranch_scc1 .LBB19_671
	;; [unrolled: 3-line block ×3, first 2 shown]
; %bb.668:
	s_cmp_gt_i32 s0, 9
	s_cbranch_scc0 .LBB19_673
; %bb.669:
	s_wait_loadcnt 0x0
	global_load_b64 v[6:7], v[4:5], off
	s_mov_b32 s23, 0
	s_wait_loadcnt 0x0
	v_cvt_f32_f64_e32 v6, v[6:7]
	s_branch .LBB19_674
.LBB19_670:
	s_mov_b32 s23, -1
                                        ; implicit-def: $vgpr6
	s_branch .LBB19_692
.LBB19_671:
	s_mov_b32 s23, -1
                                        ; implicit-def: $vgpr6
	s_branch .LBB19_680
.LBB19_672:
	s_mov_b32 s23, -1
                                        ; implicit-def: $vgpr6
	s_branch .LBB19_677
.LBB19_673:
	s_mov_b32 s23, -1
                                        ; implicit-def: $vgpr6
.LBB19_674:
	s_delay_alu instid0(SALU_CYCLE_1)
	s_and_not1_b32 vcc_lo, exec_lo, s23
	s_cbranch_vccnz .LBB19_676
; %bb.675:
	s_wait_loadcnt 0x0
	global_load_b32 v6, v[4:5], off
.LBB19_676:
	s_mov_b32 s23, 0
.LBB19_677:
	s_delay_alu instid0(SALU_CYCLE_1)
	s_and_not1_b32 vcc_lo, exec_lo, s23
	s_cbranch_vccnz .LBB19_679
; %bb.678:
	global_load_b32 v1, v[4:5], off
	s_wait_loadcnt 0x0
	v_cvt_f32_f16_e32 v6, v1
.LBB19_679:
	s_mov_b32 s23, 0
.LBB19_680:
	s_delay_alu instid0(SALU_CYCLE_1)
	s_and_not1_b32 vcc_lo, exec_lo, s23
	s_cbranch_vccnz .LBB19_691
; %bb.681:
	s_cmp_lt_i32 s0, 6
	s_cbranch_scc1 .LBB19_684
; %bb.682:
	s_cmp_gt_i32 s0, 6
	s_cbranch_scc0 .LBB19_685
; %bb.683:
	s_wait_loadcnt 0x0
	global_load_b64 v[6:7], v[4:5], off
	s_mov_b32 s23, 0
	s_wait_loadcnt 0x0
	v_cvt_f32_f64_e32 v6, v[6:7]
	s_branch .LBB19_686
.LBB19_684:
	s_mov_b32 s23, -1
                                        ; implicit-def: $vgpr6
	s_branch .LBB19_689
.LBB19_685:
	s_mov_b32 s23, -1
                                        ; implicit-def: $vgpr6
.LBB19_686:
	s_delay_alu instid0(SALU_CYCLE_1)
	s_and_not1_b32 vcc_lo, exec_lo, s23
	s_cbranch_vccnz .LBB19_688
; %bb.687:
	s_wait_loadcnt 0x0
	global_load_b32 v6, v[4:5], off
.LBB19_688:
	s_mov_b32 s23, 0
.LBB19_689:
	s_delay_alu instid0(SALU_CYCLE_1)
	s_and_not1_b32 vcc_lo, exec_lo, s23
	s_cbranch_vccnz .LBB19_691
; %bb.690:
	global_load_u16 v1, v[4:5], off
	s_wait_loadcnt 0x0
	v_cvt_f32_f16_e32 v6, v1
.LBB19_691:
	s_mov_b32 s23, 0
.LBB19_692:
	s_delay_alu instid0(SALU_CYCLE_1)
	s_and_not1_b32 vcc_lo, exec_lo, s23
	s_cbranch_vccnz .LBB19_712
; %bb.693:
	s_cmp_lt_i32 s0, 2
	s_cbranch_scc1 .LBB19_697
; %bb.694:
	s_cmp_lt_i32 s0, 3
	s_cbranch_scc1 .LBB19_698
; %bb.695:
	s_cmp_gt_i32 s0, 3
	s_cbranch_scc0 .LBB19_699
; %bb.696:
	s_wait_loadcnt 0x0
	global_load_b64 v[6:7], v[4:5], off
	s_mov_b32 s23, 0
	s_wait_loadcnt 0x0
	v_xor_b32_e32 v1, v6, v7
	v_cls_i32_e32 v3, v7
	s_delay_alu instid0(VALU_DEP_2) | instskip(NEXT) | instid1(VALU_DEP_1)
	v_ashrrev_i32_e32 v1, 31, v1
	v_add_nc_u32_e32 v1, 32, v1
	s_delay_alu instid0(VALU_DEP_1) | instskip(NEXT) | instid1(VALU_DEP_1)
	v_add_min_u32_e64 v1, v3, -1, v1
	v_lshlrev_b64_e32 v[6:7], v1, v[6:7]
	v_sub_nc_u32_e32 v1, 32, v1
	s_delay_alu instid0(VALU_DEP_2) | instskip(NEXT) | instid1(VALU_DEP_1)
	v_min_u32_e32 v3, 1, v6
	v_or_b32_e32 v3, v7, v3
	s_delay_alu instid0(VALU_DEP_1) | instskip(NEXT) | instid1(VALU_DEP_1)
	v_cvt_f32_i32_e32 v3, v3
	v_ldexp_f32 v6, v3, v1
	s_branch .LBB19_700
.LBB19_697:
	s_mov_b32 s23, -1
                                        ; implicit-def: $vgpr6
	s_branch .LBB19_706
.LBB19_698:
	s_mov_b32 s23, -1
                                        ; implicit-def: $vgpr6
	s_branch .LBB19_703
.LBB19_699:
	s_mov_b32 s23, -1
                                        ; implicit-def: $vgpr6
.LBB19_700:
	s_delay_alu instid0(SALU_CYCLE_1)
	s_and_not1_b32 vcc_lo, exec_lo, s23
	s_cbranch_vccnz .LBB19_702
; %bb.701:
	global_load_b32 v1, v[4:5], off
	s_wait_loadcnt 0x0
	v_cvt_f32_i32_e32 v6, v1
.LBB19_702:
	s_mov_b32 s23, 0
.LBB19_703:
	s_delay_alu instid0(SALU_CYCLE_1)
	s_and_not1_b32 vcc_lo, exec_lo, s23
	s_cbranch_vccnz .LBB19_705
; %bb.704:
	global_load_i16 v1, v[4:5], off
	s_wait_loadcnt 0x0
	v_cvt_f32_i32_e32 v6, v1
.LBB19_705:
	s_mov_b32 s23, 0
.LBB19_706:
	s_delay_alu instid0(SALU_CYCLE_1)
	s_and_not1_b32 vcc_lo, exec_lo, s23
	s_cbranch_vccnz .LBB19_712
; %bb.707:
	s_cmp_gt_i32 s0, 0
	s_mov_b32 s0, 0
	s_cbranch_scc0 .LBB19_709
; %bb.708:
	global_load_i8 v1, v[4:5], off
	s_wait_loadcnt 0x0
	v_cvt_f32_i32_e32 v6, v1
	s_branch .LBB19_710
.LBB19_709:
	s_mov_b32 s0, -1
                                        ; implicit-def: $vgpr6
.LBB19_710:
	s_delay_alu instid0(SALU_CYCLE_1)
	s_and_not1_b32 vcc_lo, exec_lo, s0
	s_cbranch_vccnz .LBB19_712
; %bb.711:
	global_load_u8 v1, v[4:5], off
	s_wait_loadcnt 0x0
	v_cvt_f32_ubyte0_e32 v6, v1
.LBB19_712:
	s_mov_b32 s23, -1
.LBB19_713:
	s_delay_alu instid0(SALU_CYCLE_1)
	s_and_not1_b32 vcc_lo, exec_lo, s23
	s_cbranch_vccnz .LBB19_729
; %bb.714:
	s_wait_xcnt 0x0
	v_mov_b32_e32 v4, 0x7f800000
	s_mov_b32 s23, exec_lo
	s_wait_loadcnt 0x0
	s_delay_alu instid0(VALU_DEP_2)
	v_cmpx_neq_f32_e32 0, v6
	s_cbranch_execz .LBB19_722
; %bb.715:
	v_mov_b32_e32 v4, 0x7fc00000
	s_mov_b32 s24, exec_lo
	v_cmpx_ngt_f32_e32 0, v6
	s_cbranch_execz .LBB19_721
; %bb.716:
                                        ; implicit-def: $vgpr4
	s_mov_b32 s0, exec_lo
	v_cmpx_ge_f32_e32 2.0, v6
	s_xor_b32 s25, exec_lo, s0
	s_cbranch_execz .LBB19_718
; %bb.717:
	v_mov_b32_e32 v7, 0.5
	s_mov_b32 s0, 0xa2a2e5b9
	v_mov_b64_e32 v[10:11], 0x3ad6e3ac293fd856
	v_mov_b64_e32 v[14:15], 0xbb8db2f12d3612e2
	v_mov_b64_e32 v[18:19], 0xbdc25b823aa5c174
	v_pk_fma_f32 v[4:5], v[6:7], v[6:7], -2.0 op_sel_hi:[0,1,0]
	s_delay_alu instid0(VALU_DEP_1) | instskip(NEXT) | instid1(VALU_DEP_2)
	v_fmaak_f32 v1, s0, v5, 0x24199b15
	v_mul_f32_e32 v12, 0x251e770f, v4
	s_mov_b32 s0, 0xa51e770f
	s_delay_alu instid0(VALU_DEP_2) | instskip(NEXT) | instid1(VALU_DEP_1)
	v_fmaak_f32 v3, v5, v1, 0x22a2e5b9
	v_add_f32_e32 v3, 0xa58c275c, v3
	s_delay_alu instid0(VALU_DEP_1) | instskip(SKIP_1) | instid1(VALU_DEP_2)
	v_fma_f32 v1, v5, v3, -v1
	v_pk_mul_f32 v[16:17], v[6:7], v[6:7] op_sel_hi:[0,1]
	v_add_f32_e32 v1, 0x26f736c5, v1
	s_delay_alu instid0(VALU_DEP_2) | instskip(NEXT) | instid1(VALU_DEP_2)
	v_cmp_gt_f32_e32 vcc_lo, 0x800000, v17
	v_fma_f32 v3, v5, v1, -v3
	s_delay_alu instid0(VALU_DEP_1) | instskip(NEXT) | instid1(VALU_DEP_1)
	v_add_f32_e32 v3, 0xa8528116, v3
	v_fma_f32 v1, v5, v3, -v1
	s_delay_alu instid0(VALU_DEP_1) | instskip(NEXT) | instid1(VALU_DEP_1)
	v_add_f32_e32 v1, 0x29acda32, v1
	v_fma_f32 v3, v5, v1, -v3
	s_delay_alu instid0(VALU_DEP_1) | instskip(NEXT) | instid1(VALU_DEP_1)
	v_add_f32_e32 v3, 0xab08b263, v3
	v_fma_f32 v1, v5, v3, -v1
	s_delay_alu instid0(VALU_DEP_1) | instskip(NEXT) | instid1(VALU_DEP_1)
	v_add_f32_e32 v1, 0x2c4ff17f, v1
	v_fma_f32 v3, v5, v1, -v3
	s_delay_alu instid0(VALU_DEP_1) | instskip(NEXT) | instid1(VALU_DEP_1)
	v_add_f32_e32 v3, 0xad97e4ac, v3
	v_fma_f32 v1, v5, v3, -v1
	s_delay_alu instid0(VALU_DEP_1) | instskip(NEXT) | instid1(VALU_DEP_1)
	v_add_f32_e32 v1, 0x2ed4c5f6, v1
	v_fma_f32 v3, v5, v1, -v3
	s_delay_alu instid0(VALU_DEP_1) | instskip(NEXT) | instid1(VALU_DEP_1)
	v_add_f32_e32 v3, 0xb00ea7f1, v3
	v_fma_f32 v1, v5, v3, -v1
	s_delay_alu instid0(VALU_DEP_1) | instskip(NEXT) | instid1(VALU_DEP_1)
	v_add_f32_e32 v1, 0x3136c81d, v1
	v_fma_f32 v3, v5, v1, -v3
	s_delay_alu instid0(VALU_DEP_1) | instskip(NEXT) | instid1(VALU_DEP_1)
	v_add_f32_e32 v3, 0xb25f57b4, v3
	v_fma_f32 v1, v5, v3, -v1
	s_delay_alu instid0(VALU_DEP_1) | instskip(NEXT) | instid1(VALU_DEP_1)
	v_add_f32_e32 v1, 0x3381dbb5, v1
	v_fma_f32 v3, v5, v1, -v3
	s_delay_alu instid0(VALU_DEP_1) | instskip(NEXT) | instid1(VALU_DEP_1)
	v_add_f32_e32 v3, 0xb48f631c, v3
	v_fma_f32 v1, v5, v3, -v1
	s_delay_alu instid0(VALU_DEP_1) | instskip(NEXT) | instid1(VALU_DEP_1)
	v_add_f32_e32 v1, 0x3595f925, v1
	v_fma_f32 v3, v5, v1, -v3
	s_delay_alu instid0(VALU_DEP_1) | instskip(NEXT) | instid1(VALU_DEP_1)
	v_add_f32_e32 v3, 0xb694337e, v3
	v_fma_f32 v1, v5, v3, -v1
	s_delay_alu instid0(VALU_DEP_1) | instskip(NEXT) | instid1(VALU_DEP_1)
	v_add_f32_e32 v1, 0x3789fac6, v1
	v_fma_f32 v3, v5, v1, -v3
	s_delay_alu instid0(VALU_DEP_1) | instskip(NEXT) | instid1(VALU_DEP_1)
	v_add_f32_e32 v3, 0xb8715933, v3
	v_fma_f32 v1, v5, v3, -v1
	s_delay_alu instid0(VALU_DEP_1) | instskip(NEXT) | instid1(VALU_DEP_1)
	v_add_f32_e32 v1, 0x3945a8dc, v1
	v_fma_f32 v3, v5, v1, -v3
	s_delay_alu instid0(VALU_DEP_1) | instskip(NEXT) | instid1(VALU_DEP_1)
	v_add_f32_e32 v9, 0xba1717e9, v3
	v_fma_f32 v13, v5, v9, -v1
	v_mul_f32_e32 v1, 0x3fb8aa3b, v6
	s_delay_alu instid0(VALU_DEP_2) | instskip(NEXT) | instid1(VALU_DEP_2)
	v_pk_add_f32 v[10:11], v[12:13], v[10:11]
	v_rndne_f32_e32 v3, v1
	v_mov_b32_e32 v8, 0xa51e770f
	v_mov_b64_e32 v[12:13], s[0:1]
	v_cmp_ngt_f32_e64 s0, 0xc2ce8ed0, v6
	s_delay_alu instid0(VALU_DEP_3) | instskip(NEXT) | instid1(VALU_DEP_3)
	v_pk_fma_f32 v[8:9], v[4:5], v[10:11], v[8:9] neg_lo:[0,0,1] neg_hi:[0,0,1]
	v_pk_fma_f32 v[12:13], v[4:5], v[10:11], v[12:13]
	s_delay_alu instid0(VALU_DEP_2) | instskip(NEXT) | instid1(VALU_DEP_1)
	v_mov_b32_e32 v13, v9
	v_pk_add_f32 v[8:9], v[12:13], v[14:15]
	v_mov_b64_e32 v[12:13], 0x3c2ccb103102e09b
	v_mov_b64_e32 v[14:15], 0xc000000037bfc808
	s_delay_alu instid0(VALU_DEP_3) | instskip(NEXT) | instid1(VALU_DEP_1)
	v_pk_fma_f32 v[10:11], v[4:5], v[8:9], v[10:11] neg_lo:[0,0,1] neg_hi:[0,0,1]
	v_pk_add_f32 v[10:11], v[10:11], v[12:13]
	v_mov_b64_e32 v[12:13], 0xbcc274f8348815e7
	s_delay_alu instid0(VALU_DEP_2) | instskip(NEXT) | instid1(VALU_DEP_1)
	v_pk_fma_f32 v[8:9], v[4:5], v[10:11], v[8:9] neg_lo:[0,0,1] neg_hi:[0,0,1]
	v_pk_add_f32 v[8:9], v[8:9], v[12:13]
	v_mov_b64_e32 v[12:13], 0x3d49f45637bfc808
	s_delay_alu instid0(VALU_DEP_2) | instskip(NEXT) | instid1(VALU_DEP_1)
	v_pk_fma_f32 v[10:11], v[4:5], v[8:9], v[10:11] neg_lo:[0,0,1] neg_hi:[0,0,1]
	v_mov_b32_e32 v16, v10
	s_delay_alu instid0(VALU_DEP_2) | instskip(SKIP_1) | instid1(VALU_DEP_3)
	v_pk_add_f32 v[10:11], v[10:11], v[12:13]
	v_mov_b32_e32 v12, v4
	v_pk_add_f32 v[14:15], v[16:17], v[14:15]
	s_delay_alu instid0(VALU_DEP_3) | instskip(NEXT) | instid1(VALU_DEP_1)
	v_mov_b32_e32 v13, v11
	v_pk_fma_f32 v[8:9], v[14:15], v[12:13], v[8:9] neg_lo:[0,0,1] neg_hi:[0,0,1]
	v_mov_b64_e32 v[12:13], 0x3e2fbd643d135fb3
	v_cndmask_b32_e64 v15, 0, 32, vcc_lo
	v_fma_f32 v14, 0x3fb8aa3b, v6, -v1
	v_sub_f32_e32 v1, v1, v3
	v_pk_add_f32 v[8:9], v[8:9], v[18:19]
	v_cvt_i32_f32_e32 v3, v3
	s_delay_alu instid0(VALU_DEP_4) | instskip(NEXT) | instid1(VALU_DEP_3)
	v_fmamk_f32 v14, v6, 0x32a5705f, v14
	v_pk_fma_f32 v[10:11], v[4:5], v[8:9], v[10:11] neg_lo:[0,0,1] neg_hi:[0,0,1]
	s_delay_alu instid0(VALU_DEP_1) | instskip(SKIP_1) | instid1(VALU_DEP_2)
	v_pk_add_f32 v[10:11], v[10:11], v[12:13]
	v_ldexp_f32 v12, v17, v15
	v_pk_fma_f32 v[8:9], v[4:5], v[10:11], v[8:9] neg_lo:[0,0,1] neg_hi:[0,0,1]
	s_delay_alu instid0(VALU_DEP_2) | instskip(SKIP_1) | instid1(VALU_DEP_2)
	v_log_f32_e32 v16, v12
	v_add_f32_e32 v1, v1, v14
	v_add_f32_e32 v9, 0xbe9bff5e, v9
	s_delay_alu instid0(VALU_DEP_3) | instskip(NEXT) | instid1(TRANS32_DEP_1)
	v_add_f32_e32 v8, 0x3eb046c4, v8
	v_mul_f32_e32 v12, 0x3f317217, v16
	s_delay_alu instid0(VALU_DEP_4) | instskip(NEXT) | instid1(VALU_DEP_2)
	v_exp_f32_e32 v1, v1
	v_dual_fma_f32 v5, v5, v9, -v11 :: v_dual_mul_f32 v4, v4, v8
	v_mov_b32_e32 v8, 0xbf090b37
	s_delay_alu instid0(VALU_DEP_2) | instskip(NEXT) | instid1(TRANS32_DEP_1)
	v_add_f32_e32 v5, 0x3f2d4275, v5
	v_ldexp_f32 v1, v1, v3
	v_fma_f32 v3, 0x3f317217, v16, -v12
	v_mov_b32_e32 v12, v10
	s_delay_alu instid0(VALU_DEP_4) | instskip(NEXT) | instid1(VALU_DEP_4)
	v_pk_add_f32 v[4:5], v[4:5], v[10:11] neg_lo:[0,1] neg_hi:[0,1]
	v_cndmask_b32_e64 v1, 0, v1, s0
	s_delay_alu instid0(VALU_DEP_4) | instskip(SKIP_1) | instid1(VALU_DEP_4)
	v_fmamk_f32 v3, v16, 0x3377d1cf, v3
	v_cmp_nlt_f32_e64 s0, 0x42b17218, v6
	v_pk_mul_f32 v[14:15], v[4:5], v[6:7]
	v_pk_add_f32 v[4:5], v[4:5], v[8:9]
	s_delay_alu instid0(VALU_DEP_4) | instskip(NEXT) | instid1(VALU_DEP_4)
	v_fmac_f32_e32 v3, 0x3f317217, v16
	v_cndmask_b32_e64 v13, 0x7f800000, v1, s0
	v_cndmask_b32_e64 v1, 0, 0x41b17218, vcc_lo
	v_cmp_gt_f32_e64 vcc_lo, 0x7f800000, |v16|
	v_pk_add_f32 v[4:5], v[4:5], v[10:11] neg_lo:[0,1] neg_hi:[0,1]
                                        ; implicit-def: $vgpr6
	s_delay_alu instid0(VALU_DEP_4) | instskip(SKIP_1) | instid1(VALU_DEP_1)
	v_pk_mul_f32 v[8:9], v[14:15], v[12:13]
	v_dual_mov_b32 v14, v7 :: v_dual_cndmask_b32 v3, v16, v3
	v_dual_mov_b32 v5, v9 :: v_dual_sub_f32 v15, v3, v1
	s_delay_alu instid0(VALU_DEP_1) | instskip(NEXT) | instid1(VALU_DEP_1)
	v_pk_mul_f32 v[4:5], v[14:15], v[4:5]
	v_sub_f32_e32 v1, v4, v5
	s_delay_alu instid0(VALU_DEP_1)
	v_mul_f32_e32 v4, v13, v1
.LBB19_718:
	s_and_not1_saveexec_b32 s25, s25
	s_cbranch_execz .LBB19_720
; %bb.719:
	v_div_scale_f32 v1, null, v6, v6, 0x41000000
	v_div_scale_f32 v5, vcc_lo, 0x41000000, v6, 0x41000000
	s_mov_b32 s0, 0x22c38d2e
	v_rcp_f32_e32 v3, v1
	v_nop
	s_delay_alu instid0(TRANS32_DEP_1) | instskip(NEXT) | instid1(VALU_DEP_1)
	v_fma_f32 v4, -v1, v3, 1.0
	v_fmac_f32_e32 v3, v4, v3
	s_delay_alu instid0(VALU_DEP_1) | instskip(NEXT) | instid1(VALU_DEP_1)
	v_mul_f32_e32 v4, v5, v3
	v_fma_f32 v7, -v1, v4, v5
	s_delay_alu instid0(VALU_DEP_1) | instskip(NEXT) | instid1(VALU_DEP_1)
	v_fmac_f32_e32 v4, v7, v3
	v_fma_f32 v1, -v1, v4, v5
	v_mul_f32_e32 v5, 0x4f800000, v6
	s_delay_alu instid0(VALU_DEP_2) | instskip(SKIP_1) | instid1(VALU_DEP_2)
	v_div_fmas_f32 v1, v1, v3, v4
	v_cmp_gt_f32_e32 vcc_lo, 0xf800000, v6
	v_div_fixup_f32 v1, v1, v6, 0x41000000
	s_delay_alu instid0(VALU_DEP_4) | instskip(NEXT) | instid1(VALU_DEP_2)
	v_cndmask_b32_e32 v5, v6, v5, vcc_lo
	v_add_f32_e32 v1, -2.0, v1
	s_delay_alu instid0(VALU_DEP_2) | instskip(SKIP_1) | instid1(TRANS32_DEP_1)
	v_sqrt_f32_e32 v6, v5
	v_nop
	v_dual_fmaak_f32 v3, s0, v1, 0xa397f665 :: v_dual_add_nc_u32 v8, 1, v6
	s_delay_alu instid0(VALU_DEP_1) | instskip(NEXT) | instid1(VALU_DEP_1)
	v_dual_fmaak_f32 v4, v1, v3, 0xa2c38d2e :: v_dual_add_nc_u32 v7, -1, v6
	v_fma_f32 v9, -v7, v6, v5
	s_delay_alu instid0(VALU_DEP_1) | instskip(NEXT) | instid1(VALU_DEP_1)
	v_cmp_ge_f32_e64 s0, 0, v9
	v_dual_fma_f32 v10, -v8, v6, v5 :: v_dual_cndmask_b32 v6, v6, v7, s0
	s_delay_alu instid0(VALU_DEP_1) | instskip(NEXT) | instid1(VALU_DEP_1)
	v_cmp_lt_f32_e64 s0, 0, v10
	v_cndmask_b32_e64 v6, v6, v8, s0
	v_add_f32_e32 v4, 0x24704972, v4
	s_delay_alu instid0(VALU_DEP_1) | instskip(NEXT) | instid1(VALU_DEP_1)
	v_fma_f32 v3, v1, v4, -v3
	v_add_f32_e32 v3, 0xa5417ca4, v3
	s_delay_alu instid0(VALU_DEP_1) | instskip(NEXT) | instid1(VALU_DEP_1)
	v_fma_f32 v4, v1, v3, -v4
	v_add_f32_e32 v4, 0x261edfcb, v4
	s_delay_alu instid0(VALU_DEP_1) | instskip(NEXT) | instid1(VALU_DEP_1)
	v_fma_f32 v3, v1, v4, -v3
	v_add_f32_e32 v3, 0xa7053487, v3
	s_delay_alu instid0(VALU_DEP_1) | instskip(NEXT) | instid1(VALU_DEP_1)
	v_fma_f32 v4, v1, v3, -v4
	v_add_f32_e32 v4, 0x27e46ce2, v4
	s_delay_alu instid0(VALU_DEP_1) | instskip(NEXT) | instid1(VALU_DEP_1)
	v_fma_f32 v3, v1, v4, -v3
	v_add_f32_e32 v3, 0xa8c8a2f6, v3
	s_delay_alu instid0(VALU_DEP_1) | instskip(NEXT) | instid1(VALU_DEP_1)
	v_fma_f32 v4, v1, v3, -v4
	v_add_f32_e32 v4, 0x29b4e276, v4
	s_delay_alu instid0(VALU_DEP_1) | instskip(NEXT) | instid1(VALU_DEP_1)
	v_fma_f32 v3, v1, v4, -v3
	v_add_f32_e32 v3, 0xaaa7c3b9, v3
	s_delay_alu instid0(VALU_DEP_1) | instskip(NEXT) | instid1(VALU_DEP_1)
	v_fma_f32 v4, v1, v3, -v4
	v_add_f32_e32 v4, 0x2ba07d19, v4
	s_delay_alu instid0(VALU_DEP_1) | instskip(NEXT) | instid1(VALU_DEP_1)
	v_fma_f32 v3, v1, v4, -v3
	v_add_f32_e32 v3, 0xac9ed7e2, v3
	s_delay_alu instid0(VALU_DEP_1) | instskip(NEXT) | instid1(VALU_DEP_1)
	v_fma_f32 v4, v1, v3, -v4
	v_add_f32_e32 v4, 0x2da34042, v4
	s_delay_alu instid0(VALU_DEP_1) | instskip(NEXT) | instid1(VALU_DEP_1)
	v_fma_f32 v3, v1, v4, -v3
	v_add_f32_e32 v3, 0xaeaefcaf, v3
	s_delay_alu instid0(VALU_DEP_1) | instskip(NEXT) | instid1(VALU_DEP_1)
	v_fma_f32 v4, v1, v3, -v4
	v_add_f32_e32 v4, 0x2fc4ab64, v4
	s_delay_alu instid0(VALU_DEP_1) | instskip(NEXT) | instid1(VALU_DEP_1)
	v_fma_f32 v3, v1, v4, -v3
	v_add_f32_e32 v3, 0xb0e94eb0, v3
	s_delay_alu instid0(VALU_DEP_1) | instskip(NEXT) | instid1(VALU_DEP_1)
	v_fma_f32 v4, v1, v3, -v4
	v_add_f32_e32 v4, 0x32134d00, v4
	s_delay_alu instid0(VALU_DEP_1) | instskip(NEXT) | instid1(VALU_DEP_1)
	v_fma_f32 v3, v1, v4, -v3
	v_add_f32_e32 v3, 0xb3482aa1, v3
	s_delay_alu instid0(VALU_DEP_1) | instskip(NEXT) | instid1(VALU_DEP_1)
	v_fma_f32 v4, v1, v3, -v4
	v_add_f32_e32 v4, 0x34948acc, v4
	s_delay_alu instid0(VALU_DEP_1) | instskip(NEXT) | instid1(VALU_DEP_1)
	v_fma_f32 v3, v1, v4, -v3
	v_add_f32_e32 v3, 0xb5f5daa4, v3
	s_delay_alu instid0(VALU_DEP_1) | instskip(NEXT) | instid1(VALU_DEP_1)
	v_fma_f32 v4, v1, v3, -v4
	v_add_f32_e32 v4, 0x376a09fe, v4
	s_delay_alu instid0(VALU_DEP_1) | instskip(NEXT) | instid1(VALU_DEP_1)
	v_fma_f32 v3, v1, v4, -v3
	v_add_f32_e32 v3, 0xb906bcbf, v3
	s_delay_alu instid0(VALU_DEP_1) | instskip(NEXT) | instid1(VALU_DEP_1)
	v_fma_f32 v4, v1, v3, -v4
	v_add_f32_e32 v4, 0x3acdc490, v4
	s_delay_alu instid0(VALU_DEP_1) | instskip(NEXT) | instid1(VALU_DEP_1)
	v_fma_f32 v3, v1, v4, -v3
	v_add_f32_e32 v3, 0xbd00cfb9, v3
	s_delay_alu instid0(VALU_DEP_1) | instskip(SKIP_1) | instid1(VALU_DEP_2)
	v_fma_f32 v1, v1, v3, -v4
	v_mul_f32_e32 v3, 0x37800000, v6
	v_add_f32_e32 v1, 0x401c2ded, v1
	s_delay_alu instid0(VALU_DEP_2) | instskip(SKIP_1) | instid1(VALU_DEP_1)
	v_cndmask_b32_e32 v3, v6, v3, vcc_lo
	v_cmp_class_f32_e64 vcc_lo, v5, 0x260
	v_dual_sub_f32 v1, v1, v4 :: v_dual_cndmask_b32 v3, v3, v5, vcc_lo
	s_delay_alu instid0(VALU_DEP_1) | instskip(NEXT) | instid1(VALU_DEP_1)
	v_mul_f32_e32 v1, 0.5, v1
	v_div_scale_f32 v4, null, v3, v3, v1
	s_delay_alu instid0(VALU_DEP_1) | instskip(SKIP_1) | instid1(TRANS32_DEP_1)
	v_rcp_f32_e32 v5, v4
	v_nop
	v_fma_f32 v6, -v4, v5, 1.0
	s_delay_alu instid0(VALU_DEP_1) | instskip(SKIP_1) | instid1(VALU_DEP_1)
	v_fmac_f32_e32 v5, v6, v5
	v_div_scale_f32 v6, vcc_lo, v1, v3, v1
	v_mul_f32_e32 v7, v6, v5
	s_delay_alu instid0(VALU_DEP_1) | instskip(NEXT) | instid1(VALU_DEP_1)
	v_fma_f32 v8, -v4, v7, v6
	v_fmac_f32_e32 v7, v8, v5
	s_delay_alu instid0(VALU_DEP_1) | instskip(NEXT) | instid1(VALU_DEP_1)
	v_fma_f32 v4, -v4, v7, v6
	v_div_fmas_f32 v4, v4, v5, v7
	s_delay_alu instid0(VALU_DEP_1)
	v_div_fixup_f32 v4, v4, v3, v1
.LBB19_720:
	s_or_b32 exec_lo, exec_lo, s25
.LBB19_721:
	s_delay_alu instid0(SALU_CYCLE_1)
	s_or_b32 exec_lo, exec_lo, s24
.LBB19_722:
	s_delay_alu instid0(SALU_CYCLE_1) | instskip(SKIP_2) | instid1(SALU_CYCLE_1)
	s_or_b32 exec_lo, exec_lo, s23
	v_mov_b32_e32 v3, 0
	s_and_b32 s23, s34, 0xff
	s_cmp_lt_i32 s23, 11
	s_delay_alu instid0(VALU_DEP_1)
	v_add_nc_u64_e32 v[2:3], s[4:5], v[2:3]
	s_cbranch_scc1 .LBB19_730
; %bb.723:
	s_and_b32 s24, 0xffff, s23
	s_delay_alu instid0(SALU_CYCLE_1)
	s_cmp_gt_i32 s24, 25
	s_cbranch_scc0 .LBB19_731
; %bb.724:
	s_cmp_gt_i32 s24, 28
	s_cbranch_scc0 .LBB19_732
; %bb.725:
	;; [unrolled: 3-line block ×4, first 2 shown]
	s_mov_b32 s26, 0
	s_mov_b32 s0, -1
	s_cmp_eq_u32 s24, 46
	s_mov_b32 s25, 0
	s_cbranch_scc0 .LBB19_735
; %bb.728:
	v_bfe_u32 v1, v4, 16, 1
	v_cmp_o_f32_e32 vcc_lo, v4, v4
	s_mov_b32 s25, -1
	s_mov_b32 s0, 0
	s_delay_alu instid0(VALU_DEP_2) | instskip(NEXT) | instid1(VALU_DEP_1)
	v_add3_u32 v1, v4, v1, 0x7fff
	v_lshrrev_b32_e32 v1, 16, v1
	s_delay_alu instid0(VALU_DEP_1)
	v_cndmask_b32_e32 v1, 0x7fc0, v1, vcc_lo
	global_store_b32 v[2:3], v1, off
	s_branch .LBB19_735
.LBB19_729:
	s_mov_b32 s23, 0
	s_mov_b32 s0, s43
	s_branch .LBB19_846
.LBB19_730:
	s_mov_b32 s24, -1
	s_mov_b32 s25, 0
	s_mov_b32 s0, s43
	s_branch .LBB19_804
.LBB19_731:
	s_mov_b32 s26, -1
	s_mov_b32 s25, 0
	s_mov_b32 s0, s43
	s_branch .LBB19_762
.LBB19_732:
	s_mov_b32 s26, -1
	s_mov_b32 s25, 0
	s_mov_b32 s0, s43
	s_branch .LBB19_745
.LBB19_733:
	s_mov_b32 s26, -1
	s_mov_b32 s25, 0
	s_mov_b32 s0, s43
	s_branch .LBB19_741
.LBB19_734:
	s_mov_b32 s26, -1
	s_mov_b32 s25, 0
	s_mov_b32 s0, s43
.LBB19_735:
	s_and_b32 vcc_lo, exec_lo, s26
	s_cbranch_vccz .LBB19_740
; %bb.736:
	s_cmp_eq_u32 s24, 44
	s_mov_b32 s0, -1
	s_cbranch_scc0 .LBB19_740
; %bb.737:
	v_bfe_u32 v5, v4, 23, 8
	s_wait_xcnt 0x0
	v_mov_b32_e32 v1, 0xff
	s_mov_b32 s25, exec_lo
	s_delay_alu instid0(VALU_DEP_2)
	v_cmpx_ne_u32_e32 0xff, v5
	s_cbranch_execz .LBB19_739
; %bb.738:
	v_and_b32_e32 v1, 0x400000, v4
	v_and_or_b32 v5, 0x3fffff, v4, v5
	s_delay_alu instid0(VALU_DEP_2) | instskip(NEXT) | instid1(VALU_DEP_2)
	v_cmp_ne_u32_e32 vcc_lo, 0, v1
	v_cmp_ne_u32_e64 s0, 0, v5
	v_lshrrev_b32_e32 v1, 23, v4
	s_and_b32 s0, vcc_lo, s0
	s_delay_alu instid0(SALU_CYCLE_1) | instskip(NEXT) | instid1(VALU_DEP_1)
	v_cndmask_b32_e64 v5, 0, 1, s0
	v_add_nc_u32_e32 v1, v1, v5
.LBB19_739:
	s_or_b32 exec_lo, exec_lo, s25
	s_mov_b32 s25, -1
	s_mov_b32 s0, 0
	global_store_b8 v[2:3], v1, off
.LBB19_740:
	s_mov_b32 s26, 0
.LBB19_741:
	s_delay_alu instid0(SALU_CYCLE_1)
	s_and_b32 vcc_lo, exec_lo, s26
	s_cbranch_vccz .LBB19_744
; %bb.742:
	s_cmp_eq_u32 s24, 29
	s_mov_b32 s0, -1
	s_cbranch_scc0 .LBB19_744
; %bb.743:
	s_wait_xcnt 0x0
	v_trunc_f32_e32 v1, v4
	s_mov_b32 s25, -1
	s_mov_b32 s0, 0
	s_mov_b32 s26, 0
	s_delay_alu instid0(VALU_DEP_1) | instskip(NEXT) | instid1(VALU_DEP_1)
	v_mul_f32_e32 v5, 0x2f800000, v1
	v_floor_f32_e32 v5, v5
	s_delay_alu instid0(VALU_DEP_1) | instskip(SKIP_1) | instid1(VALU_DEP_2)
	v_fmamk_f32 v1, v5, 0xcf800000, v1
	v_cvt_u32_f32_e32 v7, v5
	v_cvt_u32_f32_e32 v6, v1
	global_store_b64 v[2:3], v[6:7], off
	s_branch .LBB19_745
.LBB19_744:
	s_mov_b32 s26, 0
.LBB19_745:
	s_delay_alu instid0(SALU_CYCLE_1)
	s_and_b32 vcc_lo, exec_lo, s26
	s_cbranch_vccz .LBB19_761
; %bb.746:
	s_cmp_lt_i32 s24, 27
	s_mov_b32 s25, -1
	s_cbranch_scc1 .LBB19_752
; %bb.747:
	s_wait_xcnt 0x0
	v_cvt_u32_f32_e32 v1, v4
	s_cmp_gt_i32 s24, 27
	s_cbranch_scc0 .LBB19_749
; %bb.748:
	s_mov_b32 s25, 0
	global_store_b32 v[2:3], v1, off
.LBB19_749:
	s_and_not1_b32 vcc_lo, exec_lo, s25
	s_cbranch_vccnz .LBB19_751
; %bb.750:
	global_store_b16 v[2:3], v1, off
.LBB19_751:
	s_mov_b32 s25, 0
.LBB19_752:
	s_delay_alu instid0(SALU_CYCLE_1)
	s_and_not1_b32 vcc_lo, exec_lo, s25
	s_cbranch_vccnz .LBB19_760
; %bb.753:
	s_wait_xcnt 0x0
	v_and_b32_e32 v1, 0x7fffffff, v4
	v_mov_b32_e32 v5, 0x80
	s_mov_b32 s25, exec_lo
	s_delay_alu instid0(VALU_DEP_2)
	v_cmpx_gt_u32_e32 0x43800000, v1
	s_cbranch_execz .LBB19_759
; %bb.754:
	v_cmp_lt_u32_e32 vcc_lo, 0x3bffffff, v1
	s_mov_b32 s26, 0
                                        ; implicit-def: $vgpr1
	s_and_saveexec_b32 s27, vcc_lo
	s_delay_alu instid0(SALU_CYCLE_1)
	s_xor_b32 s27, exec_lo, s27
	s_cbranch_execz .LBB19_878
; %bb.755:
	v_bfe_u32 v1, v4, 20, 1
	s_mov_b32 s26, exec_lo
	s_delay_alu instid0(VALU_DEP_1) | instskip(NEXT) | instid1(VALU_DEP_1)
	v_add3_u32 v1, v4, v1, 0x487ffff
	v_lshrrev_b32_e32 v1, 20, v1
	s_and_not1_saveexec_b32 s27, s27
	s_cbranch_execnz .LBB19_879
.LBB19_756:
	s_or_b32 exec_lo, exec_lo, s27
	v_mov_b32_e32 v5, 0
	s_and_saveexec_b32 s27, s26
.LBB19_757:
	v_lshrrev_b32_e32 v5, 24, v4
	s_delay_alu instid0(VALU_DEP_1)
	v_and_or_b32 v5, 0x80, v5, v1
.LBB19_758:
	s_or_b32 exec_lo, exec_lo, s27
.LBB19_759:
	s_delay_alu instid0(SALU_CYCLE_1)
	s_or_b32 exec_lo, exec_lo, s25
	global_store_b8 v[2:3], v5, off
.LBB19_760:
	s_mov_b32 s25, -1
.LBB19_761:
	s_mov_b32 s26, 0
.LBB19_762:
	s_delay_alu instid0(SALU_CYCLE_1)
	s_and_b32 vcc_lo, exec_lo, s26
	s_cbranch_vccz .LBB19_803
; %bb.763:
	s_cmp_gt_i32 s24, 22
	s_mov_b32 s26, -1
	s_cbranch_scc0 .LBB19_795
; %bb.764:
	s_cmp_lt_i32 s24, 24
	s_mov_b32 s25, -1
	s_cbranch_scc1 .LBB19_784
; %bb.765:
	s_cmp_gt_i32 s24, 24
	s_cbranch_scc0 .LBB19_773
; %bb.766:
	s_wait_xcnt 0x0
	v_and_b32_e32 v1, 0x7fffffff, v4
	v_mov_b32_e32 v5, 0x80
	s_mov_b32 s25, exec_lo
	s_delay_alu instid0(VALU_DEP_2)
	v_cmpx_gt_u32_e32 0x47800000, v1
	s_cbranch_execz .LBB19_772
; %bb.767:
	v_cmp_lt_u32_e32 vcc_lo, 0x37ffffff, v1
	s_mov_b32 s26, 0
                                        ; implicit-def: $vgpr1
	s_and_saveexec_b32 s27, vcc_lo
	s_delay_alu instid0(SALU_CYCLE_1)
	s_xor_b32 s27, exec_lo, s27
	s_cbranch_execz .LBB19_881
; %bb.768:
	v_bfe_u32 v1, v4, 21, 1
	s_mov_b32 s26, exec_lo
	s_delay_alu instid0(VALU_DEP_1) | instskip(NEXT) | instid1(VALU_DEP_1)
	v_add3_u32 v1, v4, v1, 0x88fffff
	v_lshrrev_b32_e32 v1, 21, v1
	s_and_not1_saveexec_b32 s27, s27
	s_cbranch_execnz .LBB19_882
.LBB19_769:
	s_or_b32 exec_lo, exec_lo, s27
	v_mov_b32_e32 v5, 0
	s_and_saveexec_b32 s27, s26
.LBB19_770:
	v_lshrrev_b32_e32 v5, 24, v4
	s_delay_alu instid0(VALU_DEP_1)
	v_and_or_b32 v5, 0x80, v5, v1
.LBB19_771:
	s_or_b32 exec_lo, exec_lo, s27
.LBB19_772:
	s_delay_alu instid0(SALU_CYCLE_1)
	s_or_b32 exec_lo, exec_lo, s25
	s_mov_b32 s25, 0
	global_store_b8 v[2:3], v5, off
.LBB19_773:
	s_and_b32 vcc_lo, exec_lo, s25
	s_cbranch_vccz .LBB19_783
; %bb.774:
	s_wait_xcnt 0x0
	v_and_b32_e32 v5, 0x7fffffff, v4
	s_mov_b32 s25, exec_lo
                                        ; implicit-def: $vgpr1
	s_delay_alu instid0(VALU_DEP_1)
	v_cmpx_gt_u32_e32 0x43f00000, v5
	s_xor_b32 s25, exec_lo, s25
	s_cbranch_execz .LBB19_780
; %bb.775:
	s_mov_b32 s26, exec_lo
                                        ; implicit-def: $vgpr1
	v_cmpx_lt_u32_e32 0x3c7fffff, v5
	s_xor_b32 s26, exec_lo, s26
; %bb.776:
	v_bfe_u32 v1, v4, 20, 1
	s_delay_alu instid0(VALU_DEP_1) | instskip(NEXT) | instid1(VALU_DEP_1)
	v_add3_u32 v1, v4, v1, 0x407ffff
	v_and_b32_e32 v5, 0xff00000, v1
	v_lshrrev_b32_e32 v1, 20, v1
	s_delay_alu instid0(VALU_DEP_2) | instskip(NEXT) | instid1(VALU_DEP_2)
	v_cmp_ne_u32_e32 vcc_lo, 0x7f00000, v5
	v_cndmask_b32_e32 v1, 0x7e, v1, vcc_lo
; %bb.777:
	s_and_not1_saveexec_b32 s26, s26
; %bb.778:
	v_add_f32_e64 v1, 0x46800000, |v4|
; %bb.779:
	s_or_b32 exec_lo, exec_lo, s26
                                        ; implicit-def: $vgpr5
.LBB19_780:
	s_and_not1_saveexec_b32 s25, s25
; %bb.781:
	v_mov_b32_e32 v1, 0x7f
	v_cmp_lt_u32_e32 vcc_lo, 0x7f800000, v5
	s_delay_alu instid0(VALU_DEP_2)
	v_cndmask_b32_e32 v1, 0x7e, v1, vcc_lo
; %bb.782:
	s_or_b32 exec_lo, exec_lo, s25
	v_lshrrev_b32_e32 v5, 24, v4
	s_delay_alu instid0(VALU_DEP_1)
	v_and_or_b32 v1, 0x80, v5, v1
	global_store_b8 v[2:3], v1, off
.LBB19_783:
	s_mov_b32 s25, 0
.LBB19_784:
	s_delay_alu instid0(SALU_CYCLE_1)
	s_and_not1_b32 vcc_lo, exec_lo, s25
	s_cbranch_vccnz .LBB19_794
; %bb.785:
	s_wait_xcnt 0x0
	v_and_b32_e32 v5, 0x7fffffff, v4
	s_mov_b32 s25, exec_lo
                                        ; implicit-def: $vgpr1
	s_delay_alu instid0(VALU_DEP_1)
	v_cmpx_gt_u32_e32 0x47800000, v5
	s_xor_b32 s25, exec_lo, s25
	s_cbranch_execz .LBB19_791
; %bb.786:
	s_mov_b32 s26, exec_lo
                                        ; implicit-def: $vgpr1
	v_cmpx_lt_u32_e32 0x387fffff, v5
	s_xor_b32 s26, exec_lo, s26
; %bb.787:
	v_bfe_u32 v1, v4, 21, 1
	s_delay_alu instid0(VALU_DEP_1) | instskip(NEXT) | instid1(VALU_DEP_1)
	v_add3_u32 v1, v4, v1, 0x80fffff
	v_lshrrev_b32_e32 v1, 21, v1
; %bb.788:
	s_and_not1_saveexec_b32 s26, s26
; %bb.789:
	v_add_f32_e64 v1, 0x43000000, |v4|
; %bb.790:
	s_or_b32 exec_lo, exec_lo, s26
                                        ; implicit-def: $vgpr5
.LBB19_791:
	s_and_not1_saveexec_b32 s25, s25
; %bb.792:
	v_mov_b32_e32 v1, 0x7f
	v_cmp_lt_u32_e32 vcc_lo, 0x7f800000, v5
	s_delay_alu instid0(VALU_DEP_2)
	v_cndmask_b32_e32 v1, 0x7c, v1, vcc_lo
; %bb.793:
	s_or_b32 exec_lo, exec_lo, s25
	v_lshrrev_b32_e32 v5, 24, v4
	s_delay_alu instid0(VALU_DEP_1)
	v_and_or_b32 v1, 0x80, v5, v1
	global_store_b8 v[2:3], v1, off
.LBB19_794:
	s_mov_b32 s26, 0
	s_mov_b32 s25, -1
.LBB19_795:
	s_and_not1_b32 vcc_lo, exec_lo, s26
	s_cbranch_vccnz .LBB19_803
; %bb.796:
	s_cmp_gt_i32 s24, 14
	s_mov_b32 s26, -1
	s_cbranch_scc0 .LBB19_800
; %bb.797:
	s_cmp_eq_u32 s24, 15
	s_mov_b32 s0, -1
	s_cbranch_scc0 .LBB19_799
; %bb.798:
	s_wait_xcnt 0x0
	v_bfe_u32 v1, v4, 16, 1
	v_cmp_o_f32_e32 vcc_lo, v4, v4
	s_mov_b32 s25, -1
	s_mov_b32 s0, 0
	s_delay_alu instid0(VALU_DEP_2) | instskip(NEXT) | instid1(VALU_DEP_1)
	v_add3_u32 v1, v4, v1, 0x7fff
	v_lshrrev_b32_e32 v1, 16, v1
	s_delay_alu instid0(VALU_DEP_1)
	v_cndmask_b32_e32 v1, 0x7fc0, v1, vcc_lo
	global_store_b16 v[2:3], v1, off
.LBB19_799:
	s_mov_b32 s26, 0
.LBB19_800:
	s_delay_alu instid0(SALU_CYCLE_1)
	s_and_b32 vcc_lo, exec_lo, s26
	s_cbranch_vccz .LBB19_803
; %bb.801:
	s_cmp_eq_u32 s24, 11
	s_mov_b32 s0, -1
	s_cbranch_scc0 .LBB19_803
; %bb.802:
	v_cmp_neq_f32_e32 vcc_lo, 0, v4
	s_mov_b32 s0, 0
	s_mov_b32 s25, -1
	s_wait_xcnt 0x0
	v_cndmask_b32_e64 v1, 0, 1, vcc_lo
	global_store_b8 v[2:3], v1, off
.LBB19_803:
	s_mov_b32 s24, 0
.LBB19_804:
	s_delay_alu instid0(SALU_CYCLE_1)
	s_and_b32 vcc_lo, exec_lo, s24
	s_cbranch_vccz .LBB19_843
; %bb.805:
	s_and_b32 s23, 0xffff, s23
	s_mov_b32 s24, -1
	s_cmp_lt_i32 s23, 5
	s_cbranch_scc1 .LBB19_826
; %bb.806:
	s_cmp_lt_i32 s23, 8
	s_cbranch_scc1 .LBB19_816
; %bb.807:
	;; [unrolled: 3-line block ×3, first 2 shown]
	s_cmp_gt_i32 s23, 9
	s_cbranch_scc0 .LBB19_810
; %bb.809:
	s_wait_xcnt 0x0
	v_cvt_f64_f32_e32 v[6:7], v4
	v_mov_b32_e32 v8, 0
	s_mov_b32 s24, 0
	s_delay_alu instid0(VALU_DEP_1)
	v_mov_b32_e32 v9, v8
	global_store_b128 v[2:3], v[6:9], off
.LBB19_810:
	s_and_not1_b32 vcc_lo, exec_lo, s24
	s_cbranch_vccnz .LBB19_812
; %bb.811:
	s_wait_xcnt 0x0
	v_mov_b32_e32 v5, 0
	global_store_b64 v[2:3], v[4:5], off
.LBB19_812:
	s_mov_b32 s24, 0
.LBB19_813:
	s_delay_alu instid0(SALU_CYCLE_1)
	s_and_not1_b32 vcc_lo, exec_lo, s24
	s_cbranch_vccnz .LBB19_815
; %bb.814:
	s_wait_xcnt 0x0
	v_cvt_f16_f32_e32 v1, v4
	s_delay_alu instid0(VALU_DEP_1)
	v_and_b32_e32 v1, 0xffff, v1
	global_store_b32 v[2:3], v1, off
.LBB19_815:
	s_mov_b32 s24, 0
.LBB19_816:
	s_delay_alu instid0(SALU_CYCLE_1)
	s_and_not1_b32 vcc_lo, exec_lo, s24
	s_cbranch_vccnz .LBB19_825
; %bb.817:
	s_cmp_lt_i32 s23, 6
	s_mov_b32 s24, -1
	s_cbranch_scc1 .LBB19_823
; %bb.818:
	s_cmp_gt_i32 s23, 6
	s_cbranch_scc0 .LBB19_820
; %bb.819:
	s_wait_xcnt 0x0
	v_cvt_f64_f32_e32 v[6:7], v4
	s_mov_b32 s24, 0
	global_store_b64 v[2:3], v[6:7], off
.LBB19_820:
	s_and_not1_b32 vcc_lo, exec_lo, s24
	s_cbranch_vccnz .LBB19_822
; %bb.821:
	global_store_b32 v[2:3], v4, off
.LBB19_822:
	s_mov_b32 s24, 0
.LBB19_823:
	s_delay_alu instid0(SALU_CYCLE_1)
	s_and_not1_b32 vcc_lo, exec_lo, s24
	s_cbranch_vccnz .LBB19_825
; %bb.824:
	s_wait_xcnt 0x0
	v_cvt_f16_f32_e32 v1, v4
	global_store_b16 v[2:3], v1, off
.LBB19_825:
	s_mov_b32 s24, 0
.LBB19_826:
	s_delay_alu instid0(SALU_CYCLE_1)
	s_and_not1_b32 vcc_lo, exec_lo, s24
	s_cbranch_vccnz .LBB19_842
; %bb.827:
	s_cmp_lt_i32 s23, 2
	s_mov_b32 s24, -1
	s_cbranch_scc1 .LBB19_837
; %bb.828:
	s_cmp_lt_i32 s23, 3
	s_cbranch_scc1 .LBB19_834
; %bb.829:
	s_cmp_gt_i32 s23, 3
	s_cbranch_scc0 .LBB19_831
; %bb.830:
	s_wait_xcnt 0x0
	v_trunc_f32_e32 v1, v4
	s_mov_b32 s24, 0
	s_delay_alu instid0(VALU_DEP_1) | instskip(SKIP_1) | instid1(VALU_DEP_2)
	v_mul_f32_e64 v5, 0x2f800000, |v1|
	v_ashrrev_i32_e32 v6, 31, v1
	v_floor_f32_e32 v5, v5
	s_delay_alu instid0(VALU_DEP_1) | instskip(SKIP_1) | instid1(VALU_DEP_2)
	v_fma_f32 v7, 0xcf800000, v5, |v1|
	v_cvt_u32_f32_e32 v1, v5
	v_cvt_u32_f32_e32 v5, v7
	s_delay_alu instid0(VALU_DEP_2) | instskip(NEXT) | instid1(VALU_DEP_2)
	v_dual_mov_b32 v7, v6 :: v_dual_bitop2_b32 v9, v1, v6 bitop3:0x14
	v_xor_b32_e32 v8, v5, v6
	s_delay_alu instid0(VALU_DEP_1)
	v_sub_nc_u64_e32 v[6:7], v[8:9], v[6:7]
	global_store_b64 v[2:3], v[6:7], off
.LBB19_831:
	s_and_not1_b32 vcc_lo, exec_lo, s24
	s_cbranch_vccnz .LBB19_833
; %bb.832:
	s_wait_xcnt 0x0
	v_cvt_i32_f32_e32 v1, v4
	global_store_b32 v[2:3], v1, off
.LBB19_833:
	s_mov_b32 s24, 0
.LBB19_834:
	s_delay_alu instid0(SALU_CYCLE_1)
	s_and_not1_b32 vcc_lo, exec_lo, s24
	s_cbranch_vccnz .LBB19_836
; %bb.835:
	s_wait_xcnt 0x0
	v_cvt_i32_f32_e32 v1, v4
	global_store_b16 v[2:3], v1, off
.LBB19_836:
	s_mov_b32 s24, 0
.LBB19_837:
	s_delay_alu instid0(SALU_CYCLE_1)
	s_and_not1_b32 vcc_lo, exec_lo, s24
	s_cbranch_vccnz .LBB19_842
; %bb.838:
	s_cmp_gt_i32 s23, 0
	s_mov_b32 s23, -1
	s_cbranch_scc0 .LBB19_840
; %bb.839:
	s_wait_xcnt 0x0
	v_cvt_i32_f32_e32 v1, v4
	s_mov_b32 s23, 0
	global_store_b8 v[2:3], v1, off
.LBB19_840:
	s_and_not1_b32 vcc_lo, exec_lo, s23
	s_cbranch_vccnz .LBB19_842
; %bb.841:
	s_wait_xcnt 0x0
	v_trunc_f32_e32 v1, v4
	s_delay_alu instid0(VALU_DEP_1) | instskip(NEXT) | instid1(VALU_DEP_1)
	v_mul_f32_e64 v4, 0x2f800000, |v1|
	v_floor_f32_e32 v4, v4
	s_delay_alu instid0(VALU_DEP_1) | instskip(SKIP_1) | instid1(VALU_DEP_2)
	v_fma_f32 v4, 0xcf800000, v4, |v1|
	v_ashrrev_i32_e32 v1, 31, v1
	v_cvt_u32_f32_e32 v4, v4
	s_delay_alu instid0(VALU_DEP_1) | instskip(NEXT) | instid1(VALU_DEP_1)
	v_xor_b32_e32 v4, v4, v1
	v_sub_nc_u32_e32 v1, v4, v1
	global_store_b8 v[2:3], v1, off
.LBB19_842:
	s_mov_b32 s25, -1
.LBB19_843:
	s_delay_alu instid0(SALU_CYCLE_1)
	s_and_not1_b32 vcc_lo, exec_lo, s25
	s_cbranch_vccnz .LBB19_845
; %bb.844:
	v_add_nc_u32_e32 v0, 0x80, v0
	s_mov_b32 s23, -1
	s_branch .LBB19_847
.LBB19_845:
	s_mov_b32 s23, 0
.LBB19_846:
                                        ; implicit-def: $vgpr0
.LBB19_847:
	s_and_not1_b32 s24, s43, exec_lo
	s_and_b32 s0, s0, exec_lo
	s_and_not1_b32 s25, s42, exec_lo
	s_and_b32 s22, s22, exec_lo
	s_or_b32 s26, s24, s0
	s_or_b32 s0, s25, s22
	s_or_not1_b32 s25, s23, exec_lo
.LBB19_848:
	s_wait_xcnt 0x0
	s_or_b32 exec_lo, exec_lo, s45
	s_mov_b32 s22, 0
	s_mov_b32 s23, 0
	s_mov_b32 s24, 0
                                        ; implicit-def: $vgpr4_vgpr5
                                        ; implicit-def: $vgpr2
                                        ; implicit-def: $vgpr6
	s_and_saveexec_b32 s27, s25
	s_cbranch_execz .LBB19_950
; %bb.849:
	v_cmp_gt_i32_e32 vcc_lo, s36, v0
	s_mov_b32 s25, s0
                                        ; implicit-def: $vgpr4_vgpr5
                                        ; implicit-def: $vgpr2
                                        ; implicit-def: $vgpr6
	s_and_saveexec_b32 s36, vcc_lo
	s_cbranch_execz .LBB19_949
; %bb.850:
	s_and_not1_b32 vcc_lo, exec_lo, s31
	s_cbranch_vccnz .LBB19_856
; %bb.851:
	s_and_not1_b32 vcc_lo, exec_lo, s38
	s_cbranch_vccnz .LBB19_857
; %bb.852:
	s_add_co_i32 s37, s37, 1
	s_cmp_eq_u32 s29, 2
	s_cbranch_scc1 .LBB19_858
; %bb.853:
	v_dual_mov_b32 v2, 0 :: v_dual_mov_b32 v4, 0
	v_mov_b32_e32 v1, v0
	s_and_b32 s22, s37, 28
	s_mov_b64 s[24:25], s[2:3]
.LBB19_854:                             ; =>This Inner Loop Header: Depth=1
	s_clause 0x1
	s_load_b256 s[48:55], s[24:25], 0x4
	s_load_b128 s[64:67], s[24:25], 0x24
	s_load_b256 s[56:63], s[20:21], 0x0
	s_add_co_i32 s23, s23, 4
	s_wait_xcnt 0x0
	s_add_nc_u64 s[24:25], s[24:25], 48
	s_cmp_eq_u32 s22, s23
	s_add_nc_u64 s[20:21], s[20:21], 32
	s_wait_kmcnt 0x0
	v_mul_hi_u32 v3, s49, v1
	s_delay_alu instid0(VALU_DEP_1) | instskip(NEXT) | instid1(VALU_DEP_1)
	v_add_nc_u32_e32 v3, v1, v3
	v_lshrrev_b32_e32 v3, s50, v3
	s_delay_alu instid0(VALU_DEP_1) | instskip(NEXT) | instid1(VALU_DEP_1)
	v_mul_hi_u32 v5, s52, v3
	v_add_nc_u32_e32 v5, v3, v5
	s_delay_alu instid0(VALU_DEP_1) | instskip(SKIP_1) | instid1(VALU_DEP_1)
	v_lshrrev_b32_e32 v5, s53, v5
	s_wait_loadcnt 0x0
	v_mul_hi_u32 v6, s55, v5
	s_delay_alu instid0(VALU_DEP_1) | instskip(SKIP_1) | instid1(VALU_DEP_1)
	v_add_nc_u32_e32 v6, v5, v6
	v_mul_lo_u32 v7, v3, s48
	v_sub_nc_u32_e32 v1, v1, v7
	v_mul_lo_u32 v7, v5, s51
	s_delay_alu instid0(VALU_DEP_4) | instskip(NEXT) | instid1(VALU_DEP_3)
	v_lshrrev_b32_e32 v6, s64, v6
	v_mad_u32 v4, v1, s57, v4
	v_mad_u32 v1, v1, s56, v2
	s_delay_alu instid0(VALU_DEP_4) | instskip(NEXT) | instid1(VALU_DEP_4)
	v_sub_nc_u32_e32 v2, v3, v7
	v_mul_hi_u32 v8, s66, v6
	v_mul_lo_u32 v3, v6, s54
	s_delay_alu instid0(VALU_DEP_3) | instskip(SKIP_1) | instid1(VALU_DEP_3)
	v_mad_u32 v4, v2, s59, v4
	v_mad_u32 v2, v2, s58, v1
	v_dual_add_nc_u32 v7, v6, v8 :: v_dual_sub_nc_u32 v3, v5, v3
	s_delay_alu instid0(VALU_DEP_1) | instskip(NEXT) | instid1(VALU_DEP_2)
	v_lshrrev_b32_e32 v1, s67, v7
	v_mad_u32 v4, v3, s61, v4
	s_delay_alu instid0(VALU_DEP_4) | instskip(NEXT) | instid1(VALU_DEP_3)
	v_mad_u32 v2, v3, s60, v2
	v_mul_lo_u32 v5, v1, s65
	s_delay_alu instid0(VALU_DEP_1) | instskip(NEXT) | instid1(VALU_DEP_1)
	v_sub_nc_u32_e32 v3, v6, v5
	v_mad_u32 v4, v3, s63, v4
	s_delay_alu instid0(VALU_DEP_4)
	v_mad_u32 v2, v3, s62, v2
	s_cbranch_scc0 .LBB19_854
; %bb.855:
	s_delay_alu instid0(VALU_DEP_2)
	v_mov_b32_e32 v3, v4
	s_branch .LBB19_859
.LBB19_856:
	s_mov_b32 s20, -1
                                        ; implicit-def: $vgpr4
                                        ; implicit-def: $vgpr2
	s_branch .LBB19_864
.LBB19_857:
	v_dual_mov_b32 v4, 0 :: v_dual_mov_b32 v2, 0
	s_branch .LBB19_863
.LBB19_858:
	v_mov_b64_e32 v[2:3], 0
	v_mov_b32_e32 v1, v0
                                        ; implicit-def: $vgpr4
.LBB19_859:
	s_and_b32 s24, s37, 3
	s_mov_b32 s23, 0
	s_cmp_eq_u32 s24, 0
	s_cbranch_scc1 .LBB19_863
; %bb.860:
	s_lshl_b32 s20, s22, 3
	s_mov_b32 s21, s23
	s_mul_u64 s[22:23], s[22:23], 12
	s_add_nc_u64 s[20:21], s[2:3], s[20:21]
	s_add_nc_u64 s[22:23], s[2:3], s[22:23]
	;; [unrolled: 1-line block ×3, first 2 shown]
.LBB19_861:                             ; =>This Inner Loop Header: Depth=1
	s_load_b96 s[48:50], s[22:23], 0x4
	s_load_b64 s[46:47], s[20:21], 0x0
	s_add_co_i32 s24, s24, -1
	s_wait_xcnt 0x0
	s_add_nc_u64 s[22:23], s[22:23], 12
	s_cmp_lg_u32 s24, 0
	s_add_nc_u64 s[20:21], s[20:21], 8
	s_wait_kmcnt 0x0
	v_mul_hi_u32 v4, s49, v1
	s_delay_alu instid0(VALU_DEP_1) | instskip(NEXT) | instid1(VALU_DEP_1)
	v_add_nc_u32_e32 v4, v1, v4
	v_lshrrev_b32_e32 v4, s50, v4
	s_delay_alu instid0(VALU_DEP_1) | instskip(NEXT) | instid1(VALU_DEP_1)
	v_mul_lo_u32 v5, v4, s48
	v_sub_nc_u32_e32 v1, v1, v5
	s_delay_alu instid0(VALU_DEP_1)
	v_mad_u32 v3, v1, s47, v3
	v_mad_u32 v2, v1, s46, v2
	v_mov_b32_e32 v1, v4
	s_cbranch_scc1 .LBB19_861
; %bb.862:
	s_delay_alu instid0(VALU_DEP_3)
	v_mov_b32_e32 v4, v3
.LBB19_863:
	s_mov_b32 s20, 0
.LBB19_864:
	s_delay_alu instid0(SALU_CYCLE_1)
	s_and_not1_b32 vcc_lo, exec_lo, s20
	s_cbranch_vccnz .LBB19_867
; %bb.865:
	v_mov_b32_e32 v1, 0
	s_and_not1_b32 vcc_lo, exec_lo, s35
	s_delay_alu instid0(VALU_DEP_1) | instskip(NEXT) | instid1(VALU_DEP_1)
	v_mul_u64_e32 v[2:3], s[16:17], v[0:1]
	v_add_nc_u32_e32 v2, v0, v3
	s_wait_loadcnt 0x0
	s_delay_alu instid0(VALU_DEP_1) | instskip(NEXT) | instid1(VALU_DEP_1)
	v_lshrrev_b32_e32 v6, s14, v2
	v_mul_lo_u32 v2, v6, s12
	s_delay_alu instid0(VALU_DEP_1) | instskip(NEXT) | instid1(VALU_DEP_1)
	v_sub_nc_u32_e32 v0, v0, v2
	v_mul_lo_u32 v4, v0, s9
	v_mul_lo_u32 v2, v0, s8
	s_cbranch_vccnz .LBB19_867
; %bb.866:
	v_mov_b32_e32 v7, v1
	s_delay_alu instid0(VALU_DEP_1) | instskip(NEXT) | instid1(VALU_DEP_1)
	v_mul_u64_e32 v[0:1], s[18:19], v[6:7]
	v_add_nc_u32_e32 v0, v6, v1
	s_delay_alu instid0(VALU_DEP_1) | instskip(NEXT) | instid1(VALU_DEP_1)
	v_lshrrev_b32_e32 v0, s1, v0
	v_mul_lo_u32 v0, v0, s15
	s_delay_alu instid0(VALU_DEP_1) | instskip(NEXT) | instid1(VALU_DEP_1)
	v_sub_nc_u32_e32 v0, v6, v0
	v_mad_u32 v2, v0, s10, v2
	v_mad_u32 v4, v0, s11, v4
.LBB19_867:
	v_mov_b32_e32 v5, 0
	s_and_b32 s1, 0xffff, s13
	s_delay_alu instid0(SALU_CYCLE_1) | instskip(NEXT) | instid1(VALU_DEP_1)
	s_cmp_lt_i32 s1, 11
	v_add_nc_u64_e32 v[4:5], s[6:7], v[4:5]
	s_cbranch_scc1 .LBB19_874
; %bb.868:
	s_cmp_gt_i32 s1, 25
	s_mov_b32 s7, 0
	s_cbranch_scc0 .LBB19_875
; %bb.869:
	s_cmp_gt_i32 s1, 28
	s_cbranch_scc0 .LBB19_876
; %bb.870:
	s_cmp_gt_i32 s1, 43
	;; [unrolled: 3-line block ×3, first 2 shown]
	s_cbranch_scc0 .LBB19_880
; %bb.872:
	s_cmp_eq_u32 s1, 46
	s_mov_b32 s9, 0
	s_cbranch_scc0 .LBB19_883
; %bb.873:
	global_load_b32 v0, v[4:5], off
	s_mov_b32 s6, 0
	s_mov_b32 s8, -1
	s_wait_loadcnt 0x0
	v_lshlrev_b32_e32 v6, 16, v0
	s_branch .LBB19_885
.LBB19_874:
	s_mov_b32 s1, -1
	s_mov_b32 s8, 0
	s_mov_b32 s7, 0
	;; [unrolled: 1-line block ×3, first 2 shown]
                                        ; implicit-def: $vgpr6
	s_branch .LBB19_948
.LBB19_875:
	s_mov_b32 s9, -1
	s_mov_b32 s8, 0
	s_mov_b32 s6, s0
                                        ; implicit-def: $vgpr6
	s_branch .LBB19_914
.LBB19_876:
	s_mov_b32 s9, -1
	s_mov_b32 s8, 0
	s_mov_b32 s6, s0
                                        ; implicit-def: $vgpr6
	s_branch .LBB19_895
.LBB19_877:
	s_mov_b32 s9, -1
	s_mov_b32 s8, 0
	s_mov_b32 s6, s0
                                        ; implicit-def: $vgpr6
	s_branch .LBB19_890
.LBB19_878:
	s_and_not1_saveexec_b32 s27, s27
	s_cbranch_execz .LBB19_756
.LBB19_879:
	v_add_f32_e64 v1, 0x46000000, |v4|
	s_and_not1_b32 s26, s26, exec_lo
	s_delay_alu instid0(VALU_DEP_1) | instskip(NEXT) | instid1(VALU_DEP_1)
	v_and_b32_e32 v1, 0xff, v1
	v_cmp_ne_u32_e32 vcc_lo, 0, v1
	s_and_b32 s46, vcc_lo, exec_lo
	s_delay_alu instid0(SALU_CYCLE_1)
	s_or_b32 s26, s26, s46
	s_or_b32 exec_lo, exec_lo, s27
	v_mov_b32_e32 v5, 0
	s_and_saveexec_b32 s27, s26
	s_cbranch_execnz .LBB19_757
	s_branch .LBB19_758
.LBB19_880:
	s_mov_b32 s9, -1
	s_mov_b32 s8, 0
	s_mov_b32 s6, s0
	s_branch .LBB19_884
.LBB19_881:
	s_and_not1_saveexec_b32 s27, s27
	s_cbranch_execz .LBB19_769
.LBB19_882:
	v_add_f32_e64 v1, 0x42800000, |v4|
	s_and_not1_b32 s26, s26, exec_lo
	s_delay_alu instid0(VALU_DEP_1) | instskip(NEXT) | instid1(VALU_DEP_1)
	v_and_b32_e32 v1, 0xff, v1
	v_cmp_ne_u32_e32 vcc_lo, 0, v1
	s_and_b32 s46, vcc_lo, exec_lo
	s_delay_alu instid0(SALU_CYCLE_1)
	s_or_b32 s26, s26, s46
	s_or_b32 exec_lo, exec_lo, s27
	v_mov_b32_e32 v5, 0
	s_and_saveexec_b32 s27, s26
	s_cbranch_execnz .LBB19_770
	s_branch .LBB19_771
.LBB19_883:
	s_mov_b32 s6, -1
	s_mov_b32 s8, 0
.LBB19_884:
                                        ; implicit-def: $vgpr6
.LBB19_885:
	s_and_b32 vcc_lo, exec_lo, s9
	s_cbranch_vccz .LBB19_889
; %bb.886:
	s_cmp_eq_u32 s1, 44
	s_cbranch_scc0 .LBB19_888
; %bb.887:
	global_load_u8 v0, v[4:5], off
	s_mov_b32 s6, 0
	s_mov_b32 s8, -1
	s_wait_loadcnt 0x0
	v_lshlrev_b32_e32 v1, 23, v0
	v_cmp_ne_u32_e32 vcc_lo, 0xff, v0
	s_delay_alu instid0(VALU_DEP_2) | instskip(SKIP_1) | instid1(VALU_DEP_2)
	v_cndmask_b32_e32 v1, 0x7f800001, v1, vcc_lo
	v_cmp_ne_u32_e32 vcc_lo, 0, v0
	v_cndmask_b32_e32 v6, 0x400000, v1, vcc_lo
	s_branch .LBB19_889
.LBB19_888:
	s_mov_b32 s6, -1
                                        ; implicit-def: $vgpr6
.LBB19_889:
	s_mov_b32 s9, 0
.LBB19_890:
	s_delay_alu instid0(SALU_CYCLE_1)
	s_and_b32 vcc_lo, exec_lo, s9
	s_cbranch_vccz .LBB19_894
; %bb.891:
	s_cmp_eq_u32 s1, 29
	s_cbranch_scc0 .LBB19_893
; %bb.892:
	global_load_b64 v[0:1], v[4:5], off
	s_mov_b32 s6, 0
	s_mov_b32 s8, -1
	s_mov_b32 s9, 0
	s_wait_loadcnt 0x0
	v_clz_i32_u32_e32 v3, v1
	s_delay_alu instid0(VALU_DEP_1) | instskip(NEXT) | instid1(VALU_DEP_1)
	v_min_u32_e32 v3, 32, v3
	v_lshlrev_b64_e32 v[0:1], v3, v[0:1]
	s_delay_alu instid0(VALU_DEP_1) | instskip(NEXT) | instid1(VALU_DEP_1)
	v_min_u32_e32 v0, 1, v0
	v_dual_sub_nc_u32 v1, 32, v3 :: v_dual_bitop2_b32 v0, v1, v0 bitop3:0x54
	s_delay_alu instid0(VALU_DEP_1) | instskip(NEXT) | instid1(VALU_DEP_1)
	v_cvt_f32_u32_e32 v0, v0
	v_ldexp_f32 v6, v0, v1
	s_branch .LBB19_895
.LBB19_893:
	s_mov_b32 s6, -1
                                        ; implicit-def: $vgpr6
.LBB19_894:
	s_mov_b32 s9, 0
.LBB19_895:
	s_delay_alu instid0(SALU_CYCLE_1)
	s_and_b32 vcc_lo, exec_lo, s9
	s_cbranch_vccz .LBB19_913
; %bb.896:
	s_cmp_lt_i32 s1, 27
	s_cbranch_scc1 .LBB19_899
; %bb.897:
	s_cmp_gt_i32 s1, 27
	s_cbranch_scc0 .LBB19_900
; %bb.898:
	global_load_b32 v0, v[4:5], off
	s_mov_b32 s8, 0
	s_wait_loadcnt 0x0
	v_cvt_f32_u32_e32 v6, v0
	s_branch .LBB19_901
.LBB19_899:
	s_mov_b32 s8, -1
                                        ; implicit-def: $vgpr6
	s_branch .LBB19_904
.LBB19_900:
	s_mov_b32 s8, -1
                                        ; implicit-def: $vgpr6
.LBB19_901:
	s_delay_alu instid0(SALU_CYCLE_1)
	s_and_not1_b32 vcc_lo, exec_lo, s8
	s_cbranch_vccnz .LBB19_903
; %bb.902:
	global_load_u16 v0, v[4:5], off
	s_wait_loadcnt 0x0
	v_cvt_f32_u32_e32 v6, v0
.LBB19_903:
	s_mov_b32 s8, 0
.LBB19_904:
	s_delay_alu instid0(SALU_CYCLE_1)
	s_and_not1_b32 vcc_lo, exec_lo, s8
	s_cbranch_vccnz .LBB19_912
; %bb.905:
	global_load_u8 v0, v[4:5], off
	s_mov_b32 s8, 0
	s_mov_b32 s9, exec_lo
	s_wait_loadcnt 0x0
	v_cmpx_lt_i16_e32 0x7f, v0
	s_xor_b32 s9, exec_lo, s9
	s_cbranch_execz .LBB19_926
; %bb.906:
	s_mov_b32 s8, -1
	s_mov_b32 s10, exec_lo
	v_cmpx_eq_u16_e32 0x80, v0
; %bb.907:
	s_xor_b32 s8, exec_lo, -1
; %bb.908:
	s_or_b32 exec_lo, exec_lo, s10
	s_delay_alu instid0(SALU_CYCLE_1)
	s_and_b32 s8, s8, exec_lo
	s_or_saveexec_b32 s9, s9
	v_mov_b32_e32 v6, 0x7f800001
	s_xor_b32 exec_lo, exec_lo, s9
	s_cbranch_execnz .LBB19_927
.LBB19_909:
	s_or_b32 exec_lo, exec_lo, s9
	s_and_saveexec_b32 s9, s8
	s_cbranch_execz .LBB19_911
.LBB19_910:
	v_and_b32_e32 v1, 0xffff, v0
	s_delay_alu instid0(VALU_DEP_1) | instskip(SKIP_1) | instid1(VALU_DEP_2)
	v_and_b32_e32 v3, 7, v1
	v_bfe_u32 v8, v1, 3, 4
	v_clz_i32_u32_e32 v6, v3
	s_delay_alu instid0(VALU_DEP_2) | instskip(NEXT) | instid1(VALU_DEP_2)
	v_cmp_eq_u32_e32 vcc_lo, 0, v8
	v_min_u32_e32 v6, 32, v6
	s_delay_alu instid0(VALU_DEP_1) | instskip(NEXT) | instid1(VALU_DEP_1)
	v_subrev_nc_u32_e32 v7, 28, v6
	v_dual_lshlrev_b32 v1, v7, v1 :: v_dual_sub_nc_u32 v6, 29, v6
	s_delay_alu instid0(VALU_DEP_1) | instskip(NEXT) | instid1(VALU_DEP_1)
	v_dual_lshlrev_b32 v0, 24, v0 :: v_dual_bitop2_b32 v1, 7, v1 bitop3:0x40
	v_dual_cndmask_b32 v6, v8, v6 :: v_dual_cndmask_b32 v1, v3, v1
	s_delay_alu instid0(VALU_DEP_2) | instskip(NEXT) | instid1(VALU_DEP_2)
	v_and_b32_e32 v0, 0x80000000, v0
	v_lshl_add_u32 v3, v6, 23, 0x3b800000
	s_delay_alu instid0(VALU_DEP_3) | instskip(NEXT) | instid1(VALU_DEP_1)
	v_lshlrev_b32_e32 v1, 20, v1
	v_or3_b32 v6, v0, v3, v1
.LBB19_911:
	s_or_b32 exec_lo, exec_lo, s9
.LBB19_912:
	s_mov_b32 s8, -1
.LBB19_913:
	s_mov_b32 s9, 0
.LBB19_914:
	s_delay_alu instid0(SALU_CYCLE_1)
	s_and_b32 vcc_lo, exec_lo, s9
	s_cbranch_vccz .LBB19_947
; %bb.915:
	s_cmp_gt_i32 s1, 22
	s_cbranch_scc0 .LBB19_925
; %bb.916:
	s_cmp_lt_i32 s1, 24
	s_cbranch_scc1 .LBB19_928
; %bb.917:
	s_cmp_gt_i32 s1, 24
	s_cbranch_scc0 .LBB19_929
; %bb.918:
	global_load_u8 v0, v[4:5], off
	s_mov_b32 s8, exec_lo
	s_wait_loadcnt 0x0
	v_cmpx_lt_i16_e32 0x7f, v0
	s_xor_b32 s8, exec_lo, s8
	s_cbranch_execz .LBB19_941
; %bb.919:
	s_mov_b32 s7, -1
	s_mov_b32 s9, exec_lo
	v_cmpx_eq_u16_e32 0x80, v0
; %bb.920:
	s_xor_b32 s7, exec_lo, -1
; %bb.921:
	s_or_b32 exec_lo, exec_lo, s9
	s_delay_alu instid0(SALU_CYCLE_1)
	s_and_b32 s7, s7, exec_lo
	s_or_saveexec_b32 s8, s8
	v_mov_b32_e32 v6, 0x7f800001
	s_xor_b32 exec_lo, exec_lo, s8
	s_cbranch_execnz .LBB19_942
.LBB19_922:
	s_or_b32 exec_lo, exec_lo, s8
	s_and_saveexec_b32 s8, s7
	s_cbranch_execz .LBB19_924
.LBB19_923:
	v_and_b32_e32 v1, 0xffff, v0
	s_delay_alu instid0(VALU_DEP_1) | instskip(SKIP_1) | instid1(VALU_DEP_2)
	v_and_b32_e32 v3, 3, v1
	v_bfe_u32 v8, v1, 2, 5
	v_clz_i32_u32_e32 v6, v3
	s_delay_alu instid0(VALU_DEP_2) | instskip(NEXT) | instid1(VALU_DEP_2)
	v_cmp_eq_u32_e32 vcc_lo, 0, v8
	v_min_u32_e32 v6, 32, v6
	s_delay_alu instid0(VALU_DEP_1) | instskip(NEXT) | instid1(VALU_DEP_1)
	v_subrev_nc_u32_e32 v7, 29, v6
	v_dual_lshlrev_b32 v1, v7, v1 :: v_dual_sub_nc_u32 v6, 30, v6
	s_delay_alu instid0(VALU_DEP_1) | instskip(NEXT) | instid1(VALU_DEP_1)
	v_dual_lshlrev_b32 v0, 24, v0 :: v_dual_bitop2_b32 v1, 3, v1 bitop3:0x40
	v_dual_cndmask_b32 v6, v8, v6 :: v_dual_cndmask_b32 v1, v3, v1
	s_delay_alu instid0(VALU_DEP_2) | instskip(NEXT) | instid1(VALU_DEP_2)
	v_and_b32_e32 v0, 0x80000000, v0
	v_lshl_add_u32 v3, v6, 23, 0x37800000
	s_delay_alu instid0(VALU_DEP_3) | instskip(NEXT) | instid1(VALU_DEP_1)
	v_lshlrev_b32_e32 v1, 21, v1
	v_or3_b32 v6, v0, v3, v1
.LBB19_924:
	s_or_b32 exec_lo, exec_lo, s8
	s_mov_b32 s7, 0
	s_branch .LBB19_930
.LBB19_925:
	s_mov_b32 s7, -1
                                        ; implicit-def: $vgpr6
	s_branch .LBB19_936
.LBB19_926:
	s_or_saveexec_b32 s9, s9
	v_mov_b32_e32 v6, 0x7f800001
	s_xor_b32 exec_lo, exec_lo, s9
	s_cbranch_execz .LBB19_909
.LBB19_927:
	v_cmp_ne_u16_e32 vcc_lo, 0, v0
	v_mov_b32_e32 v6, 0
	s_and_not1_b32 s8, s8, exec_lo
	s_and_b32 s10, vcc_lo, exec_lo
	s_delay_alu instid0(SALU_CYCLE_1)
	s_or_b32 s8, s8, s10
	s_or_b32 exec_lo, exec_lo, s9
	s_and_saveexec_b32 s9, s8
	s_cbranch_execnz .LBB19_910
	s_branch .LBB19_911
.LBB19_928:
	s_mov_b32 s7, -1
                                        ; implicit-def: $vgpr6
	s_branch .LBB19_933
.LBB19_929:
	s_mov_b32 s7, -1
                                        ; implicit-def: $vgpr6
.LBB19_930:
	s_delay_alu instid0(SALU_CYCLE_1)
	s_and_b32 vcc_lo, exec_lo, s7
	s_cbranch_vccz .LBB19_932
; %bb.931:
	global_load_u8 v0, v[4:5], off
	s_wait_loadcnt 0x0
	v_lshlrev_b32_e32 v0, 24, v0
	s_delay_alu instid0(VALU_DEP_1) | instskip(NEXT) | instid1(VALU_DEP_1)
	v_and_b32_e32 v1, 0x7f000000, v0
	v_clz_i32_u32_e32 v3, v1
	v_add_nc_u32_e32 v7, 0x1000000, v1
	v_cmp_ne_u32_e32 vcc_lo, 0, v1
	s_delay_alu instid0(VALU_DEP_3) | instskip(NEXT) | instid1(VALU_DEP_1)
	v_min_u32_e32 v3, 32, v3
	v_sub_nc_u32_e64 v3, v3, 4 clamp
	s_delay_alu instid0(VALU_DEP_1) | instskip(NEXT) | instid1(VALU_DEP_1)
	v_dual_lshlrev_b32 v6, v3, v1 :: v_dual_lshlrev_b32 v3, 23, v3
	v_lshrrev_b32_e32 v6, 4, v6
	s_delay_alu instid0(VALU_DEP_1) | instskip(SKIP_1) | instid1(VALU_DEP_2)
	v_sub_nc_u32_e32 v3, v6, v3
	v_ashrrev_i32_e32 v6, 8, v7
	v_add_nc_u32_e32 v3, 0x3c000000, v3
	s_delay_alu instid0(VALU_DEP_1) | instskip(NEXT) | instid1(VALU_DEP_1)
	v_and_or_b32 v3, 0x7f800000, v6, v3
	v_cndmask_b32_e32 v1, 0, v3, vcc_lo
	s_delay_alu instid0(VALU_DEP_1)
	v_and_or_b32 v6, 0x80000000, v0, v1
.LBB19_932:
	s_mov_b32 s7, 0
.LBB19_933:
	s_delay_alu instid0(SALU_CYCLE_1)
	s_and_not1_b32 vcc_lo, exec_lo, s7
	s_cbranch_vccnz .LBB19_935
; %bb.934:
	global_load_u8 v0, v[4:5], off
	s_wait_loadcnt 0x0
	v_lshlrev_b32_e32 v1, 25, v0
	v_lshlrev_b16 v0, 8, v0
	s_delay_alu instid0(VALU_DEP_1) | instskip(SKIP_1) | instid1(VALU_DEP_2)
	v_and_or_b32 v6, 0x7f00, v0, 0.5
	v_bfe_i32 v0, v0, 0, 16
	v_dual_add_f32 v6, -0.5, v6 :: v_dual_lshrrev_b32 v3, 4, v1
	v_cmp_gt_u32_e32 vcc_lo, 0x8000000, v1
	s_delay_alu instid0(VALU_DEP_2) | instskip(NEXT) | instid1(VALU_DEP_1)
	v_or_b32_e32 v3, 0x70000000, v3
	v_mul_f32_e32 v3, 0x7800000, v3
	s_delay_alu instid0(VALU_DEP_1) | instskip(NEXT) | instid1(VALU_DEP_1)
	v_cndmask_b32_e32 v1, v3, v6, vcc_lo
	v_and_or_b32 v6, 0x80000000, v0, v1
.LBB19_935:
	s_mov_b32 s7, 0
	s_mov_b32 s8, -1
.LBB19_936:
	s_and_not1_b32 vcc_lo, exec_lo, s7
	s_mov_b32 s7, 0
	s_cbranch_vccnz .LBB19_947
; %bb.937:
	s_cmp_gt_i32 s1, 14
	s_cbranch_scc0 .LBB19_940
; %bb.938:
	s_cmp_eq_u32 s1, 15
	s_cbranch_scc0 .LBB19_943
; %bb.939:
	global_load_u16 v0, v[4:5], off
	s_mov_b32 s6, 0
	s_mov_b32 s8, -1
	s_wait_loadcnt 0x0
	v_lshlrev_b32_e32 v6, 16, v0
	s_branch .LBB19_945
.LBB19_940:
	s_mov_b32 s7, -1
	s_branch .LBB19_944
.LBB19_941:
	s_or_saveexec_b32 s8, s8
	v_mov_b32_e32 v6, 0x7f800001
	s_xor_b32 exec_lo, exec_lo, s8
	s_cbranch_execz .LBB19_922
.LBB19_942:
	v_cmp_ne_u16_e32 vcc_lo, 0, v0
	v_mov_b32_e32 v6, 0
	s_and_not1_b32 s7, s7, exec_lo
	s_and_b32 s9, vcc_lo, exec_lo
	s_delay_alu instid0(SALU_CYCLE_1)
	s_or_b32 s7, s7, s9
	s_or_b32 exec_lo, exec_lo, s8
	s_and_saveexec_b32 s8, s7
	s_cbranch_execnz .LBB19_923
	s_branch .LBB19_924
.LBB19_943:
	s_mov_b32 s6, -1
.LBB19_944:
                                        ; implicit-def: $vgpr6
.LBB19_945:
	s_and_b32 vcc_lo, exec_lo, s7
	s_mov_b32 s7, 0
	s_cbranch_vccz .LBB19_947
; %bb.946:
	s_cmp_lg_u32 s1, 11
	s_mov_b32 s7, -1
	s_cselect_b32 s1, -1, 0
	s_and_not1_b32 s6, s6, exec_lo
	s_and_b32 s1, s1, exec_lo
	s_delay_alu instid0(SALU_CYCLE_1)
	s_or_b32 s6, s6, s1
.LBB19_947:
	s_mov_b32 s1, 0
.LBB19_948:
	s_delay_alu instid0(SALU_CYCLE_1)
	s_and_b32 s23, s1, exec_lo
	s_and_not1_b32 s1, s0, exec_lo
	s_and_b32 s6, s6, exec_lo
	s_and_b32 s24, s8, exec_lo
	;; [unrolled: 1-line block ×3, first 2 shown]
	s_or_b32 s25, s1, s6
.LBB19_949:
	s_wait_xcnt 0x0
	s_or_b32 exec_lo, exec_lo, s36
	s_delay_alu instid0(SALU_CYCLE_1)
	s_and_not1_b32 s0, s0, exec_lo
	s_and_b32 s1, s25, exec_lo
	s_and_b32 s24, s24, exec_lo
	;; [unrolled: 1-line block ×4, first 2 shown]
	s_or_b32 s0, s0, s1
.LBB19_950:
	s_or_b32 exec_lo, exec_lo, s27
	s_delay_alu instid0(SALU_CYCLE_1)
	s_and_not1_b32 s1, s43, exec_lo
	s_and_b32 s6, s26, exec_lo
	s_and_b32 s0, s0, exec_lo
	s_or_b32 s43, s1, s6
	s_and_not1_b32 s1, s42, exec_lo
	s_and_b32 s24, s24, exec_lo
	s_and_b32 s23, s23, exec_lo
	;; [unrolled: 1-line block ×3, first 2 shown]
	s_or_b32 s42, s1, s0
.LBB19_951:
	s_or_b32 exec_lo, exec_lo, s44
	s_delay_alu instid0(SALU_CYCLE_1)
	s_and_not1_b32 s0, s39, exec_lo
	s_and_b32 s1, s43, exec_lo
	s_and_b32 s6, s42, exec_lo
	s_or_b32 s39, s0, s1
	s_and_not1_b32 s1, s40, exec_lo
	s_and_b32 s0, s24, exec_lo
	s_and_b32 s23, s23, exec_lo
	;; [unrolled: 1-line block ×3, first 2 shown]
	s_or_b32 s40, s1, s6
	s_or_b32 exec_lo, exec_lo, s41
	s_mov_b32 s1, 0
	s_and_saveexec_b32 s6, s40
	s_cbranch_execz .LBB19_284
.LBB19_952:
	s_mov_b32 s1, exec_lo
	s_and_not1_b32 s17, s17, exec_lo
	s_trap 2
	s_or_b32 exec_lo, exec_lo, s6
	s_and_saveexec_b32 s6, s17
	s_delay_alu instid0(SALU_CYCLE_1)
	s_xor_b32 s6, exec_lo, s6
	s_cbranch_execnz .LBB19_285
.LBB19_953:
	s_or_b32 exec_lo, exec_lo, s6
	s_and_saveexec_b32 s6, s23
	s_cbranch_execz .LBB19_999
.LBB19_954:
	s_sext_i32_i16 s7, s13
	s_delay_alu instid0(SALU_CYCLE_1)
	s_cmp_lt_i32 s7, 5
	s_cbranch_scc1 .LBB19_959
; %bb.955:
	s_cmp_lt_i32 s7, 8
	s_cbranch_scc1 .LBB19_960
; %bb.956:
	;; [unrolled: 3-line block ×3, first 2 shown]
	s_cmp_gt_i32 s7, 9
	s_cbranch_scc0 .LBB19_962
; %bb.958:
	global_load_b64 v[0:1], v[4:5], off
	s_mov_b32 s7, 0
	s_wait_loadcnt 0x0
	v_cvt_f32_f64_e32 v6, v[0:1]
	s_branch .LBB19_963
.LBB19_959:
                                        ; implicit-def: $vgpr6
	s_branch .LBB19_980
.LBB19_960:
                                        ; implicit-def: $vgpr6
	s_branch .LBB19_969
.LBB19_961:
	s_mov_b32 s7, -1
                                        ; implicit-def: $vgpr6
	s_branch .LBB19_966
.LBB19_962:
	s_mov_b32 s7, -1
                                        ; implicit-def: $vgpr6
.LBB19_963:
	s_delay_alu instid0(SALU_CYCLE_1)
	s_and_not1_b32 vcc_lo, exec_lo, s7
	s_cbranch_vccnz .LBB19_965
; %bb.964:
	s_wait_loadcnt 0x0
	global_load_b32 v6, v[4:5], off
.LBB19_965:
	s_mov_b32 s7, 0
.LBB19_966:
	s_delay_alu instid0(SALU_CYCLE_1)
	s_and_not1_b32 vcc_lo, exec_lo, s7
	s_cbranch_vccnz .LBB19_968
; %bb.967:
	global_load_b32 v0, v[4:5], off
	s_wait_loadcnt 0x0
	v_cvt_f32_f16_e32 v6, v0
.LBB19_968:
	s_cbranch_execnz .LBB19_979
.LBB19_969:
	s_sext_i32_i16 s7, s13
	s_delay_alu instid0(SALU_CYCLE_1)
	s_cmp_lt_i32 s7, 6
	s_cbranch_scc1 .LBB19_972
; %bb.970:
	s_cmp_gt_i32 s7, 6
	s_cbranch_scc0 .LBB19_973
; %bb.971:
	global_load_b64 v[0:1], v[4:5], off
	s_mov_b32 s7, 0
	s_wait_loadcnt 0x0
	v_cvt_f32_f64_e32 v6, v[0:1]
	s_branch .LBB19_974
.LBB19_972:
	s_mov_b32 s7, -1
                                        ; implicit-def: $vgpr6
	s_branch .LBB19_977
.LBB19_973:
	s_mov_b32 s7, -1
                                        ; implicit-def: $vgpr6
.LBB19_974:
	s_delay_alu instid0(SALU_CYCLE_1)
	s_and_not1_b32 vcc_lo, exec_lo, s7
	s_cbranch_vccnz .LBB19_976
; %bb.975:
	s_wait_loadcnt 0x0
	global_load_b32 v6, v[4:5], off
.LBB19_976:
	s_mov_b32 s7, 0
.LBB19_977:
	s_delay_alu instid0(SALU_CYCLE_1)
	s_and_not1_b32 vcc_lo, exec_lo, s7
	s_cbranch_vccnz .LBB19_979
; %bb.978:
	global_load_u16 v0, v[4:5], off
	s_wait_loadcnt 0x0
	v_cvt_f32_f16_e32 v6, v0
.LBB19_979:
	s_cbranch_execnz .LBB19_998
.LBB19_980:
	s_sext_i32_i16 s7, s13
	s_delay_alu instid0(SALU_CYCLE_1)
	s_cmp_lt_i32 s7, 2
	s_cbranch_scc1 .LBB19_984
; %bb.981:
	s_cmp_lt_i32 s7, 3
	s_cbranch_scc1 .LBB19_985
; %bb.982:
	s_cmp_gt_i32 s7, 3
	s_cbranch_scc0 .LBB19_986
; %bb.983:
	global_load_b64 v[0:1], v[4:5], off
	s_mov_b32 s7, 0
	s_wait_loadcnt 0x0
	v_xor_b32_e32 v3, v0, v1
	v_cls_i32_e32 v6, v1
	s_delay_alu instid0(VALU_DEP_2) | instskip(NEXT) | instid1(VALU_DEP_1)
	v_ashrrev_i32_e32 v3, 31, v3
	v_add_nc_u32_e32 v3, 32, v3
	s_delay_alu instid0(VALU_DEP_1) | instskip(NEXT) | instid1(VALU_DEP_1)
	v_add_min_u32_e64 v3, v6, -1, v3
	v_lshlrev_b64_e32 v[0:1], v3, v[0:1]
	s_delay_alu instid0(VALU_DEP_1) | instskip(NEXT) | instid1(VALU_DEP_1)
	v_min_u32_e32 v0, 1, v0
	v_dual_sub_nc_u32 v1, 32, v3 :: v_dual_bitop2_b32 v0, v1, v0 bitop3:0x54
	s_delay_alu instid0(VALU_DEP_1) | instskip(NEXT) | instid1(VALU_DEP_1)
	v_cvt_f32_i32_e32 v0, v0
	v_ldexp_f32 v6, v0, v1
	s_branch .LBB19_987
.LBB19_984:
                                        ; implicit-def: $vgpr6
	s_branch .LBB19_993
.LBB19_985:
	s_mov_b32 s7, -1
                                        ; implicit-def: $vgpr6
	s_branch .LBB19_990
.LBB19_986:
	s_mov_b32 s7, -1
                                        ; implicit-def: $vgpr6
.LBB19_987:
	s_delay_alu instid0(SALU_CYCLE_1)
	s_and_not1_b32 vcc_lo, exec_lo, s7
	s_cbranch_vccnz .LBB19_989
; %bb.988:
	global_load_b32 v0, v[4:5], off
	s_wait_loadcnt 0x0
	v_cvt_f32_i32_e32 v6, v0
.LBB19_989:
	s_mov_b32 s7, 0
.LBB19_990:
	s_delay_alu instid0(SALU_CYCLE_1)
	s_and_not1_b32 vcc_lo, exec_lo, s7
	s_cbranch_vccnz .LBB19_992
; %bb.991:
	global_load_i16 v0, v[4:5], off
	s_wait_loadcnt 0x0
	v_cvt_f32_i32_e32 v6, v0
.LBB19_992:
	s_cbranch_execnz .LBB19_998
.LBB19_993:
	s_sext_i32_i16 s7, s13
	s_delay_alu instid0(SALU_CYCLE_1)
	s_cmp_gt_i32 s7, 0
	s_mov_b32 s7, 0
	s_cbranch_scc0 .LBB19_995
; %bb.994:
	global_load_i8 v0, v[4:5], off
	s_wait_loadcnt 0x0
	v_cvt_f32_i32_e32 v6, v0
	s_branch .LBB19_996
.LBB19_995:
	s_mov_b32 s7, -1
                                        ; implicit-def: $vgpr6
.LBB19_996:
	s_delay_alu instid0(SALU_CYCLE_1)
	s_and_not1_b32 vcc_lo, exec_lo, s7
	s_cbranch_vccnz .LBB19_998
; %bb.997:
	global_load_u8 v0, v[4:5], off
	s_wait_loadcnt 0x0
	v_cvt_f32_ubyte0_e32 v6, v0
.LBB19_998:
	s_or_b32 s0, s0, exec_lo
.LBB19_999:
	s_wait_xcnt 0x0
	s_or_b32 exec_lo, exec_lo, s6
	s_mov_b32 s9, 0
	s_mov_b32 s8, 0
                                        ; implicit-def: $sgpr7
                                        ; implicit-def: $vgpr4_vgpr5
                                        ; implicit-def: $vgpr0
	s_and_saveexec_b32 s6, s0
	s_cbranch_execz .LBB19_1015
; %bb.1000:
	v_mov_b32_e32 v0, 0x7f800000
	s_mov_b32 s7, exec_lo
	s_wait_loadcnt 0x0
	s_delay_alu instid0(VALU_DEP_2)
	v_cmpx_neq_f32_e32 0, v6
	s_cbranch_execz .LBB19_1008
; %bb.1001:
	v_mov_b32_e32 v0, 0x7fc00000
	s_mov_b32 s8, exec_lo
	v_cmpx_ngt_f32_e32 0, v6
	s_cbranch_execz .LBB19_1007
; %bb.1002:
                                        ; implicit-def: $vgpr0
	s_mov_b32 s0, exec_lo
	v_cmpx_ge_f32_e32 2.0, v6
	s_xor_b32 s9, exec_lo, s0
	s_cbranch_execz .LBB19_1004
; %bb.1003:
	v_mov_b32_e32 v7, 0.5
	s_mov_b32 s0, 0xa2a2e5b9
	v_mov_b64_e32 v[8:9], 0x3ad6e3ac293fd856
	v_mov_b64_e32 v[12:13], 0xbb8db2f12d3612e2
	;; [unrolled: 1-line block ×3, first 2 shown]
	v_pk_fma_f32 v[0:1], v[6:7], v[6:7], -2.0 op_sel_hi:[0,1,0]
	s_delay_alu instid0(VALU_DEP_1) | instskip(NEXT) | instid1(VALU_DEP_2)
	v_fmaak_f32 v3, s0, v1, 0x24199b15
	v_mul_f32_e32 v10, 0x251e770f, v0
	s_mov_b32 s0, 0xa51e770f
	s_delay_alu instid0(VALU_DEP_2) | instskip(SKIP_1) | instid1(VALU_DEP_2)
	v_fmaak_f32 v4, v1, v3, 0x22a2e5b9
	v_pk_mul_f32 v[14:15], v[6:7], v[6:7] op_sel_hi:[0,1]
	v_add_f32_e32 v4, 0xa58c275c, v4
	s_delay_alu instid0(VALU_DEP_2) | instskip(NEXT) | instid1(VALU_DEP_2)
	v_cmp_gt_f32_e32 vcc_lo, 0x800000, v15
	v_fma_f32 v3, v1, v4, -v3
	s_delay_alu instid0(VALU_DEP_1) | instskip(NEXT) | instid1(VALU_DEP_1)
	v_add_f32_e32 v3, 0x26f736c5, v3
	v_fma_f32 v4, v1, v3, -v4
	s_delay_alu instid0(VALU_DEP_1) | instskip(NEXT) | instid1(VALU_DEP_1)
	v_add_f32_e32 v4, 0xa8528116, v4
	;; [unrolled: 3-line block ×17, first 2 shown]
	v_fma_f32 v4, v1, v3, -v4
	s_delay_alu instid0(VALU_DEP_1) | instskip(SKIP_1) | instid1(VALU_DEP_2)
	v_add_f32_e32 v5, 0xba1717e9, v4
	v_mov_b32_e32 v4, 0xa51e770f
	v_fma_f32 v11, v1, v5, -v3
	v_mul_f32_e32 v3, 0x3fb8aa3b, v6
	s_delay_alu instid0(VALU_DEP_2) | instskip(SKIP_2) | instid1(VALU_DEP_3)
	v_pk_add_f32 v[8:9], v[10:11], v[8:9]
	v_mov_b64_e32 v[10:11], s[0:1]
	v_cmp_ngt_f32_e64 s0, 0xc2ce8ed0, v6
	v_pk_fma_f32 v[4:5], v[0:1], v[8:9], v[4:5] neg_lo:[0,0,1] neg_hi:[0,0,1]
	s_delay_alu instid0(VALU_DEP_3) | instskip(NEXT) | instid1(VALU_DEP_2)
	v_pk_fma_f32 v[10:11], v[0:1], v[8:9], v[10:11]
	v_mov_b32_e32 v11, v5
	s_delay_alu instid0(VALU_DEP_1) | instskip(SKIP_2) | instid1(VALU_DEP_3)
	v_pk_add_f32 v[4:5], v[10:11], v[12:13]
	v_mov_b64_e32 v[10:11], 0x3c2ccb103102e09b
	v_mov_b64_e32 v[12:13], 0xc000000037bfc808
	v_pk_fma_f32 v[8:9], v[0:1], v[4:5], v[8:9] neg_lo:[0,0,1] neg_hi:[0,0,1]
	s_delay_alu instid0(VALU_DEP_1) | instskip(SKIP_1) | instid1(VALU_DEP_2)
	v_pk_add_f32 v[8:9], v[8:9], v[10:11]
	v_mov_b64_e32 v[10:11], 0xbcc274f8348815e7
	v_pk_fma_f32 v[4:5], v[0:1], v[8:9], v[4:5] neg_lo:[0,0,1] neg_hi:[0,0,1]
	s_delay_alu instid0(VALU_DEP_1) | instskip(SKIP_1) | instid1(VALU_DEP_2)
	v_pk_add_f32 v[4:5], v[4:5], v[10:11]
	v_mov_b64_e32 v[10:11], 0x3d49f45637bfc808
	v_pk_fma_f32 v[8:9], v[0:1], v[4:5], v[8:9] neg_lo:[0,0,1] neg_hi:[0,0,1]
	s_delay_alu instid0(VALU_DEP_1) | instskip(NEXT) | instid1(VALU_DEP_2)
	v_mov_b32_e32 v14, v8
	v_pk_add_f32 v[8:9], v[8:9], v[10:11]
	v_mov_b32_e32 v10, v0
	s_delay_alu instid0(VALU_DEP_3) | instskip(NEXT) | instid1(VALU_DEP_3)
	v_pk_add_f32 v[12:13], v[14:15], v[12:13]
	v_mov_b32_e32 v11, v9
	v_cndmask_b32_e64 v14, 0, 32, vcc_lo
	s_delay_alu instid0(VALU_DEP_2) | instskip(SKIP_3) | instid1(VALU_DEP_4)
	v_pk_fma_f32 v[4:5], v[12:13], v[10:11], v[4:5] neg_lo:[0,0,1] neg_hi:[0,0,1]
	v_mov_b64_e32 v[10:11], 0x3e2fbd643d135fb3
	v_rndne_f32_e32 v12, v3
	v_fma_f32 v13, 0x3fb8aa3b, v6, -v3
	v_pk_add_f32 v[4:5], v[4:5], v[16:17]
	s_delay_alu instid0(VALU_DEP_3) | instskip(NEXT) | instid1(VALU_DEP_3)
	v_sub_f32_e32 v3, v3, v12
	v_fmamk_f32 v13, v6, 0x32a5705f, v13
	s_delay_alu instid0(VALU_DEP_3) | instskip(NEXT) | instid1(VALU_DEP_2)
	v_pk_fma_f32 v[8:9], v[0:1], v[4:5], v[8:9] neg_lo:[0,0,1] neg_hi:[0,0,1]
	v_add_f32_e32 v3, v3, v13
	s_delay_alu instid0(VALU_DEP_2) | instskip(SKIP_1) | instid1(VALU_DEP_3)
	v_pk_add_f32 v[8:9], v[8:9], v[10:11]
	v_ldexp_f32 v10, v15, v14
	v_exp_f32_e32 v3, v3
	s_delay_alu instid0(VALU_DEP_2) | instskip(NEXT) | instid1(VALU_DEP_2)
	v_pk_fma_f32 v[4:5], v[0:1], v[8:9], v[4:5] neg_lo:[0,0,1] neg_hi:[0,0,1]
	v_log_f32_e32 v14, v10
	v_nop
	v_cvt_i32_f32_e32 v10, v12
	s_delay_alu instid0(VALU_DEP_3) | instskip(SKIP_1) | instid1(VALU_DEP_3)
	v_add_f32_e32 v5, 0xbe9bff5e, v5
	v_add_f32_e32 v4, 0x3eb046c4, v4
	v_ldexp_f32 v3, v3, v10
	s_delay_alu instid0(TRANS32_DEP_1) | instskip(NEXT) | instid1(VALU_DEP_3)
	v_dual_mul_f32 v11, 0x3f317217, v14 :: v_dual_mov_b32 v10, v8
	v_dual_fma_f32 v1, v1, v5, -v9 :: v_dual_mul_f32 v0, v0, v4
	s_delay_alu instid0(VALU_DEP_3) | instskip(NEXT) | instid1(VALU_DEP_3)
	v_cndmask_b32_e64 v3, 0, v3, s0
	v_fma_f32 v5, 0x3f317217, v14, -v11
	v_cmp_nlt_f32_e64 s0, 0x42b17218, v6
	s_delay_alu instid0(VALU_DEP_4) | instskip(SKIP_1) | instid1(VALU_DEP_4)
	v_add_f32_e32 v1, 0x3f2d4275, v1
	v_mov_b32_e32 v4, 0xbf090b37
	v_fmamk_f32 v5, v14, 0x3377d1cf, v5
	s_delay_alu instid0(VALU_DEP_4) | instskip(NEXT) | instid1(VALU_DEP_4)
	v_cndmask_b32_e64 v11, 0x7f800000, v3, s0
	v_pk_add_f32 v[0:1], v[0:1], v[8:9] neg_lo:[0,1] neg_hi:[0,1]
	v_cndmask_b32_e64 v3, 0, 0x41b17218, vcc_lo
	v_cmp_gt_f32_e64 vcc_lo, 0x7f800000, |v14|
	v_fmac_f32_e32 v5, 0x3f317217, v14
	s_delay_alu instid0(VALU_DEP_4) | instskip(NEXT) | instid1(VALU_DEP_2)
	v_pk_mul_f32 v[12:13], v[0:1], v[6:7]
	v_pk_add_f32 v[0:1], v[0:1], v[4:5]
	v_cndmask_b32_e32 v6, v14, v5, vcc_lo
	s_delay_alu instid0(VALU_DEP_3) | instskip(SKIP_1) | instid1(VALU_DEP_4)
	v_pk_mul_f32 v[4:5], v[12:13], v[10:11]
	v_mov_b32_e32 v12, v7
	v_pk_add_f32 v[0:1], v[0:1], v[8:9] neg_lo:[0,1] neg_hi:[0,1]
	s_delay_alu instid0(VALU_DEP_3) | instskip(NEXT) | instid1(VALU_DEP_1)
	v_dual_sub_f32 v13, v6, v3 :: v_dual_mov_b32 v1, v5
                                        ; implicit-def: $vgpr6
	v_pk_mul_f32 v[0:1], v[12:13], v[0:1]
	s_delay_alu instid0(VALU_DEP_1) | instskip(NEXT) | instid1(VALU_DEP_1)
	v_sub_f32_e32 v0, v0, v1
	v_mul_f32_e32 v0, v11, v0
.LBB19_1004:
	s_and_not1_saveexec_b32 s9, s9
	s_cbranch_execz .LBB19_1006
; %bb.1005:
	v_div_scale_f32 v0, null, v6, v6, 0x41000000
	v_div_scale_f32 v4, vcc_lo, 0x41000000, v6, 0x41000000
	s_mov_b32 s0, 0x22c38d2e
	v_rcp_f32_e32 v1, v0
	v_nop
	s_delay_alu instid0(TRANS32_DEP_1) | instskip(NEXT) | instid1(VALU_DEP_1)
	v_fma_f32 v3, -v0, v1, 1.0
	v_fmac_f32_e32 v1, v3, v1
	s_delay_alu instid0(VALU_DEP_1) | instskip(NEXT) | instid1(VALU_DEP_1)
	v_mul_f32_e32 v3, v4, v1
	v_fma_f32 v5, -v0, v3, v4
	s_delay_alu instid0(VALU_DEP_1) | instskip(NEXT) | instid1(VALU_DEP_1)
	v_fmac_f32_e32 v3, v5, v1
	v_fma_f32 v0, -v0, v3, v4
	v_mul_f32_e32 v4, 0x4f800000, v6
	s_delay_alu instid0(VALU_DEP_2) | instskip(SKIP_1) | instid1(VALU_DEP_2)
	v_div_fmas_f32 v0, v0, v1, v3
	v_cmp_gt_f32_e32 vcc_lo, 0xf800000, v6
	v_div_fixup_f32 v0, v0, v6, 0x41000000
	s_delay_alu instid0(VALU_DEP_4) | instskip(NEXT) | instid1(VALU_DEP_2)
	v_cndmask_b32_e32 v4, v6, v4, vcc_lo
	v_add_f32_e32 v0, -2.0, v0
	s_delay_alu instid0(VALU_DEP_2) | instskip(SKIP_1) | instid1(TRANS32_DEP_1)
	v_sqrt_f32_e32 v5, v4
	v_nop
	v_dual_fmaak_f32 v1, s0, v0, 0xa397f665 :: v_dual_add_nc_u32 v6, -1, v5
	v_add_nc_u32_e32 v7, 1, v5
	s_delay_alu instid0(VALU_DEP_2) | instskip(NEXT) | instid1(VALU_DEP_2)
	v_fmaak_f32 v3, v0, v1, 0xa2c38d2e
	v_dual_fma_f32 v8, -v6, v5, v4 :: v_dual_fma_f32 v9, -v7, v5, v4
	s_delay_alu instid0(VALU_DEP_2) | instskip(NEXT) | instid1(VALU_DEP_2)
	v_add_f32_e32 v3, 0x24704972, v3
	v_cmp_ge_f32_e64 s0, 0, v8
	s_delay_alu instid0(VALU_DEP_1) | instskip(NEXT) | instid1(VALU_DEP_4)
	v_dual_fma_f32 v1, v0, v3, -v1 :: v_dual_cndmask_b32 v5, v5, v6, s0
	v_cmp_lt_f32_e64 s0, 0, v9
	s_delay_alu instid0(VALU_DEP_2) | instskip(NEXT) | instid1(VALU_DEP_1)
	v_add_f32_e32 v1, 0xa5417ca4, v1
	v_dual_cndmask_b32 v5, v5, v7, s0 :: v_dual_fma_f32 v3, v0, v1, -v3
	s_delay_alu instid0(VALU_DEP_1) | instskip(NEXT) | instid1(VALU_DEP_1)
	v_add_f32_e32 v3, 0x261edfcb, v3
	v_fma_f32 v1, v0, v3, -v1
	s_delay_alu instid0(VALU_DEP_1) | instskip(NEXT) | instid1(VALU_DEP_1)
	v_add_f32_e32 v1, 0xa7053487, v1
	v_fma_f32 v3, v0, v1, -v3
	s_delay_alu instid0(VALU_DEP_1) | instskip(NEXT) | instid1(VALU_DEP_1)
	v_add_f32_e32 v3, 0x27e46ce2, v3
	v_fma_f32 v1, v0, v3, -v1
	s_delay_alu instid0(VALU_DEP_1) | instskip(NEXT) | instid1(VALU_DEP_1)
	v_add_f32_e32 v1, 0xa8c8a2f6, v1
	v_fma_f32 v3, v0, v1, -v3
	s_delay_alu instid0(VALU_DEP_1) | instskip(NEXT) | instid1(VALU_DEP_1)
	v_add_f32_e32 v3, 0x29b4e276, v3
	v_fma_f32 v1, v0, v3, -v1
	s_delay_alu instid0(VALU_DEP_1) | instskip(NEXT) | instid1(VALU_DEP_1)
	v_add_f32_e32 v1, 0xaaa7c3b9, v1
	v_fma_f32 v3, v0, v1, -v3
	s_delay_alu instid0(VALU_DEP_1) | instskip(NEXT) | instid1(VALU_DEP_1)
	v_add_f32_e32 v3, 0x2ba07d19, v3
	v_fma_f32 v1, v0, v3, -v1
	s_delay_alu instid0(VALU_DEP_1) | instskip(NEXT) | instid1(VALU_DEP_1)
	v_add_f32_e32 v1, 0xac9ed7e2, v1
	v_fma_f32 v3, v0, v1, -v3
	s_delay_alu instid0(VALU_DEP_1) | instskip(NEXT) | instid1(VALU_DEP_1)
	v_add_f32_e32 v3, 0x2da34042, v3
	v_fma_f32 v1, v0, v3, -v1
	s_delay_alu instid0(VALU_DEP_1) | instskip(NEXT) | instid1(VALU_DEP_1)
	v_add_f32_e32 v1, 0xaeaefcaf, v1
	v_fma_f32 v3, v0, v1, -v3
	s_delay_alu instid0(VALU_DEP_1) | instskip(NEXT) | instid1(VALU_DEP_1)
	v_add_f32_e32 v3, 0x2fc4ab64, v3
	v_fma_f32 v1, v0, v3, -v1
	s_delay_alu instid0(VALU_DEP_1) | instskip(NEXT) | instid1(VALU_DEP_1)
	v_add_f32_e32 v1, 0xb0e94eb0, v1
	v_fma_f32 v3, v0, v1, -v3
	s_delay_alu instid0(VALU_DEP_1) | instskip(NEXT) | instid1(VALU_DEP_1)
	v_add_f32_e32 v3, 0x32134d00, v3
	v_fma_f32 v1, v0, v3, -v1
	s_delay_alu instid0(VALU_DEP_1) | instskip(NEXT) | instid1(VALU_DEP_1)
	v_add_f32_e32 v1, 0xb3482aa1, v1
	v_fma_f32 v3, v0, v1, -v3
	s_delay_alu instid0(VALU_DEP_1) | instskip(NEXT) | instid1(VALU_DEP_1)
	v_add_f32_e32 v3, 0x34948acc, v3
	v_fma_f32 v1, v0, v3, -v1
	s_delay_alu instid0(VALU_DEP_1) | instskip(NEXT) | instid1(VALU_DEP_1)
	v_add_f32_e32 v1, 0xb5f5daa4, v1
	v_fma_f32 v3, v0, v1, -v3
	s_delay_alu instid0(VALU_DEP_1) | instskip(NEXT) | instid1(VALU_DEP_1)
	v_add_f32_e32 v3, 0x376a09fe, v3
	v_fma_f32 v1, v0, v3, -v1
	s_delay_alu instid0(VALU_DEP_1) | instskip(NEXT) | instid1(VALU_DEP_1)
	v_add_f32_e32 v1, 0xb906bcbf, v1
	v_fma_f32 v3, v0, v1, -v3
	s_delay_alu instid0(VALU_DEP_1) | instskip(NEXT) | instid1(VALU_DEP_1)
	v_add_f32_e32 v3, 0x3acdc490, v3
	v_fma_f32 v1, v0, v3, -v1
	s_delay_alu instid0(VALU_DEP_1) | instskip(NEXT) | instid1(VALU_DEP_1)
	v_add_f32_e32 v1, 0xbd00cfb9, v1
	v_fma_f32 v0, v0, v1, -v3
	v_mul_f32_e32 v1, 0x37800000, v5
	s_delay_alu instid0(VALU_DEP_1) | instskip(SKIP_1) | instid1(VALU_DEP_2)
	v_dual_add_f32 v0, 0x401c2ded, v0 :: v_dual_cndmask_b32 v1, v5, v1
	v_cmp_class_f32_e64 vcc_lo, v4, 0x260
	v_dual_sub_f32 v0, v0, v3 :: v_dual_cndmask_b32 v1, v1, v4
	s_delay_alu instid0(VALU_DEP_1) | instskip(NEXT) | instid1(VALU_DEP_1)
	v_mul_f32_e32 v0, 0.5, v0
	v_div_scale_f32 v3, null, v1, v1, v0
	s_delay_alu instid0(VALU_DEP_1) | instskip(SKIP_1) | instid1(TRANS32_DEP_1)
	v_rcp_f32_e32 v4, v3
	v_nop
	v_fma_f32 v5, -v3, v4, 1.0
	s_delay_alu instid0(VALU_DEP_1) | instskip(SKIP_1) | instid1(VALU_DEP_1)
	v_fmac_f32_e32 v4, v5, v4
	v_div_scale_f32 v5, vcc_lo, v0, v1, v0
	v_mul_f32_e32 v6, v5, v4
	s_delay_alu instid0(VALU_DEP_1) | instskip(NEXT) | instid1(VALU_DEP_1)
	v_fma_f32 v7, -v3, v6, v5
	v_fmac_f32_e32 v6, v7, v4
	s_delay_alu instid0(VALU_DEP_1) | instskip(NEXT) | instid1(VALU_DEP_1)
	v_fma_f32 v3, -v3, v6, v5
	v_div_fmas_f32 v3, v3, v4, v6
	s_delay_alu instid0(VALU_DEP_1)
	v_div_fixup_f32 v0, v3, v1, v0
.LBB19_1006:
	s_or_b32 exec_lo, exec_lo, s9
.LBB19_1007:
	s_delay_alu instid0(SALU_CYCLE_1)
	s_or_b32 exec_lo, exec_lo, s8
.LBB19_1008:
	s_delay_alu instid0(SALU_CYCLE_1) | instskip(SKIP_2) | instid1(SALU_CYCLE_1)
	s_or_b32 exec_lo, exec_lo, s7
	v_mov_b32_e32 v3, 0
	s_and_b32 s7, s34, 0xff
	s_cmp_lt_i32 s7, 11
	s_delay_alu instid0(VALU_DEP_1)
	v_add_nc_u64_e32 v[4:5], s[4:5], v[2:3]
	s_cbranch_scc1 .LBB19_1018
; %bb.1009:
	s_and_b32 s4, 0xffff, s7
	s_mov_b32 s5, -1
	s_cmp_gt_i32 s4, 25
	s_mov_b32 s0, s39
	s_cbranch_scc0 .LBB19_1046
; %bb.1010:
	s_cmp_gt_i32 s4, 28
	s_mov_b32 s0, s39
	s_cbranch_scc0 .LBB19_1030
; %bb.1011:
	s_cmp_gt_i32 s4, 43
	s_mov_b32 s0, s39
	s_cbranch_scc0 .LBB19_1026
; %bb.1012:
	s_cmp_gt_i32 s4, 45
	s_mov_b32 s0, s39
	s_cbranch_scc0 .LBB19_1020
; %bb.1013:
	s_cmp_eq_u32 s4, 46
	s_mov_b32 s0, -1
	s_cbranch_scc0 .LBB19_1019
; %bb.1014:
	v_bfe_u32 v1, v0, 16, 1
	v_cmp_o_f32_e32 vcc_lo, v0, v0
	s_mov_b32 s0, 0
	s_mov_b32 s5, 0
	s_delay_alu instid0(VALU_DEP_2) | instskip(NEXT) | instid1(VALU_DEP_1)
	v_add3_u32 v1, v0, v1, 0x7fff
	v_lshrrev_b32_e32 v1, 16, v1
	s_delay_alu instid0(VALU_DEP_1)
	v_cndmask_b32_e32 v1, 0x7fc0, v1, vcc_lo
	global_store_b32 v[4:5], v1, off
	s_branch .LBB19_1020
.LBB19_1015:
	s_or_b32 exec_lo, exec_lo, s6
	s_and_saveexec_b32 s0, s39
	s_cbranch_execnz .LBB19_1088
.LBB19_1016:
	s_or_b32 exec_lo, exec_lo, s0
	s_and_saveexec_b32 s0, s9
	s_delay_alu instid0(SALU_CYCLE_1)
	s_xor_b32 s0, exec_lo, s0
	s_cbranch_execz .LBB19_1089
.LBB19_1017:
	v_cmp_neq_f32_e32 vcc_lo, 0, v0
	v_cndmask_b32_e64 v1, 0, 1, vcc_lo
	global_store_b8 v[4:5], v1, off
	s_wait_xcnt 0x0
	s_or_b32 exec_lo, exec_lo, s0
	s_and_saveexec_b32 s0, s8
	s_delay_alu instid0(SALU_CYCLE_1)
	s_xor_b32 s0, exec_lo, s0
	s_cbranch_execz .LBB19_1127
	s_branch .LBB19_1090
.LBB19_1018:
	s_mov_b32 s9, 0
	s_mov_b32 s5, -1
	s_mov_b32 s0, s39
	s_branch .LBB19_1087
.LBB19_1019:
	s_mov_b32 s5, 0
.LBB19_1020:
	s_delay_alu instid0(SALU_CYCLE_1)
	s_and_b32 vcc_lo, exec_lo, s5
	s_cbranch_vccz .LBB19_1025
; %bb.1021:
	s_cmp_eq_u32 s4, 44
	s_mov_b32 s0, -1
	s_cbranch_scc0 .LBB19_1025
; %bb.1022:
	v_bfe_u32 v2, v0, 23, 8
	s_wait_xcnt 0x0
	v_mov_b32_e32 v1, 0xff
	s_mov_b32 s5, exec_lo
	s_delay_alu instid0(VALU_DEP_2)
	v_cmpx_ne_u32_e32 0xff, v2
	s_cbranch_execz .LBB19_1024
; %bb.1023:
	v_and_b32_e32 v1, 0x400000, v0
	v_and_or_b32 v2, 0x3fffff, v0, v2
	s_delay_alu instid0(VALU_DEP_2) | instskip(NEXT) | instid1(VALU_DEP_2)
	v_cmp_ne_u32_e32 vcc_lo, 0, v1
	v_cmp_ne_u32_e64 s0, 0, v2
	v_lshrrev_b32_e32 v1, 23, v0
	s_and_b32 s0, vcc_lo, s0
	s_delay_alu instid0(SALU_CYCLE_1) | instskip(NEXT) | instid1(VALU_DEP_1)
	v_cndmask_b32_e64 v2, 0, 1, s0
	v_add_nc_u32_e32 v1, v1, v2
.LBB19_1024:
	s_or_b32 exec_lo, exec_lo, s5
	s_mov_b32 s0, 0
	global_store_b8 v[4:5], v1, off
.LBB19_1025:
	s_mov_b32 s5, 0
.LBB19_1026:
	s_delay_alu instid0(SALU_CYCLE_1)
	s_and_b32 vcc_lo, exec_lo, s5
	s_cbranch_vccz .LBB19_1029
; %bb.1027:
	s_cmp_eq_u32 s4, 29
	s_mov_b32 s0, -1
	s_cbranch_scc0 .LBB19_1029
; %bb.1028:
	s_wait_xcnt 0x0
	v_trunc_f32_e32 v1, v0
	s_mov_b32 s0, 0
	s_mov_b32 s5, 0
	s_delay_alu instid0(VALU_DEP_1) | instskip(NEXT) | instid1(VALU_DEP_1)
	v_mul_f32_e32 v2, 0x2f800000, v1
	v_floor_f32_e32 v2, v2
	s_delay_alu instid0(VALU_DEP_1) | instskip(SKIP_1) | instid1(VALU_DEP_2)
	v_fmamk_f32 v1, v2, 0xcf800000, v1
	v_cvt_u32_f32_e32 v3, v2
	v_cvt_u32_f32_e32 v2, v1
	global_store_b64 v[4:5], v[2:3], off
	s_branch .LBB19_1030
.LBB19_1029:
	s_mov_b32 s5, 0
.LBB19_1030:
	s_delay_alu instid0(SALU_CYCLE_1)
	s_and_b32 vcc_lo, exec_lo, s5
	s_cbranch_vccz .LBB19_1045
; %bb.1031:
	s_cmp_lt_i32 s4, 27
	s_mov_b32 s5, -1
	s_cbranch_scc1 .LBB19_1037
; %bb.1032:
	s_cmp_gt_i32 s4, 27
	s_cbranch_scc0 .LBB19_1034
; %bb.1033:
	s_wait_xcnt 0x0
	v_cvt_u32_f32_e32 v1, v0
	s_mov_b32 s5, 0
	global_store_b32 v[4:5], v1, off
.LBB19_1034:
	s_and_not1_b32 vcc_lo, exec_lo, s5
	s_cbranch_vccnz .LBB19_1036
; %bb.1035:
	s_wait_xcnt 0x0
	v_cvt_u32_f32_e32 v1, v0
	global_store_b16 v[4:5], v1, off
.LBB19_1036:
	s_mov_b32 s5, 0
.LBB19_1037:
	s_delay_alu instid0(SALU_CYCLE_1)
	s_and_not1_b32 vcc_lo, exec_lo, s5
	s_cbranch_vccnz .LBB19_1045
; %bb.1038:
	s_wait_xcnt 0x0
	v_and_b32_e32 v1, 0x7fffffff, v0
	v_mov_b32_e32 v2, 0x80
	s_mov_b32 s5, exec_lo
	s_delay_alu instid0(VALU_DEP_2)
	v_cmpx_gt_u32_e32 0x43800000, v1
	s_cbranch_execz .LBB19_1044
; %bb.1039:
	v_cmp_lt_u32_e32 vcc_lo, 0x3bffffff, v1
	s_mov_b32 s8, 0
                                        ; implicit-def: $vgpr1
	s_and_saveexec_b32 s9, vcc_lo
	s_delay_alu instid0(SALU_CYCLE_1)
	s_xor_b32 s9, exec_lo, s9
	s_cbranch_execz .LBB19_1202
; %bb.1040:
	v_bfe_u32 v1, v0, 20, 1
	s_mov_b32 s8, exec_lo
	s_delay_alu instid0(VALU_DEP_1) | instskip(NEXT) | instid1(VALU_DEP_1)
	v_add3_u32 v1, v0, v1, 0x487ffff
	v_lshrrev_b32_e32 v1, 20, v1
	s_and_not1_saveexec_b32 s9, s9
	s_cbranch_execnz .LBB19_1203
.LBB19_1041:
	s_or_b32 exec_lo, exec_lo, s9
	v_mov_b32_e32 v2, 0
	s_and_saveexec_b32 s9, s8
.LBB19_1042:
	v_lshrrev_b32_e32 v2, 24, v0
	s_delay_alu instid0(VALU_DEP_1)
	v_and_or_b32 v2, 0x80, v2, v1
.LBB19_1043:
	s_or_b32 exec_lo, exec_lo, s9
.LBB19_1044:
	s_delay_alu instid0(SALU_CYCLE_1)
	s_or_b32 exec_lo, exec_lo, s5
	global_store_b8 v[4:5], v2, off
.LBB19_1045:
	s_mov_b32 s5, 0
.LBB19_1046:
	s_delay_alu instid0(SALU_CYCLE_1)
	s_and_b32 vcc_lo, exec_lo, s5
	s_mov_b32 s5, 0
	s_cbranch_vccz .LBB19_1086
; %bb.1047:
	s_cmp_gt_i32 s4, 22
	s_mov_b32 s8, -1
	s_cbranch_scc0 .LBB19_1079
; %bb.1048:
	s_cmp_lt_i32 s4, 24
	s_cbranch_scc1 .LBB19_1068
; %bb.1049:
	s_cmp_gt_i32 s4, 24
	s_cbranch_scc0 .LBB19_1057
; %bb.1050:
	s_wait_xcnt 0x0
	v_and_b32_e32 v1, 0x7fffffff, v0
	v_mov_b32_e32 v2, 0x80
	s_mov_b32 s8, exec_lo
	s_delay_alu instid0(VALU_DEP_2)
	v_cmpx_gt_u32_e32 0x47800000, v1
	s_cbranch_execz .LBB19_1056
; %bb.1051:
	v_cmp_lt_u32_e32 vcc_lo, 0x37ffffff, v1
	s_mov_b32 s9, 0
                                        ; implicit-def: $vgpr1
	s_and_saveexec_b32 s10, vcc_lo
	s_delay_alu instid0(SALU_CYCLE_1)
	s_xor_b32 s10, exec_lo, s10
	s_cbranch_execz .LBB19_1336
; %bb.1052:
	v_bfe_u32 v1, v0, 21, 1
	s_mov_b32 s9, exec_lo
	s_delay_alu instid0(VALU_DEP_1) | instskip(NEXT) | instid1(VALU_DEP_1)
	v_add3_u32 v1, v0, v1, 0x88fffff
	v_lshrrev_b32_e32 v1, 21, v1
	s_and_not1_saveexec_b32 s10, s10
	s_cbranch_execnz .LBB19_1337
.LBB19_1053:
	s_or_b32 exec_lo, exec_lo, s10
	v_mov_b32_e32 v2, 0
	s_and_saveexec_b32 s10, s9
.LBB19_1054:
	v_lshrrev_b32_e32 v2, 24, v0
	s_delay_alu instid0(VALU_DEP_1)
	v_and_or_b32 v2, 0x80, v2, v1
.LBB19_1055:
	s_or_b32 exec_lo, exec_lo, s10
.LBB19_1056:
	s_delay_alu instid0(SALU_CYCLE_1)
	s_or_b32 exec_lo, exec_lo, s8
	s_mov_b32 s8, 0
	global_store_b8 v[4:5], v2, off
.LBB19_1057:
	s_and_b32 vcc_lo, exec_lo, s8
	s_cbranch_vccz .LBB19_1067
; %bb.1058:
	s_wait_xcnt 0x0
	v_and_b32_e32 v2, 0x7fffffff, v0
	s_mov_b32 s8, exec_lo
                                        ; implicit-def: $vgpr1
	s_delay_alu instid0(VALU_DEP_1)
	v_cmpx_gt_u32_e32 0x43f00000, v2
	s_xor_b32 s8, exec_lo, s8
	s_cbranch_execz .LBB19_1064
; %bb.1059:
	s_mov_b32 s9, exec_lo
                                        ; implicit-def: $vgpr1
	v_cmpx_lt_u32_e32 0x3c7fffff, v2
	s_xor_b32 s9, exec_lo, s9
; %bb.1060:
	v_bfe_u32 v1, v0, 20, 1
	s_delay_alu instid0(VALU_DEP_1) | instskip(NEXT) | instid1(VALU_DEP_1)
	v_add3_u32 v1, v0, v1, 0x407ffff
	v_and_b32_e32 v2, 0xff00000, v1
	v_lshrrev_b32_e32 v1, 20, v1
	s_delay_alu instid0(VALU_DEP_2) | instskip(NEXT) | instid1(VALU_DEP_2)
	v_cmp_ne_u32_e32 vcc_lo, 0x7f00000, v2
	v_cndmask_b32_e32 v1, 0x7e, v1, vcc_lo
; %bb.1061:
	s_and_not1_saveexec_b32 s9, s9
; %bb.1062:
	v_add_f32_e64 v1, 0x46800000, |v0|
; %bb.1063:
	s_or_b32 exec_lo, exec_lo, s9
                                        ; implicit-def: $vgpr2
.LBB19_1064:
	s_and_not1_saveexec_b32 s8, s8
; %bb.1065:
	v_mov_b32_e32 v1, 0x7f
	v_cmp_lt_u32_e32 vcc_lo, 0x7f800000, v2
	s_delay_alu instid0(VALU_DEP_2)
	v_cndmask_b32_e32 v1, 0x7e, v1, vcc_lo
; %bb.1066:
	s_or_b32 exec_lo, exec_lo, s8
	v_lshrrev_b32_e32 v2, 24, v0
	s_delay_alu instid0(VALU_DEP_1)
	v_and_or_b32 v1, 0x80, v2, v1
	global_store_b8 v[4:5], v1, off
.LBB19_1067:
	s_mov_b32 s8, 0
.LBB19_1068:
	s_delay_alu instid0(SALU_CYCLE_1)
	s_and_not1_b32 vcc_lo, exec_lo, s8
	s_cbranch_vccnz .LBB19_1078
; %bb.1069:
	s_wait_xcnt 0x0
	v_and_b32_e32 v2, 0x7fffffff, v0
	s_mov_b32 s8, exec_lo
                                        ; implicit-def: $vgpr1
	s_delay_alu instid0(VALU_DEP_1)
	v_cmpx_gt_u32_e32 0x47800000, v2
	s_xor_b32 s8, exec_lo, s8
	s_cbranch_execz .LBB19_1075
; %bb.1070:
	s_mov_b32 s9, exec_lo
                                        ; implicit-def: $vgpr1
	v_cmpx_lt_u32_e32 0x387fffff, v2
	s_xor_b32 s9, exec_lo, s9
; %bb.1071:
	v_bfe_u32 v1, v0, 21, 1
	s_delay_alu instid0(VALU_DEP_1) | instskip(NEXT) | instid1(VALU_DEP_1)
	v_add3_u32 v1, v0, v1, 0x80fffff
	v_lshrrev_b32_e32 v1, 21, v1
; %bb.1072:
	s_and_not1_saveexec_b32 s9, s9
; %bb.1073:
	v_add_f32_e64 v1, 0x43000000, |v0|
; %bb.1074:
	s_or_b32 exec_lo, exec_lo, s9
                                        ; implicit-def: $vgpr2
.LBB19_1075:
	s_and_not1_saveexec_b32 s8, s8
; %bb.1076:
	v_mov_b32_e32 v1, 0x7f
	v_cmp_lt_u32_e32 vcc_lo, 0x7f800000, v2
	s_delay_alu instid0(VALU_DEP_2)
	v_cndmask_b32_e32 v1, 0x7c, v1, vcc_lo
; %bb.1077:
	s_or_b32 exec_lo, exec_lo, s8
	v_lshrrev_b32_e32 v2, 24, v0
	s_delay_alu instid0(VALU_DEP_1)
	v_and_or_b32 v1, 0x80, v2, v1
	global_store_b8 v[4:5], v1, off
.LBB19_1078:
	s_mov_b32 s8, 0
.LBB19_1079:
	s_delay_alu instid0(SALU_CYCLE_1)
	s_and_not1_b32 vcc_lo, exec_lo, s8
	s_mov_b32 s9, 0
	s_cbranch_vccnz .LBB19_1087
; %bb.1080:
	s_cmp_gt_i32 s4, 14
	s_mov_b32 s8, -1
	s_cbranch_scc0 .LBB19_1084
; %bb.1081:
	s_cmp_eq_u32 s4, 15
	s_mov_b32 s0, -1
	s_cbranch_scc0 .LBB19_1083
; %bb.1082:
	s_wait_xcnt 0x0
	v_bfe_u32 v1, v0, 16, 1
	v_cmp_o_f32_e32 vcc_lo, v0, v0
	s_mov_b32 s0, 0
	s_delay_alu instid0(VALU_DEP_2) | instskip(NEXT) | instid1(VALU_DEP_1)
	v_add3_u32 v1, v0, v1, 0x7fff
	v_lshrrev_b32_e32 v1, 16, v1
	s_delay_alu instid0(VALU_DEP_1)
	v_cndmask_b32_e32 v1, 0x7fc0, v1, vcc_lo
	global_store_b16 v[4:5], v1, off
.LBB19_1083:
	s_mov_b32 s8, 0
.LBB19_1084:
	s_delay_alu instid0(SALU_CYCLE_1)
	s_and_b32 vcc_lo, exec_lo, s8
	s_cbranch_vccz .LBB19_1087
; %bb.1085:
	s_cmp_lg_u32 s4, 11
	s_mov_b32 s9, -1
	s_cselect_b32 s4, -1, 0
	s_and_not1_b32 s0, s0, exec_lo
	s_and_b32 s4, s4, exec_lo
	s_delay_alu instid0(SALU_CYCLE_1)
	s_or_b32 s0, s0, s4
	s_branch .LBB19_1087
.LBB19_1086:
	s_mov_b32 s9, 0
.LBB19_1087:
	s_and_not1_b32 s4, s39, exec_lo
	s_and_b32 s0, s0, exec_lo
	s_and_b32 s8, s5, exec_lo
	;; [unrolled: 1-line block ×3, first 2 shown]
	s_or_b32 s39, s4, s0
	s_wait_xcnt 0x0
	s_or_b32 exec_lo, exec_lo, s6
	s_and_saveexec_b32 s0, s39
	s_cbranch_execz .LBB19_1016
.LBB19_1088:
	s_or_b32 s1, s1, exec_lo
	s_and_not1_b32 s9, s9, exec_lo
	s_trap 2
	s_or_b32 exec_lo, exec_lo, s0
	s_and_saveexec_b32 s0, s9
	s_delay_alu instid0(SALU_CYCLE_1)
	s_xor_b32 s0, exec_lo, s0
	s_cbranch_execnz .LBB19_1017
.LBB19_1089:
	s_or_b32 exec_lo, exec_lo, s0
	s_and_saveexec_b32 s0, s8
	s_delay_alu instid0(SALU_CYCLE_1)
	s_xor_b32 s0, exec_lo, s0
	s_cbranch_execz .LBB19_1127
.LBB19_1090:
	s_sext_i32_i16 s5, s7
	s_mov_b32 s4, -1
	s_cmp_lt_i32 s5, 5
	s_cbranch_scc1 .LBB19_1111
; %bb.1091:
	s_cmp_lt_i32 s5, 8
	s_cbranch_scc1 .LBB19_1101
; %bb.1092:
	;; [unrolled: 3-line block ×3, first 2 shown]
	s_cmp_gt_i32 s5, 9
	s_cbranch_scc0 .LBB19_1095
; %bb.1094:
	s_wait_loadcnt 0x0
	v_cvt_f64_f32_e32 v[6:7], v0
	v_mov_b32_e32 v8, 0
	s_mov_b32 s4, 0
	s_delay_alu instid0(VALU_DEP_1)
	v_mov_b32_e32 v9, v8
	global_store_b128 v[4:5], v[6:9], off
.LBB19_1095:
	s_and_not1_b32 vcc_lo, exec_lo, s4
	s_cbranch_vccnz .LBB19_1097
; %bb.1096:
	v_mov_b32_e32 v1, 0
	global_store_b64 v[4:5], v[0:1], off
.LBB19_1097:
	s_mov_b32 s4, 0
.LBB19_1098:
	s_delay_alu instid0(SALU_CYCLE_1)
	s_and_not1_b32 vcc_lo, exec_lo, s4
	s_cbranch_vccnz .LBB19_1100
; %bb.1099:
	s_wait_xcnt 0x0
	v_cvt_f16_f32_e32 v1, v0
	s_delay_alu instid0(VALU_DEP_1)
	v_and_b32_e32 v1, 0xffff, v1
	global_store_b32 v[4:5], v1, off
.LBB19_1100:
	s_mov_b32 s4, 0
.LBB19_1101:
	s_delay_alu instid0(SALU_CYCLE_1)
	s_and_not1_b32 vcc_lo, exec_lo, s4
	s_cbranch_vccnz .LBB19_1110
; %bb.1102:
	s_sext_i32_i16 s5, s7
	s_mov_b32 s4, -1
	s_cmp_lt_i32 s5, 6
	s_cbranch_scc1 .LBB19_1108
; %bb.1103:
	s_cmp_gt_i32 s5, 6
	s_cbranch_scc0 .LBB19_1105
; %bb.1104:
	v_cvt_f64_f32_e32 v[2:3], v0
	s_mov_b32 s4, 0
	global_store_b64 v[4:5], v[2:3], off
.LBB19_1105:
	s_and_not1_b32 vcc_lo, exec_lo, s4
	s_cbranch_vccnz .LBB19_1107
; %bb.1106:
	global_store_b32 v[4:5], v0, off
.LBB19_1107:
	s_mov_b32 s4, 0
.LBB19_1108:
	s_delay_alu instid0(SALU_CYCLE_1)
	s_and_not1_b32 vcc_lo, exec_lo, s4
	s_cbranch_vccnz .LBB19_1110
; %bb.1109:
	s_wait_xcnt 0x0
	v_cvt_f16_f32_e32 v1, v0
	global_store_b16 v[4:5], v1, off
.LBB19_1110:
	s_mov_b32 s4, 0
.LBB19_1111:
	s_delay_alu instid0(SALU_CYCLE_1)
	s_and_not1_b32 vcc_lo, exec_lo, s4
	s_cbranch_vccnz .LBB19_1127
; %bb.1112:
	s_sext_i32_i16 s5, s7
	s_mov_b32 s4, -1
	s_cmp_lt_i32 s5, 2
	s_cbranch_scc1 .LBB19_1122
; %bb.1113:
	s_cmp_lt_i32 s5, 3
	s_cbranch_scc1 .LBB19_1119
; %bb.1114:
	s_cmp_gt_i32 s5, 3
	s_cbranch_scc0 .LBB19_1116
; %bb.1115:
	s_wait_xcnt 0x0
	v_trunc_f32_e32 v1, v0
	s_mov_b32 s4, 0
	s_delay_alu instid0(VALU_DEP_1) | instskip(NEXT) | instid1(VALU_DEP_1)
	v_mul_f32_e64 v2, 0x2f800000, |v1|
	v_floor_f32_e32 v3, v2
	v_ashrrev_i32_e32 v2, 31, v1
	s_wait_loadcnt 0x0
	s_delay_alu instid0(VALU_DEP_2) | instskip(SKIP_1) | instid1(VALU_DEP_3)
	v_fma_f32 v6, 0xcf800000, v3, |v1|
	v_cvt_u32_f32_e32 v1, v3
	v_mov_b32_e32 v3, v2
	s_delay_alu instid0(VALU_DEP_3) | instskip(NEXT) | instid1(VALU_DEP_3)
	v_cvt_u32_f32_e32 v6, v6
	v_xor_b32_e32 v7, v1, v2
	s_delay_alu instid0(VALU_DEP_2) | instskip(NEXT) | instid1(VALU_DEP_1)
	v_xor_b32_e32 v6, v6, v2
	v_sub_nc_u64_e32 v[2:3], v[6:7], v[2:3]
	global_store_b64 v[4:5], v[2:3], off
.LBB19_1116:
	s_and_not1_b32 vcc_lo, exec_lo, s4
	s_cbranch_vccnz .LBB19_1118
; %bb.1117:
	s_wait_xcnt 0x0
	v_cvt_i32_f32_e32 v1, v0
	global_store_b32 v[4:5], v1, off
.LBB19_1118:
	s_mov_b32 s4, 0
.LBB19_1119:
	s_delay_alu instid0(SALU_CYCLE_1)
	s_and_not1_b32 vcc_lo, exec_lo, s4
	s_cbranch_vccnz .LBB19_1121
; %bb.1120:
	s_wait_xcnt 0x0
	v_cvt_i32_f32_e32 v1, v0
	global_store_b16 v[4:5], v1, off
.LBB19_1121:
	s_mov_b32 s4, 0
.LBB19_1122:
	s_delay_alu instid0(SALU_CYCLE_1)
	s_and_not1_b32 vcc_lo, exec_lo, s4
	s_cbranch_vccnz .LBB19_1127
; %bb.1123:
	s_sext_i32_i16 s4, s7
	s_delay_alu instid0(SALU_CYCLE_1)
	s_cmp_gt_i32 s4, 0
	s_mov_b32 s4, -1
	s_cbranch_scc0 .LBB19_1125
; %bb.1124:
	s_wait_xcnt 0x0
	v_cvt_i32_f32_e32 v1, v0
	s_mov_b32 s4, 0
	global_store_b8 v[4:5], v1, off
.LBB19_1125:
	s_and_not1_b32 vcc_lo, exec_lo, s4
	s_cbranch_vccnz .LBB19_1127
; %bb.1126:
	s_wait_xcnt 0x0
	v_trunc_f32_e32 v0, v0
	s_delay_alu instid0(VALU_DEP_1) | instskip(NEXT) | instid1(VALU_DEP_1)
	v_mul_f32_e64 v1, 0x2f800000, |v0|
	v_floor_f32_e32 v1, v1
	s_delay_alu instid0(VALU_DEP_1) | instskip(SKIP_1) | instid1(VALU_DEP_2)
	v_fma_f32 v1, 0xcf800000, v1, |v0|
	v_ashrrev_i32_e32 v0, 31, v0
	v_cvt_u32_f32_e32 v1, v1
	s_delay_alu instid0(VALU_DEP_1) | instskip(NEXT) | instid1(VALU_DEP_1)
	v_xor_b32_e32 v1, v1, v0
	v_sub_nc_u32_e32 v0, v1, v0
	global_store_b8 v[4:5], v0, off
.LBB19_1127:
	s_wait_xcnt 0x0
	s_or_b32 exec_lo, exec_lo, s0
	s_delay_alu instid0(SALU_CYCLE_1)
	s_and_b32 s8, s1, exec_lo
                                        ; implicit-def: $vgpr9
                                        ; implicit-def: $vgpr0
.LBB19_1128:
	s_or_saveexec_b32 s9, s33
	s_mov_b32 s0, 0
                                        ; implicit-def: $vgpr2_vgpr3
                                        ; implicit-def: $sgpr6
                                        ; implicit-def: $vgpr14
	s_xor_b32 exec_lo, exec_lo, s9
	s_cbranch_execz .LBB19_1817
; %bb.1129:
	v_cndmask_b32_e64 v1, 0, 1, s31
	s_and_not1_b32 vcc_lo, exec_lo, s31
	s_cbranch_vccnz .LBB19_1135
; %bb.1130:
	s_cmp_lg_u32 s28, 0
	s_mov_b32 s10, 0
	s_cbranch_scc0 .LBB19_1136
; %bb.1131:
	s_min_u32 s1, s29, 15
	s_delay_alu instid0(SALU_CYCLE_1)
	s_add_co_i32 s1, s1, 1
	s_cmp_eq_u32 s29, 2
	s_cbranch_scc1 .LBB19_1137
; %bb.1132:
	s_wait_loadcnt 0x0
	v_dual_mov_b32 v6, 0 :: v_dual_mov_b32 v8, 0
	v_mov_b32_e32 v2, v0
	s_and_b32 s0, s1, 28
	s_add_nc_u64 s[4:5], s[2:3], 0xc4
	s_mov_b32 s11, 0
	s_mov_b64 s[6:7], s[2:3]
.LBB19_1133:                            ; =>This Inner Loop Header: Depth=1
	s_clause 0x1
	s_load_b256 s[12:19], s[6:7], 0x4
	s_load_b128 s[36:39], s[6:7], 0x24
	s_load_b256 s[20:27], s[4:5], 0x0
	s_add_co_i32 s11, s11, 4
	s_wait_xcnt 0x0
	s_add_nc_u64 s[6:7], s[6:7], 48
	s_cmp_lg_u32 s0, s11
	s_add_nc_u64 s[4:5], s[4:5], 32
	s_wait_kmcnt 0x0
	v_mul_hi_u32 v3, s13, v2
	s_delay_alu instid0(VALU_DEP_1) | instskip(NEXT) | instid1(VALU_DEP_1)
	v_add_nc_u32_e32 v3, v2, v3
	v_lshrrev_b32_e32 v3, s14, v3
	s_delay_alu instid0(VALU_DEP_1) | instskip(NEXT) | instid1(VALU_DEP_1)
	v_mul_hi_u32 v4, s16, v3
	v_add_nc_u32_e32 v4, v3, v4
	s_delay_alu instid0(VALU_DEP_1) | instskip(NEXT) | instid1(VALU_DEP_1)
	v_lshrrev_b32_e32 v4, s17, v4
	v_mul_hi_u32 v5, s19, v4
	s_delay_alu instid0(VALU_DEP_1) | instskip(SKIP_1) | instid1(VALU_DEP_1)
	v_add_nc_u32_e32 v5, v4, v5
	v_mul_lo_u32 v7, v3, s12
	v_sub_nc_u32_e32 v2, v2, v7
	v_mul_lo_u32 v7, v4, s15
	s_delay_alu instid0(VALU_DEP_4) | instskip(NEXT) | instid1(VALU_DEP_3)
	v_lshrrev_b32_e32 v5, s36, v5
	v_mad_u32 v8, v2, s21, v8
	v_mad_u32 v2, v2, s20, v6
	s_delay_alu instid0(VALU_DEP_4) | instskip(NEXT) | instid1(VALU_DEP_4)
	v_sub_nc_u32_e32 v3, v3, v7
	v_mul_hi_u32 v10, s38, v5
	v_mul_lo_u32 v6, v5, s18
	s_delay_alu instid0(VALU_DEP_3) | instskip(SKIP_1) | instid1(VALU_DEP_4)
	v_mad_u32 v8, v3, s23, v8
	v_mad_u32 v3, v3, s22, v2
	v_add_nc_u32_e32 v7, v5, v10
	s_delay_alu instid0(VALU_DEP_1) | instskip(NEXT) | instid1(VALU_DEP_1)
	v_dual_sub_nc_u32 v4, v4, v6 :: v_dual_lshrrev_b32 v2, s39, v7
	v_mad_u32 v7, v4, s25, v8
	s_delay_alu instid0(VALU_DEP_4) | instskip(NEXT) | instid1(VALU_DEP_3)
	v_mad_u32 v3, v4, s24, v3
	v_mul_lo_u32 v6, v2, s37
	s_delay_alu instid0(VALU_DEP_1) | instskip(NEXT) | instid1(VALU_DEP_1)
	v_sub_nc_u32_e32 v4, v5, v6
	v_mad_u32 v8, v4, s27, v7
	s_delay_alu instid0(VALU_DEP_4)
	v_mad_u32 v6, v4, s26, v3
	s_cbranch_scc1 .LBB19_1133
; %bb.1134:
	s_delay_alu instid0(VALU_DEP_2)
	v_mov_b32_e32 v7, v8
	s_and_b32 s6, s1, 3
	s_mov_b32 s1, 0
	s_cmp_eq_u32 s6, 0
	s_cbranch_scc0 .LBB19_1138
	s_branch .LBB19_1141
.LBB19_1135:
	s_mov_b32 s10, -1
                                        ; implicit-def: $vgpr8
                                        ; implicit-def: $vgpr6
	s_branch .LBB19_1141
.LBB19_1136:
	s_wait_loadcnt 0x0
	v_dual_mov_b32 v8, 0 :: v_dual_mov_b32 v6, 0
	s_branch .LBB19_1141
.LBB19_1137:
	s_wait_loadcnt 0x0
	v_mov_b64_e32 v[6:7], 0
	v_mov_b32_e32 v2, v0
                                        ; implicit-def: $vgpr8
	s_and_b32 s6, s1, 3
	s_mov_b32 s1, 0
	s_cmp_eq_u32 s6, 0
	s_cbranch_scc1 .LBB19_1141
.LBB19_1138:
	s_lshl_b32 s4, s0, 3
	s_mov_b32 s5, s1
	s_mul_u64 s[12:13], s[0:1], 12
	s_add_nc_u64 s[4:5], s[2:3], s[4:5]
	s_delay_alu instid0(SALU_CYCLE_1)
	s_add_nc_u64 s[0:1], s[4:5], 0xc4
	s_add_nc_u64 s[4:5], s[2:3], s[12:13]
.LBB19_1139:                            ; =>This Inner Loop Header: Depth=1
	s_load_b96 s[12:14], s[4:5], 0x4
	s_add_co_i32 s6, s6, -1
	s_wait_xcnt 0x0
	s_add_nc_u64 s[4:5], s[4:5], 12
	s_cmp_lg_u32 s6, 0
	s_wait_kmcnt 0x0
	v_mul_hi_u32 v3, s13, v2
	s_delay_alu instid0(VALU_DEP_1) | instskip(NEXT) | instid1(VALU_DEP_1)
	v_add_nc_u32_e32 v3, v2, v3
	v_lshrrev_b32_e32 v3, s14, v3
	s_load_b64 s[14:15], s[0:1], 0x0
	s_wait_xcnt 0x0
	s_add_nc_u64 s[0:1], s[0:1], 8
	s_delay_alu instid0(VALU_DEP_1) | instskip(NEXT) | instid1(VALU_DEP_1)
	v_mul_lo_u32 v4, v3, s12
	v_sub_nc_u32_e32 v2, v2, v4
	s_wait_kmcnt 0x0
	s_delay_alu instid0(VALU_DEP_1)
	v_mad_u32 v7, v2, s15, v7
	v_mad_u32 v6, v2, s14, v6
	v_mov_b32_e32 v2, v3
	s_cbranch_scc1 .LBB19_1139
; %bb.1140:
	s_delay_alu instid0(VALU_DEP_3)
	v_mov_b32_e32 v8, v7
.LBB19_1141:
	s_and_not1_b32 vcc_lo, exec_lo, s10
	s_cbranch_vccnz .LBB19_1144
; %bb.1142:
	s_clause 0x1
	s_load_b96 s[4:6], s[2:3], 0x4
	s_load_b64 s[0:1], s[2:3], 0xc4
	s_cmp_lt_u32 s28, 2
	s_wait_kmcnt 0x0
	v_mul_hi_u32 v2, s5, v0
	s_delay_alu instid0(VALU_DEP_1) | instskip(NEXT) | instid1(VALU_DEP_1)
	v_add_nc_u32_e32 v2, v0, v2
	v_lshrrev_b32_e32 v2, s6, v2
	s_delay_alu instid0(VALU_DEP_1) | instskip(NEXT) | instid1(VALU_DEP_1)
	v_mul_lo_u32 v3, v2, s4
	v_sub_nc_u32_e32 v3, v0, v3
	s_delay_alu instid0(VALU_DEP_1)
	v_mul_lo_u32 v8, v3, s1
	s_wait_loadcnt 0x0
	v_mul_lo_u32 v6, v3, s0
	s_cbranch_scc1 .LBB19_1144
; %bb.1143:
	s_clause 0x1
	s_load_b96 s[4:6], s[2:3], 0x10
	s_load_b64 s[0:1], s[2:3], 0xcc
	s_wait_kmcnt 0x0
	v_mul_hi_u32 v3, s5, v2
	s_delay_alu instid0(VALU_DEP_1) | instskip(NEXT) | instid1(VALU_DEP_1)
	v_add_nc_u32_e32 v3, v2, v3
	v_lshrrev_b32_e32 v3, s6, v3
	s_delay_alu instid0(VALU_DEP_1) | instskip(NEXT) | instid1(VALU_DEP_1)
	v_mul_lo_u32 v3, v3, s4
	v_sub_nc_u32_e32 v2, v2, v3
	s_delay_alu instid0(VALU_DEP_1)
	v_mad_u32 v6, v2, s0, v6
	v_mad_u32 v8, v2, s1, v8
.LBB19_1144:
	v_cmp_ne_u32_e32 vcc_lo, 1, v1
	v_add_nc_u32_e32 v2, 0x80, v0
	s_cbranch_vccnz .LBB19_1150
; %bb.1145:
	s_cmp_lg_u32 s28, 0
	s_mov_b32 s10, 0
	s_cbranch_scc0 .LBB19_1151
; %bb.1146:
	s_min_u32 s1, s29, 15
	s_delay_alu instid0(SALU_CYCLE_1)
	s_add_co_i32 s1, s1, 1
	s_cmp_eq_u32 s29, 2
	s_cbranch_scc1 .LBB19_1152
; %bb.1147:
	v_dual_mov_b32 v4, 0 :: v_dual_mov_b32 v10, 0
	v_mov_b32_e32 v3, v2
	s_and_b32 s0, s1, 28
	s_add_nc_u64 s[4:5], s[2:3], 0xc4
	s_mov_b32 s11, 0
	s_mov_b64 s[6:7], s[2:3]
.LBB19_1148:                            ; =>This Inner Loop Header: Depth=1
	s_clause 0x1
	s_load_b256 s[12:19], s[6:7], 0x4
	s_load_b128 s[36:39], s[6:7], 0x24
	s_load_b256 s[20:27], s[4:5], 0x0
	s_add_co_i32 s11, s11, 4
	s_wait_xcnt 0x0
	s_add_nc_u64 s[6:7], s[6:7], 48
	s_cmp_lg_u32 s0, s11
	s_add_nc_u64 s[4:5], s[4:5], 32
	s_wait_kmcnt 0x0
	v_mul_hi_u32 v5, s13, v3
	s_delay_alu instid0(VALU_DEP_1) | instskip(NEXT) | instid1(VALU_DEP_1)
	v_add_nc_u32_e32 v5, v3, v5
	v_lshrrev_b32_e32 v5, s14, v5
	s_delay_alu instid0(VALU_DEP_1) | instskip(NEXT) | instid1(VALU_DEP_1)
	v_mul_hi_u32 v7, s16, v5
	v_add_nc_u32_e32 v7, v5, v7
	s_delay_alu instid0(VALU_DEP_1) | instskip(NEXT) | instid1(VALU_DEP_1)
	v_lshrrev_b32_e32 v7, s17, v7
	v_mul_hi_u32 v11, s19, v7
	s_delay_alu instid0(VALU_DEP_1) | instskip(SKIP_1) | instid1(VALU_DEP_1)
	v_add_nc_u32_e32 v11, v7, v11
	v_mul_lo_u32 v12, v5, s12
	v_sub_nc_u32_e32 v3, v3, v12
	v_mul_lo_u32 v12, v7, s15
	s_delay_alu instid0(VALU_DEP_4) | instskip(NEXT) | instid1(VALU_DEP_3)
	v_lshrrev_b32_e32 v11, s36, v11
	v_mad_u32 v10, v3, s21, v10
	v_mad_u32 v3, v3, s20, v4
	s_delay_alu instid0(VALU_DEP_4) | instskip(NEXT) | instid1(VALU_DEP_4)
	v_sub_nc_u32_e32 v4, v5, v12
	v_mul_hi_u32 v13, s38, v11
	v_mul_lo_u32 v5, v11, s18
	s_delay_alu instid0(VALU_DEP_3) | instskip(SKIP_1) | instid1(VALU_DEP_4)
	v_mad_u32 v10, v4, s23, v10
	v_mad_u32 v4, v4, s22, v3
	v_add_nc_u32_e32 v12, v11, v13
	s_delay_alu instid0(VALU_DEP_1) | instskip(NEXT) | instid1(VALU_DEP_1)
	v_dual_sub_nc_u32 v5, v7, v5 :: v_dual_lshrrev_b32 v3, s39, v12
	v_mad_u32 v10, v5, s25, v10
	s_delay_alu instid0(VALU_DEP_4) | instskip(NEXT) | instid1(VALU_DEP_3)
	v_mad_u32 v4, v5, s24, v4
	v_mul_lo_u32 v7, v3, s37
	s_delay_alu instid0(VALU_DEP_1) | instskip(NEXT) | instid1(VALU_DEP_1)
	v_sub_nc_u32_e32 v5, v11, v7
	v_mad_u32 v10, v5, s27, v10
	s_delay_alu instid0(VALU_DEP_4)
	v_mad_u32 v4, v5, s26, v4
	s_cbranch_scc1 .LBB19_1148
; %bb.1149:
	s_delay_alu instid0(VALU_DEP_2)
	v_mov_b32_e32 v5, v10
	s_and_b32 s6, s1, 3
	s_mov_b32 s1, 0
	s_cmp_eq_u32 s6, 0
	s_cbranch_scc0 .LBB19_1153
	s_branch .LBB19_1156
.LBB19_1150:
	s_mov_b32 s10, -1
                                        ; implicit-def: $vgpr10
                                        ; implicit-def: $vgpr4
	s_branch .LBB19_1156
.LBB19_1151:
	v_dual_mov_b32 v10, 0 :: v_dual_mov_b32 v4, 0
	s_branch .LBB19_1156
.LBB19_1152:
	v_mov_b64_e32 v[4:5], 0
	v_mov_b32_e32 v3, v2
	s_mov_b32 s0, 0
                                        ; implicit-def: $vgpr10
	s_and_b32 s6, s1, 3
	s_mov_b32 s1, 0
	s_cmp_eq_u32 s6, 0
	s_cbranch_scc1 .LBB19_1156
.LBB19_1153:
	s_lshl_b32 s4, s0, 3
	s_mov_b32 s5, s1
	s_mul_u64 s[12:13], s[0:1], 12
	s_add_nc_u64 s[4:5], s[2:3], s[4:5]
	s_delay_alu instid0(SALU_CYCLE_1)
	s_add_nc_u64 s[0:1], s[4:5], 0xc4
	s_add_nc_u64 s[4:5], s[2:3], s[12:13]
.LBB19_1154:                            ; =>This Inner Loop Header: Depth=1
	s_load_b96 s[12:14], s[4:5], 0x4
	s_add_co_i32 s6, s6, -1
	s_wait_xcnt 0x0
	s_add_nc_u64 s[4:5], s[4:5], 12
	s_cmp_lg_u32 s6, 0
	s_wait_kmcnt 0x0
	v_mul_hi_u32 v7, s13, v3
	s_delay_alu instid0(VALU_DEP_1) | instskip(NEXT) | instid1(VALU_DEP_1)
	v_add_nc_u32_e32 v7, v3, v7
	v_lshrrev_b32_e32 v7, s14, v7
	s_load_b64 s[14:15], s[0:1], 0x0
	s_wait_xcnt 0x0
	s_add_nc_u64 s[0:1], s[0:1], 8
	s_delay_alu instid0(VALU_DEP_1) | instskip(NEXT) | instid1(VALU_DEP_1)
	v_mul_lo_u32 v10, v7, s12
	v_sub_nc_u32_e32 v3, v3, v10
	s_wait_kmcnt 0x0
	s_delay_alu instid0(VALU_DEP_1)
	v_mad_u32 v5, v3, s15, v5
	v_mad_u32 v4, v3, s14, v4
	v_mov_b32_e32 v3, v7
	s_cbranch_scc1 .LBB19_1154
; %bb.1155:
	s_delay_alu instid0(VALU_DEP_3)
	v_mov_b32_e32 v10, v5
.LBB19_1156:
	s_and_not1_b32 vcc_lo, exec_lo, s10
	s_cbranch_vccnz .LBB19_1159
; %bb.1157:
	s_clause 0x1
	s_load_b96 s[4:6], s[2:3], 0x4
	s_load_b64 s[0:1], s[2:3], 0xc4
	s_cmp_lt_u32 s28, 2
	s_wait_kmcnt 0x0
	v_mul_hi_u32 v3, s5, v2
	s_delay_alu instid0(VALU_DEP_1) | instskip(NEXT) | instid1(VALU_DEP_1)
	v_add_nc_u32_e32 v3, v2, v3
	v_lshrrev_b32_e32 v3, s6, v3
	s_delay_alu instid0(VALU_DEP_1) | instskip(NEXT) | instid1(VALU_DEP_1)
	v_mul_lo_u32 v4, v3, s4
	v_sub_nc_u32_e32 v2, v2, v4
	s_delay_alu instid0(VALU_DEP_1)
	v_mul_lo_u32 v10, v2, s1
	v_mul_lo_u32 v4, v2, s0
	s_cbranch_scc1 .LBB19_1159
; %bb.1158:
	s_clause 0x1
	s_load_b96 s[4:6], s[2:3], 0x10
	s_load_b64 s[0:1], s[2:3], 0xcc
	s_wait_kmcnt 0x0
	v_mul_hi_u32 v2, s5, v3
	s_delay_alu instid0(VALU_DEP_1) | instskip(NEXT) | instid1(VALU_DEP_1)
	v_add_nc_u32_e32 v2, v3, v2
	v_lshrrev_b32_e32 v2, s6, v2
	s_delay_alu instid0(VALU_DEP_1) | instskip(NEXT) | instid1(VALU_DEP_1)
	v_mul_lo_u32 v2, v2, s4
	v_sub_nc_u32_e32 v2, v3, v2
	s_delay_alu instid0(VALU_DEP_1)
	v_mad_u32 v4, v2, s0, v4
	v_mad_u32 v10, v2, s1, v10
.LBB19_1159:
	v_cmp_ne_u32_e32 vcc_lo, 1, v1
	v_add_nc_u32_e32 v0, 0x100, v0
	s_cbranch_vccnz .LBB19_1165
; %bb.1160:
	s_cmp_lg_u32 s28, 0
	s_mov_b32 s10, 0
	s_cbranch_scc0 .LBB19_1166
; %bb.1161:
	s_min_u32 s1, s29, 15
	s_delay_alu instid0(SALU_CYCLE_1)
	s_add_co_i32 s1, s1, 1
	s_cmp_eq_u32 s29, 2
	s_cbranch_scc1 .LBB19_1167
; %bb.1162:
	v_dual_mov_b32 v2, 0 :: v_dual_mov_b32 v12, 0
	v_mov_b32_e32 v5, v0
	s_and_b32 s0, s1, 28
	s_add_nc_u64 s[4:5], s[2:3], 0xc4
	s_mov_b32 s11, 0
	s_mov_b64 s[6:7], s[2:3]
.LBB19_1163:                            ; =>This Inner Loop Header: Depth=1
	s_clause 0x1
	s_load_b256 s[12:19], s[6:7], 0x4
	s_load_b128 s[36:39], s[6:7], 0x24
	s_load_b256 s[20:27], s[4:5], 0x0
	s_add_co_i32 s11, s11, 4
	s_wait_xcnt 0x0
	s_add_nc_u64 s[6:7], s[6:7], 48
	s_cmp_lg_u32 s0, s11
	s_add_nc_u64 s[4:5], s[4:5], 32
	s_wait_kmcnt 0x0
	v_mul_hi_u32 v3, s13, v5
	s_delay_alu instid0(VALU_DEP_1) | instskip(NEXT) | instid1(VALU_DEP_1)
	v_add_nc_u32_e32 v3, v5, v3
	v_lshrrev_b32_e32 v3, s14, v3
	s_delay_alu instid0(VALU_DEP_1) | instskip(SKIP_1) | instid1(VALU_DEP_1)
	v_mul_hi_u32 v7, s16, v3
	v_mul_lo_u32 v13, v3, s12
	v_dual_add_nc_u32 v7, v3, v7 :: v_dual_sub_nc_u32 v5, v5, v13
	s_delay_alu instid0(VALU_DEP_1) | instskip(NEXT) | instid1(VALU_DEP_2)
	v_lshrrev_b32_e32 v7, s17, v7
	v_mad_u32 v12, v5, s21, v12
	v_mad_u32 v2, v5, s20, v2
	s_delay_alu instid0(VALU_DEP_3) | instskip(NEXT) | instid1(VALU_DEP_1)
	v_mul_hi_u32 v11, s19, v7
	v_add_nc_u32_e32 v11, v7, v11
	s_delay_alu instid0(VALU_DEP_1) | instskip(NEXT) | instid1(VALU_DEP_1)
	v_lshrrev_b32_e32 v11, s36, v11
	v_mul_hi_u32 v14, s38, v11
	s_delay_alu instid0(VALU_DEP_1) | instskip(NEXT) | instid1(VALU_DEP_1)
	v_add_nc_u32_e32 v5, v11, v14
	v_lshrrev_b32_e32 v5, s39, v5
	v_mul_lo_u32 v13, v7, s15
	s_delay_alu instid0(VALU_DEP_1) | instskip(SKIP_1) | instid1(VALU_DEP_2)
	v_sub_nc_u32_e32 v3, v3, v13
	v_mul_lo_u32 v13, v11, s18
	v_mad_u32 v12, v3, s23, v12
	v_mad_u32 v2, v3, s22, v2
	s_delay_alu instid0(VALU_DEP_3) | instskip(SKIP_1) | instid1(VALU_DEP_2)
	v_sub_nc_u32_e32 v3, v7, v13
	v_mul_lo_u32 v7, v5, s37
	v_mad_u32 v12, v3, s25, v12
	s_delay_alu instid0(VALU_DEP_4) | instskip(NEXT) | instid1(VALU_DEP_3)
	v_mad_u32 v2, v3, s24, v2
	v_sub_nc_u32_e32 v3, v11, v7
	s_delay_alu instid0(VALU_DEP_1) | instskip(NEXT) | instid1(VALU_DEP_3)
	v_mad_u32 v12, v3, s27, v12
	v_mad_u32 v2, v3, s26, v2
	s_cbranch_scc1 .LBB19_1163
; %bb.1164:
	s_delay_alu instid0(VALU_DEP_2)
	v_mov_b32_e32 v3, v12
	s_and_b32 s6, s1, 3
	s_mov_b32 s1, 0
	s_cmp_eq_u32 s6, 0
	s_cbranch_scc0 .LBB19_1168
	s_branch .LBB19_1171
.LBB19_1165:
	s_mov_b32 s10, -1
                                        ; implicit-def: $vgpr12
                                        ; implicit-def: $vgpr2
	s_branch .LBB19_1171
.LBB19_1166:
	v_dual_mov_b32 v12, 0 :: v_dual_mov_b32 v2, 0
	s_branch .LBB19_1171
.LBB19_1167:
	v_mov_b64_e32 v[2:3], 0
	v_mov_b32_e32 v5, v0
	s_mov_b32 s0, 0
                                        ; implicit-def: $vgpr12
	s_and_b32 s6, s1, 3
	s_mov_b32 s1, 0
	s_cmp_eq_u32 s6, 0
	s_cbranch_scc1 .LBB19_1171
.LBB19_1168:
	s_lshl_b32 s4, s0, 3
	s_mov_b32 s5, s1
	s_mul_u64 s[12:13], s[0:1], 12
	s_add_nc_u64 s[4:5], s[2:3], s[4:5]
	s_delay_alu instid0(SALU_CYCLE_1)
	s_add_nc_u64 s[0:1], s[4:5], 0xc4
	s_add_nc_u64 s[4:5], s[2:3], s[12:13]
.LBB19_1169:                            ; =>This Inner Loop Header: Depth=1
	s_load_b96 s[12:14], s[4:5], 0x4
	s_add_co_i32 s6, s6, -1
	s_wait_xcnt 0x0
	s_add_nc_u64 s[4:5], s[4:5], 12
	s_cmp_lg_u32 s6, 0
	s_wait_kmcnt 0x0
	v_mul_hi_u32 v7, s13, v5
	s_delay_alu instid0(VALU_DEP_1) | instskip(NEXT) | instid1(VALU_DEP_1)
	v_add_nc_u32_e32 v7, v5, v7
	v_lshrrev_b32_e32 v7, s14, v7
	s_load_b64 s[14:15], s[0:1], 0x0
	s_wait_xcnt 0x0
	s_add_nc_u64 s[0:1], s[0:1], 8
	s_delay_alu instid0(VALU_DEP_1) | instskip(NEXT) | instid1(VALU_DEP_1)
	v_mul_lo_u32 v11, v7, s12
	v_sub_nc_u32_e32 v5, v5, v11
	s_wait_kmcnt 0x0
	s_delay_alu instid0(VALU_DEP_1)
	v_mad_u32 v3, v5, s15, v3
	v_mad_u32 v2, v5, s14, v2
	v_mov_b32_e32 v5, v7
	s_cbranch_scc1 .LBB19_1169
; %bb.1170:
	s_delay_alu instid0(VALU_DEP_3)
	v_mov_b32_e32 v12, v3
.LBB19_1171:
	s_and_not1_b32 vcc_lo, exec_lo, s10
	s_cbranch_vccnz .LBB19_1174
; %bb.1172:
	s_clause 0x1
	s_load_b96 s[4:6], s[2:3], 0x4
	s_load_b64 s[0:1], s[2:3], 0xc4
	s_cmp_lt_u32 s28, 2
	s_wait_kmcnt 0x0
	v_mul_hi_u32 v2, s5, v0
	s_delay_alu instid0(VALU_DEP_1) | instskip(NEXT) | instid1(VALU_DEP_1)
	v_add_nc_u32_e32 v2, v0, v2
	v_lshrrev_b32_e32 v3, s6, v2
	s_delay_alu instid0(VALU_DEP_1) | instskip(NEXT) | instid1(VALU_DEP_1)
	v_mul_lo_u32 v2, v3, s4
	v_sub_nc_u32_e32 v0, v0, v2
	s_delay_alu instid0(VALU_DEP_1)
	v_mul_lo_u32 v12, v0, s1
	v_mul_lo_u32 v2, v0, s0
	s_cbranch_scc1 .LBB19_1174
; %bb.1173:
	s_clause 0x1
	s_load_b96 s[4:6], s[2:3], 0x10
	s_load_b64 s[0:1], s[2:3], 0xcc
	s_wait_kmcnt 0x0
	v_mul_hi_u32 v0, s5, v3
	s_delay_alu instid0(VALU_DEP_1) | instskip(NEXT) | instid1(VALU_DEP_1)
	v_add_nc_u32_e32 v0, v3, v0
	v_lshrrev_b32_e32 v0, s6, v0
	s_delay_alu instid0(VALU_DEP_1) | instskip(NEXT) | instid1(VALU_DEP_1)
	v_mul_lo_u32 v0, v0, s4
	v_sub_nc_u32_e32 v0, v3, v0
	s_delay_alu instid0(VALU_DEP_1)
	v_mad_u32 v2, v0, s0, v2
	v_mad_u32 v12, v0, s1, v12
.LBB19_1174:
	v_cmp_ne_u32_e32 vcc_lo, 1, v1
	s_cbranch_vccnz .LBB19_1180
; %bb.1175:
	s_cmp_lg_u32 s28, 0
	s_mov_b32 s10, 0
	s_cbranch_scc0 .LBB19_1181
; %bb.1176:
	s_min_u32 s1, s29, 15
	s_delay_alu instid0(SALU_CYCLE_1)
	s_add_co_i32 s1, s1, 1
	s_cmp_eq_u32 s29, 2
	s_cbranch_scc1 .LBB19_1182
; %bb.1177:
	v_dual_mov_b32 v0, 0 :: v_dual_mov_b32 v14, 0
	v_mov_b32_e32 v3, v9
	s_and_b32 s0, s1, 28
	s_add_nc_u64 s[4:5], s[2:3], 0xc4
	s_mov_b32 s11, 0
	s_mov_b64 s[6:7], s[2:3]
.LBB19_1178:                            ; =>This Inner Loop Header: Depth=1
	s_clause 0x1
	s_load_b256 s[12:19], s[6:7], 0x4
	s_load_b128 s[36:39], s[6:7], 0x24
	s_load_b256 s[20:27], s[4:5], 0x0
	s_add_co_i32 s11, s11, 4
	s_wait_xcnt 0x0
	s_add_nc_u64 s[6:7], s[6:7], 48
	s_cmp_lg_u32 s0, s11
	s_add_nc_u64 s[4:5], s[4:5], 32
	s_wait_kmcnt 0x0
	v_mul_hi_u32 v1, s13, v3
	s_delay_alu instid0(VALU_DEP_1) | instskip(NEXT) | instid1(VALU_DEP_1)
	v_add_nc_u32_e32 v1, v3, v1
	v_lshrrev_b32_e32 v1, s14, v1
	s_delay_alu instid0(VALU_DEP_1) | instskip(NEXT) | instid1(VALU_DEP_1)
	v_mul_lo_u32 v11, v1, s12
	v_sub_nc_u32_e32 v3, v3, v11
	v_mul_hi_u32 v5, s16, v1
	s_delay_alu instid0(VALU_DEP_2) | instskip(SKIP_1) | instid1(VALU_DEP_3)
	v_mad_u32 v14, v3, s21, v14
	v_mad_u32 v0, v3, s20, v0
	v_add_nc_u32_e32 v5, v1, v5
	s_delay_alu instid0(VALU_DEP_1) | instskip(NEXT) | instid1(VALU_DEP_1)
	v_lshrrev_b32_e32 v5, s17, v5
	v_mul_lo_u32 v11, v5, s15
	s_delay_alu instid0(VALU_DEP_1) | instskip(SKIP_1) | instid1(VALU_DEP_2)
	v_sub_nc_u32_e32 v1, v1, v11
	v_mul_hi_u32 v7, s19, v5
	v_mad_u32 v0, v1, s22, v0
	s_delay_alu instid0(VALU_DEP_2) | instskip(NEXT) | instid1(VALU_DEP_1)
	v_add_nc_u32_e32 v7, v5, v7
	v_lshrrev_b32_e32 v7, s36, v7
	s_delay_alu instid0(VALU_DEP_1) | instskip(SKIP_1) | instid1(VALU_DEP_2)
	v_mul_hi_u32 v13, s38, v7
	v_mul_lo_u32 v11, v7, s18
	v_add_nc_u32_e32 v3, v7, v13
	v_mad_u32 v13, v1, s23, v14
	s_delay_alu instid0(VALU_DEP_3) | instskip(NEXT) | instid1(VALU_DEP_3)
	v_sub_nc_u32_e32 v1, v5, v11
	v_lshrrev_b32_e32 v3, s39, v3
	s_delay_alu instid0(VALU_DEP_2) | instskip(NEXT) | instid1(VALU_DEP_2)
	v_mad_u32 v0, v1, s24, v0
	v_mul_lo_u32 v5, v3, s37
	v_mad_u32 v11, v1, s25, v13
	s_delay_alu instid0(VALU_DEP_2) | instskip(NEXT) | instid1(VALU_DEP_1)
	v_sub_nc_u32_e32 v1, v7, v5
	v_mad_u32 v14, v1, s27, v11
	v_mad_u32 v0, v1, s26, v0
	s_cbranch_scc1 .LBB19_1178
; %bb.1179:
	s_delay_alu instid0(VALU_DEP_2)
	v_mov_b32_e32 v1, v14
	s_and_b32 s6, s1, 3
	s_mov_b32 s1, 0
	s_cmp_eq_u32 s6, 0
	s_cbranch_scc0 .LBB19_1183
	s_branch .LBB19_1186
.LBB19_1180:
	s_mov_b32 s10, -1
                                        ; implicit-def: $vgpr14
                                        ; implicit-def: $vgpr0
	s_branch .LBB19_1186
.LBB19_1181:
	v_dual_mov_b32 v14, 0 :: v_dual_mov_b32 v0, 0
	s_branch .LBB19_1186
.LBB19_1182:
	v_mov_b64_e32 v[0:1], 0
	v_mov_b32_e32 v3, v9
	s_mov_b32 s0, 0
                                        ; implicit-def: $vgpr14
	s_and_b32 s6, s1, 3
	s_mov_b32 s1, 0
	s_cmp_eq_u32 s6, 0
	s_cbranch_scc1 .LBB19_1186
.LBB19_1183:
	s_lshl_b32 s4, s0, 3
	s_mov_b32 s5, s1
	s_mul_u64 s[12:13], s[0:1], 12
	s_add_nc_u64 s[4:5], s[2:3], s[4:5]
	s_delay_alu instid0(SALU_CYCLE_1)
	s_add_nc_u64 s[0:1], s[4:5], 0xc4
	s_add_nc_u64 s[4:5], s[2:3], s[12:13]
.LBB19_1184:                            ; =>This Inner Loop Header: Depth=1
	s_load_b96 s[12:14], s[4:5], 0x4
	s_add_co_i32 s6, s6, -1
	s_wait_xcnt 0x0
	s_add_nc_u64 s[4:5], s[4:5], 12
	s_cmp_lg_u32 s6, 0
	s_wait_kmcnt 0x0
	v_mul_hi_u32 v5, s13, v3
	s_delay_alu instid0(VALU_DEP_1) | instskip(NEXT) | instid1(VALU_DEP_1)
	v_add_nc_u32_e32 v5, v3, v5
	v_lshrrev_b32_e32 v5, s14, v5
	s_load_b64 s[14:15], s[0:1], 0x0
	s_wait_xcnt 0x0
	s_add_nc_u64 s[0:1], s[0:1], 8
	s_delay_alu instid0(VALU_DEP_1) | instskip(NEXT) | instid1(VALU_DEP_1)
	v_mul_lo_u32 v7, v5, s12
	v_sub_nc_u32_e32 v3, v3, v7
	s_wait_kmcnt 0x0
	s_delay_alu instid0(VALU_DEP_1)
	v_mad_u32 v1, v3, s15, v1
	v_mad_u32 v0, v3, s14, v0
	v_mov_b32_e32 v3, v5
	s_cbranch_scc1 .LBB19_1184
; %bb.1185:
	s_delay_alu instid0(VALU_DEP_3)
	v_mov_b32_e32 v14, v1
.LBB19_1186:
	s_and_not1_b32 vcc_lo, exec_lo, s10
	s_cbranch_vccnz .LBB19_1189
; %bb.1187:
	s_clause 0x1
	s_load_b96 s[4:6], s[2:3], 0x4
	s_load_b64 s[0:1], s[2:3], 0xc4
	s_cmp_lt_u32 s28, 2
	s_wait_kmcnt 0x0
	v_mul_hi_u32 v0, s5, v9
	s_delay_alu instid0(VALU_DEP_1) | instskip(NEXT) | instid1(VALU_DEP_1)
	v_add_nc_u32_e32 v0, v9, v0
	v_lshrrev_b32_e32 v1, s6, v0
	s_delay_alu instid0(VALU_DEP_1) | instskip(NEXT) | instid1(VALU_DEP_1)
	v_mul_lo_u32 v0, v1, s4
	v_sub_nc_u32_e32 v0, v9, v0
	s_delay_alu instid0(VALU_DEP_1)
	v_mul_lo_u32 v14, v0, s1
	v_mul_lo_u32 v0, v0, s0
	s_cbranch_scc1 .LBB19_1189
; %bb.1188:
	s_clause 0x1
	s_load_b96 s[4:6], s[2:3], 0x10
	s_load_b64 s[0:1], s[2:3], 0xcc
	s_wait_kmcnt 0x0
	v_mul_hi_u32 v3, s5, v1
	s_delay_alu instid0(VALU_DEP_1) | instskip(NEXT) | instid1(VALU_DEP_1)
	v_add_nc_u32_e32 v3, v1, v3
	v_lshrrev_b32_e32 v3, s6, v3
	s_delay_alu instid0(VALU_DEP_1) | instskip(NEXT) | instid1(VALU_DEP_1)
	v_mul_lo_u32 v3, v3, s4
	v_sub_nc_u32_e32 v1, v1, v3
	s_delay_alu instid0(VALU_DEP_1)
	v_mad_u32 v0, v1, s0, v0
	v_mad_u32 v14, v1, s1, v14
.LBB19_1189:
	v_mov_b32_e32 v9, 0
	s_load_b128 s[4:7], s[2:3], 0x148
	global_load_u8 v1, v9, s[2:3] offset:346
	s_wait_kmcnt 0x0
	v_add_nc_u64_e32 v[8:9], s[6:7], v[8:9]
	s_wait_loadcnt 0x0
	v_and_b32_e32 v3, 0xffff, v1
	v_readfirstlane_b32 s10, v1
	s_delay_alu instid0(VALU_DEP_2)
	v_cmp_gt_i32_e32 vcc_lo, 11, v3
	s_cbranch_vccnz .LBB19_1196
; %bb.1190:
	s_and_b32 s0, 0xffff, s10
	s_mov_b32 s11, 0
	s_cmp_gt_i32 s0, 25
	s_cbranch_scc0 .LBB19_1198
; %bb.1191:
	s_cmp_gt_i32 s0, 28
	s_cbranch_scc0 .LBB19_1199
; %bb.1192:
	;; [unrolled: 3-line block ×4, first 2 shown]
	s_cmp_eq_u32 s0, 46
	s_mov_b32 s13, 0
	s_cbranch_scc0 .LBB19_1204
; %bb.1195:
	global_load_b32 v1, v[8:9], off
	s_mov_b32 s1, 0
	s_mov_b32 s12, -1
	s_wait_loadcnt 0x0
	v_lshlrev_b32_e32 v16, 16, v1
	s_branch .LBB19_1206
.LBB19_1196:
	s_mov_b32 s12, 0
	s_mov_b32 s1, s8
                                        ; implicit-def: $vgpr16
	s_cbranch_execnz .LBB19_1269
.LBB19_1197:
	s_and_not1_b32 vcc_lo, exec_lo, s12
	s_cbranch_vccz .LBB19_1314
	s_branch .LBB19_1815
.LBB19_1198:
	s_mov_b32 s12, 0
	s_mov_b32 s1, 0
                                        ; implicit-def: $vgpr16
	s_cbranch_execnz .LBB19_1234
	s_branch .LBB19_1265
.LBB19_1199:
	s_mov_b32 s13, -1
	s_mov_b32 s12, 0
	s_mov_b32 s1, 0
                                        ; implicit-def: $vgpr16
	s_branch .LBB19_1215
.LBB19_1200:
	s_mov_b32 s12, 0
	s_mov_b32 s1, 0
                                        ; implicit-def: $vgpr16
	s_cbranch_execnz .LBB19_1211
	s_branch .LBB19_1214
.LBB19_1201:
	s_mov_b32 s13, -1
	s_mov_b32 s12, 0
	s_mov_b32 s1, 0
	s_branch .LBB19_1205
.LBB19_1202:
	s_and_not1_saveexec_b32 s9, s9
	s_cbranch_execz .LBB19_1041
.LBB19_1203:
	v_add_f32_e64 v1, 0x46000000, |v0|
	s_and_not1_b32 s8, s8, exec_lo
	s_delay_alu instid0(VALU_DEP_1) | instskip(NEXT) | instid1(VALU_DEP_1)
	v_and_b32_e32 v1, 0xff, v1
	v_cmp_ne_u32_e32 vcc_lo, 0, v1
	s_and_b32 s10, vcc_lo, exec_lo
	s_delay_alu instid0(SALU_CYCLE_1)
	s_or_b32 s8, s8, s10
	s_or_b32 exec_lo, exec_lo, s9
	v_mov_b32_e32 v2, 0
	s_and_saveexec_b32 s9, s8
	s_cbranch_execnz .LBB19_1042
	s_branch .LBB19_1043
.LBB19_1204:
	s_mov_b32 s1, -1
	s_mov_b32 s12, 0
.LBB19_1205:
                                        ; implicit-def: $vgpr16
.LBB19_1206:
	s_and_b32 vcc_lo, exec_lo, s13
	s_cbranch_vccz .LBB19_1209
; %bb.1207:
	s_cmp_eq_u32 s0, 44
	s_cbranch_scc0 .LBB19_1210
; %bb.1208:
	global_load_u8 v1, v[8:9], off
	s_mov_b32 s1, 0
	s_mov_b32 s12, -1
	s_wait_loadcnt 0x0
	v_lshlrev_b32_e32 v3, 23, v1
	v_cmp_ne_u32_e32 vcc_lo, 0xff, v1
	s_delay_alu instid0(VALU_DEP_2) | instskip(SKIP_1) | instid1(VALU_DEP_2)
	v_cndmask_b32_e32 v3, 0x7f800001, v3, vcc_lo
	v_cmp_ne_u32_e32 vcc_lo, 0, v1
	v_cndmask_b32_e32 v16, 0x400000, v3, vcc_lo
.LBB19_1209:
	s_branch .LBB19_1214
.LBB19_1210:
	s_mov_b32 s1, -1
                                        ; implicit-def: $vgpr16
	s_branch .LBB19_1214
.LBB19_1211:
	s_cmp_eq_u32 s0, 29
	s_cbranch_scc0 .LBB19_1213
; %bb.1212:
	global_load_b64 v[16:17], v[8:9], off
	s_mov_b32 s1, 0
	s_mov_b32 s12, -1
	s_mov_b32 s13, 0
	s_wait_loadcnt 0x0
	v_clz_i32_u32_e32 v1, v17
	s_delay_alu instid0(VALU_DEP_1) | instskip(NEXT) | instid1(VALU_DEP_1)
	v_min_u32_e32 v1, 32, v1
	v_lshlrev_b64_e32 v[16:17], v1, v[16:17]
	v_sub_nc_u32_e32 v1, 32, v1
	s_delay_alu instid0(VALU_DEP_2) | instskip(NEXT) | instid1(VALU_DEP_1)
	v_min_u32_e32 v3, 1, v16
	v_or_b32_e32 v3, v17, v3
	s_delay_alu instid0(VALU_DEP_1) | instskip(NEXT) | instid1(VALU_DEP_1)
	v_cvt_f32_u32_e32 v3, v3
	v_ldexp_f32 v16, v3, v1
	s_branch .LBB19_1215
.LBB19_1213:
	s_mov_b32 s1, -1
                                        ; implicit-def: $vgpr16
.LBB19_1214:
	s_mov_b32 s13, 0
.LBB19_1215:
	s_delay_alu instid0(SALU_CYCLE_1)
	s_and_b32 vcc_lo, exec_lo, s13
	s_cbranch_vccz .LBB19_1233
; %bb.1216:
	s_cmp_lt_i32 s0, 27
	s_cbranch_scc1 .LBB19_1219
; %bb.1217:
	s_cmp_gt_i32 s0, 27
	s_cbranch_scc0 .LBB19_1220
; %bb.1218:
	global_load_b32 v1, v[8:9], off
	s_mov_b32 s12, 0
	s_wait_loadcnt 0x0
	v_cvt_f32_u32_e32 v16, v1
	s_branch .LBB19_1221
.LBB19_1219:
	s_mov_b32 s12, -1
                                        ; implicit-def: $vgpr16
	s_branch .LBB19_1224
.LBB19_1220:
	s_mov_b32 s12, -1
                                        ; implicit-def: $vgpr16
.LBB19_1221:
	s_delay_alu instid0(SALU_CYCLE_1)
	s_and_not1_b32 vcc_lo, exec_lo, s12
	s_cbranch_vccnz .LBB19_1223
; %bb.1222:
	global_load_u16 v1, v[8:9], off
	s_wait_loadcnt 0x0
	v_cvt_f32_u32_e32 v16, v1
.LBB19_1223:
	s_mov_b32 s12, 0
.LBB19_1224:
	s_delay_alu instid0(SALU_CYCLE_1)
	s_and_not1_b32 vcc_lo, exec_lo, s12
	s_cbranch_vccnz .LBB19_1232
; %bb.1225:
	global_load_u8 v1, v[8:9], off
	s_mov_b32 s12, 0
	s_mov_b32 s13, exec_lo
	s_wait_loadcnt 0x0
	v_cmpx_lt_i16_e32 0x7f, v1
	s_xor_b32 s13, exec_lo, s13
	s_cbranch_execz .LBB19_1245
; %bb.1226:
	s_mov_b32 s12, -1
	s_mov_b32 s14, exec_lo
	v_cmpx_eq_u16_e32 0x80, v1
; %bb.1227:
	s_xor_b32 s12, exec_lo, -1
; %bb.1228:
	s_or_b32 exec_lo, exec_lo, s14
	s_delay_alu instid0(SALU_CYCLE_1)
	s_and_b32 s12, s12, exec_lo
	s_or_saveexec_b32 s13, s13
	v_mov_b32_e32 v16, 0x7f800001
	s_xor_b32 exec_lo, exec_lo, s13
	s_cbranch_execnz .LBB19_1246
.LBB19_1229:
	s_or_b32 exec_lo, exec_lo, s13
	s_and_saveexec_b32 s13, s12
	s_cbranch_execz .LBB19_1231
.LBB19_1230:
	v_and_b32_e32 v3, 0xffff, v1
	s_delay_alu instid0(VALU_DEP_1) | instskip(SKIP_1) | instid1(VALU_DEP_2)
	v_dual_lshlrev_b32 v1, 24, v1 :: v_dual_bitop2_b32 v5, 7, v3 bitop3:0x40
	v_bfe_u32 v13, v3, 3, 4
	v_and_b32_e32 v1, 0x80000000, v1
	s_delay_alu instid0(VALU_DEP_3) | instskip(NEXT) | instid1(VALU_DEP_3)
	v_clz_i32_u32_e32 v7, v5
	v_cmp_eq_u32_e32 vcc_lo, 0, v13
	s_delay_alu instid0(VALU_DEP_2) | instskip(NEXT) | instid1(VALU_DEP_1)
	v_min_u32_e32 v7, 32, v7
	v_subrev_nc_u32_e32 v11, 28, v7
	v_sub_nc_u32_e32 v7, 29, v7
	s_delay_alu instid0(VALU_DEP_2) | instskip(NEXT) | instid1(VALU_DEP_2)
	v_lshlrev_b32_e32 v3, v11, v3
	v_cndmask_b32_e32 v7, v13, v7, vcc_lo
	s_delay_alu instid0(VALU_DEP_2) | instskip(NEXT) | instid1(VALU_DEP_1)
	v_and_b32_e32 v3, 7, v3
	v_cndmask_b32_e32 v3, v5, v3, vcc_lo
	s_delay_alu instid0(VALU_DEP_3) | instskip(NEXT) | instid1(VALU_DEP_2)
	v_lshl_add_u32 v5, v7, 23, 0x3b800000
	v_lshlrev_b32_e32 v3, 20, v3
	s_delay_alu instid0(VALU_DEP_1)
	v_or3_b32 v16, v1, v5, v3
.LBB19_1231:
	s_or_b32 exec_lo, exec_lo, s13
.LBB19_1232:
	s_mov_b32 s12, -1
.LBB19_1233:
	s_branch .LBB19_1265
.LBB19_1234:
	s_cmp_gt_i32 s0, 22
	s_cbranch_scc0 .LBB19_1244
; %bb.1235:
	s_cmp_lt_i32 s0, 24
	s_cbranch_scc1 .LBB19_1247
; %bb.1236:
	s_cmp_gt_i32 s0, 24
	s_cbranch_scc0 .LBB19_1248
; %bb.1237:
	global_load_u8 v1, v[8:9], off
	s_mov_b32 s12, exec_lo
	s_wait_loadcnt 0x0
	v_cmpx_lt_i16_e32 0x7f, v1
	s_xor_b32 s12, exec_lo, s12
	s_cbranch_execz .LBB19_1259
; %bb.1238:
	s_mov_b32 s11, -1
	s_mov_b32 s13, exec_lo
	v_cmpx_eq_u16_e32 0x80, v1
; %bb.1239:
	s_xor_b32 s11, exec_lo, -1
; %bb.1240:
	s_or_b32 exec_lo, exec_lo, s13
	s_delay_alu instid0(SALU_CYCLE_1)
	s_and_b32 s11, s11, exec_lo
	s_or_saveexec_b32 s12, s12
	v_mov_b32_e32 v16, 0x7f800001
	s_xor_b32 exec_lo, exec_lo, s12
	s_cbranch_execnz .LBB19_1260
.LBB19_1241:
	s_or_b32 exec_lo, exec_lo, s12
	s_and_saveexec_b32 s12, s11
	s_cbranch_execz .LBB19_1243
.LBB19_1242:
	v_and_b32_e32 v3, 0xffff, v1
	s_delay_alu instid0(VALU_DEP_1) | instskip(SKIP_1) | instid1(VALU_DEP_2)
	v_dual_lshlrev_b32 v1, 24, v1 :: v_dual_bitop2_b32 v5, 3, v3 bitop3:0x40
	v_bfe_u32 v13, v3, 2, 5
	v_and_b32_e32 v1, 0x80000000, v1
	s_delay_alu instid0(VALU_DEP_3) | instskip(NEXT) | instid1(VALU_DEP_3)
	v_clz_i32_u32_e32 v7, v5
	v_cmp_eq_u32_e32 vcc_lo, 0, v13
	s_delay_alu instid0(VALU_DEP_2) | instskip(NEXT) | instid1(VALU_DEP_1)
	v_min_u32_e32 v7, 32, v7
	v_subrev_nc_u32_e32 v11, 29, v7
	v_sub_nc_u32_e32 v7, 30, v7
	s_delay_alu instid0(VALU_DEP_2) | instskip(NEXT) | instid1(VALU_DEP_2)
	v_lshlrev_b32_e32 v3, v11, v3
	v_cndmask_b32_e32 v7, v13, v7, vcc_lo
	s_delay_alu instid0(VALU_DEP_2) | instskip(NEXT) | instid1(VALU_DEP_1)
	v_and_b32_e32 v3, 3, v3
	v_cndmask_b32_e32 v3, v5, v3, vcc_lo
	s_delay_alu instid0(VALU_DEP_3) | instskip(NEXT) | instid1(VALU_DEP_2)
	v_lshl_add_u32 v5, v7, 23, 0x37800000
	v_lshlrev_b32_e32 v3, 21, v3
	s_delay_alu instid0(VALU_DEP_1)
	v_or3_b32 v16, v1, v5, v3
.LBB19_1243:
	s_or_b32 exec_lo, exec_lo, s12
	s_mov_b32 s11, 0
	s_branch .LBB19_1249
.LBB19_1244:
                                        ; implicit-def: $vgpr16
	s_mov_b32 s11, 0
	s_branch .LBB19_1255
.LBB19_1245:
	s_or_saveexec_b32 s13, s13
	v_mov_b32_e32 v16, 0x7f800001
	s_xor_b32 exec_lo, exec_lo, s13
	s_cbranch_execz .LBB19_1229
.LBB19_1246:
	v_cmp_ne_u16_e32 vcc_lo, 0, v1
	v_mov_b32_e32 v16, 0
	s_and_not1_b32 s12, s12, exec_lo
	s_and_b32 s14, vcc_lo, exec_lo
	s_delay_alu instid0(SALU_CYCLE_1)
	s_or_b32 s12, s12, s14
	s_or_b32 exec_lo, exec_lo, s13
	s_and_saveexec_b32 s13, s12
	s_cbranch_execnz .LBB19_1230
	s_branch .LBB19_1231
.LBB19_1247:
	s_mov_b32 s11, -1
                                        ; implicit-def: $vgpr16
	s_branch .LBB19_1252
.LBB19_1248:
	s_mov_b32 s11, -1
                                        ; implicit-def: $vgpr16
.LBB19_1249:
	s_delay_alu instid0(SALU_CYCLE_1)
	s_and_b32 vcc_lo, exec_lo, s11
	s_cbranch_vccz .LBB19_1251
; %bb.1250:
	global_load_u8 v1, v[8:9], off
	s_wait_loadcnt 0x0
	v_lshlrev_b32_e32 v1, 24, v1
	s_delay_alu instid0(VALU_DEP_1) | instskip(NEXT) | instid1(VALU_DEP_1)
	v_and_b32_e32 v3, 0x7f000000, v1
	v_clz_i32_u32_e32 v5, v3
	v_add_nc_u32_e32 v11, 0x1000000, v3
	v_cmp_ne_u32_e32 vcc_lo, 0, v3
	s_delay_alu instid0(VALU_DEP_3) | instskip(NEXT) | instid1(VALU_DEP_1)
	v_min_u32_e32 v5, 32, v5
	v_sub_nc_u32_e64 v5, v5, 4 clamp
	s_delay_alu instid0(VALU_DEP_1) | instskip(NEXT) | instid1(VALU_DEP_1)
	v_dual_lshlrev_b32 v7, v5, v3 :: v_dual_lshlrev_b32 v5, 23, v5
	v_lshrrev_b32_e32 v7, 4, v7
	s_delay_alu instid0(VALU_DEP_1) | instskip(NEXT) | instid1(VALU_DEP_1)
	v_dual_sub_nc_u32 v5, v7, v5 :: v_dual_ashrrev_i32 v7, 8, v11
	v_add_nc_u32_e32 v5, 0x3c000000, v5
	s_delay_alu instid0(VALU_DEP_1) | instskip(NEXT) | instid1(VALU_DEP_1)
	v_and_or_b32 v5, 0x7f800000, v7, v5
	v_cndmask_b32_e32 v3, 0, v5, vcc_lo
	s_delay_alu instid0(VALU_DEP_1)
	v_and_or_b32 v16, 0x80000000, v1, v3
.LBB19_1251:
	s_mov_b32 s11, 0
.LBB19_1252:
	s_delay_alu instid0(SALU_CYCLE_1)
	s_and_not1_b32 vcc_lo, exec_lo, s11
	s_cbranch_vccnz .LBB19_1254
; %bb.1253:
	global_load_u8 v1, v[8:9], off
	s_wait_loadcnt 0x0
	v_lshlrev_b32_e32 v3, 25, v1
	v_lshlrev_b16 v1, 8, v1
	s_delay_alu instid0(VALU_DEP_1) | instskip(SKIP_1) | instid1(VALU_DEP_2)
	v_and_or_b32 v7, 0x7f00, v1, 0.5
	v_bfe_i32 v1, v1, 0, 16
	v_add_f32_e32 v7, -0.5, v7
	v_lshrrev_b32_e32 v5, 4, v3
	v_cmp_gt_u32_e32 vcc_lo, 0x8000000, v3
	s_delay_alu instid0(VALU_DEP_2) | instskip(NEXT) | instid1(VALU_DEP_1)
	v_or_b32_e32 v5, 0x70000000, v5
	v_mul_f32_e32 v5, 0x7800000, v5
	s_delay_alu instid0(VALU_DEP_1) | instskip(NEXT) | instid1(VALU_DEP_1)
	v_cndmask_b32_e32 v3, v5, v7, vcc_lo
	v_and_or_b32 v16, 0x80000000, v1, v3
.LBB19_1254:
	s_mov_b32 s12, -1
	s_mov_b32 s11, 0
	s_cbranch_execnz .LBB19_1265
.LBB19_1255:
	s_cmp_gt_i32 s0, 14
	s_cbranch_scc0 .LBB19_1258
; %bb.1256:
	s_cmp_eq_u32 s0, 15
	s_cbranch_scc0 .LBB19_1261
; %bb.1257:
	global_load_u16 v1, v[8:9], off
	s_mov_b32 s1, 0
	s_mov_b32 s12, -1
	s_wait_loadcnt 0x0
	v_lshlrev_b32_e32 v16, 16, v1
	s_branch .LBB19_1263
.LBB19_1258:
	s_mov_b32 s11, -1
	s_branch .LBB19_1262
.LBB19_1259:
	s_or_saveexec_b32 s12, s12
	v_mov_b32_e32 v16, 0x7f800001
	s_xor_b32 exec_lo, exec_lo, s12
	s_cbranch_execz .LBB19_1241
.LBB19_1260:
	v_cmp_ne_u16_e32 vcc_lo, 0, v1
	v_mov_b32_e32 v16, 0
	s_and_not1_b32 s11, s11, exec_lo
	s_and_b32 s13, vcc_lo, exec_lo
	s_delay_alu instid0(SALU_CYCLE_1)
	s_or_b32 s11, s11, s13
	s_or_b32 exec_lo, exec_lo, s12
	s_and_saveexec_b32 s12, s11
	s_cbranch_execnz .LBB19_1242
	s_branch .LBB19_1243
.LBB19_1261:
	s_mov_b32 s1, -1
.LBB19_1262:
                                        ; implicit-def: $vgpr16
.LBB19_1263:
	s_and_b32 vcc_lo, exec_lo, s11
	s_mov_b32 s11, 0
	s_cbranch_vccz .LBB19_1265
; %bb.1264:
	s_cmp_lg_u32 s0, 11
	s_mov_b32 s11, -1
	s_cselect_b32 s1, -1, 0
.LBB19_1265:
	s_delay_alu instid0(SALU_CYCLE_1)
	s_and_b32 vcc_lo, exec_lo, s1
	s_mov_b32 s1, s8
	s_cbranch_vccnz .LBB19_1334
; %bb.1266:
	s_and_not1_b32 vcc_lo, exec_lo, s11
	s_cbranch_vccnz .LBB19_1268
.LBB19_1267:
	global_load_u8 v1, v[8:9], off
	s_mov_b32 s12, -1
	s_wait_loadcnt 0x0
	v_cmp_ne_u16_e32 vcc_lo, 0, v1
	v_cndmask_b32_e64 v16, 0, 1.0, vcc_lo
.LBB19_1268:
	s_branch .LBB19_1197
.LBB19_1269:
	s_and_b32 s0, 0xffff, s10
	s_delay_alu instid0(SALU_CYCLE_1)
	s_cmp_lt_i32 s0, 5
	s_cbranch_scc1 .LBB19_1274
; %bb.1270:
	s_cmp_lt_i32 s0, 8
	s_cbranch_scc1 .LBB19_1275
; %bb.1271:
	;; [unrolled: 3-line block ×3, first 2 shown]
	s_cmp_gt_i32 s0, 9
	s_cbranch_scc0 .LBB19_1277
; %bb.1273:
	global_load_b64 v[16:17], v[8:9], off
	s_mov_b32 s11, 0
	s_wait_loadcnt 0x0
	v_cvt_f32_f64_e32 v16, v[16:17]
	s_branch .LBB19_1278
.LBB19_1274:
                                        ; implicit-def: $vgpr16
	s_branch .LBB19_1295
.LBB19_1275:
                                        ; implicit-def: $vgpr16
	s_branch .LBB19_1284
.LBB19_1276:
	s_mov_b32 s11, -1
                                        ; implicit-def: $vgpr16
	s_branch .LBB19_1281
.LBB19_1277:
	s_mov_b32 s11, -1
                                        ; implicit-def: $vgpr16
.LBB19_1278:
	s_delay_alu instid0(SALU_CYCLE_1)
	s_and_not1_b32 vcc_lo, exec_lo, s11
	s_cbranch_vccnz .LBB19_1280
; %bb.1279:
	global_load_b32 v16, v[8:9], off
.LBB19_1280:
	s_mov_b32 s11, 0
.LBB19_1281:
	s_delay_alu instid0(SALU_CYCLE_1)
	s_and_not1_b32 vcc_lo, exec_lo, s11
	s_cbranch_vccnz .LBB19_1283
; %bb.1282:
	global_load_b32 v1, v[8:9], off
	s_wait_loadcnt 0x0
	v_cvt_f32_f16_e32 v16, v1
.LBB19_1283:
	s_cbranch_execnz .LBB19_1294
.LBB19_1284:
	s_cmp_lt_i32 s0, 6
	s_cbranch_scc1 .LBB19_1287
; %bb.1285:
	s_cmp_gt_i32 s0, 6
	s_cbranch_scc0 .LBB19_1288
; %bb.1286:
	s_wait_loadcnt 0x0
	global_load_b64 v[16:17], v[8:9], off
	s_mov_b32 s11, 0
	s_wait_loadcnt 0x0
	v_cvt_f32_f64_e32 v16, v[16:17]
	s_branch .LBB19_1289
.LBB19_1287:
	s_mov_b32 s11, -1
                                        ; implicit-def: $vgpr16
	s_branch .LBB19_1292
.LBB19_1288:
	s_mov_b32 s11, -1
                                        ; implicit-def: $vgpr16
.LBB19_1289:
	s_delay_alu instid0(SALU_CYCLE_1)
	s_and_not1_b32 vcc_lo, exec_lo, s11
	s_cbranch_vccnz .LBB19_1291
; %bb.1290:
	s_wait_loadcnt 0x0
	global_load_b32 v16, v[8:9], off
.LBB19_1291:
	s_mov_b32 s11, 0
.LBB19_1292:
	s_delay_alu instid0(SALU_CYCLE_1)
	s_and_not1_b32 vcc_lo, exec_lo, s11
	s_cbranch_vccnz .LBB19_1294
; %bb.1293:
	global_load_u16 v1, v[8:9], off
	s_wait_loadcnt 0x0
	v_cvt_f32_f16_e32 v16, v1
.LBB19_1294:
	s_cbranch_execnz .LBB19_1313
.LBB19_1295:
	s_cmp_lt_i32 s0, 2
	s_cbranch_scc1 .LBB19_1299
; %bb.1296:
	s_cmp_lt_i32 s0, 3
	s_cbranch_scc1 .LBB19_1300
; %bb.1297:
	s_cmp_gt_i32 s0, 3
	s_cbranch_scc0 .LBB19_1301
; %bb.1298:
	s_wait_loadcnt 0x0
	global_load_b64 v[16:17], v[8:9], off
	s_mov_b32 s11, 0
	s_wait_loadcnt 0x0
	v_xor_b32_e32 v1, v16, v17
	v_cls_i32_e32 v3, v17
	s_delay_alu instid0(VALU_DEP_2) | instskip(NEXT) | instid1(VALU_DEP_1)
	v_ashrrev_i32_e32 v1, 31, v1
	v_add_nc_u32_e32 v1, 32, v1
	s_delay_alu instid0(VALU_DEP_1) | instskip(NEXT) | instid1(VALU_DEP_1)
	v_add_min_u32_e64 v1, v3, -1, v1
	v_lshlrev_b64_e32 v[16:17], v1, v[16:17]
	v_sub_nc_u32_e32 v1, 32, v1
	s_delay_alu instid0(VALU_DEP_2) | instskip(NEXT) | instid1(VALU_DEP_1)
	v_min_u32_e32 v3, 1, v16
	v_or_b32_e32 v3, v17, v3
	s_delay_alu instid0(VALU_DEP_1) | instskip(NEXT) | instid1(VALU_DEP_1)
	v_cvt_f32_i32_e32 v3, v3
	v_ldexp_f32 v16, v3, v1
	s_branch .LBB19_1302
.LBB19_1299:
                                        ; implicit-def: $vgpr16
	s_branch .LBB19_1308
.LBB19_1300:
	s_mov_b32 s11, -1
                                        ; implicit-def: $vgpr16
	s_branch .LBB19_1305
.LBB19_1301:
	s_mov_b32 s11, -1
                                        ; implicit-def: $vgpr16
.LBB19_1302:
	s_delay_alu instid0(SALU_CYCLE_1)
	s_and_not1_b32 vcc_lo, exec_lo, s11
	s_cbranch_vccnz .LBB19_1304
; %bb.1303:
	global_load_b32 v1, v[8:9], off
	s_wait_loadcnt 0x0
	v_cvt_f32_i32_e32 v16, v1
.LBB19_1304:
	s_mov_b32 s11, 0
.LBB19_1305:
	s_delay_alu instid0(SALU_CYCLE_1)
	s_and_not1_b32 vcc_lo, exec_lo, s11
	s_cbranch_vccnz .LBB19_1307
; %bb.1306:
	global_load_i16 v1, v[8:9], off
	s_wait_loadcnt 0x0
	v_cvt_f32_i32_e32 v16, v1
.LBB19_1307:
	s_cbranch_execnz .LBB19_1313
.LBB19_1308:
	s_cmp_gt_i32 s0, 0
	s_mov_b32 s0, 0
	s_cbranch_scc0 .LBB19_1310
; %bb.1309:
	global_load_i8 v1, v[8:9], off
	s_wait_loadcnt 0x0
	v_cvt_f32_i32_e32 v16, v1
	s_branch .LBB19_1311
.LBB19_1310:
	s_mov_b32 s0, -1
                                        ; implicit-def: $vgpr16
.LBB19_1311:
	s_delay_alu instid0(SALU_CYCLE_1)
	s_and_not1_b32 vcc_lo, exec_lo, s0
	s_cbranch_vccnz .LBB19_1313
; %bb.1312:
	global_load_u8 v1, v[8:9], off
	s_wait_loadcnt 0x0
	v_cvt_f32_ubyte0_e32 v16, v1
.LBB19_1313:
.LBB19_1314:
	s_wait_xcnt 0x0
	v_mov_b32_e32 v8, 0x7f800000
	s_mov_b32 s11, exec_lo
	s_wait_loadcnt 0x0
	s_delay_alu instid0(VALU_DEP_2)
	v_cmpx_neq_f32_e32 0, v16
	s_cbranch_execz .LBB19_1322
; %bb.1315:
	v_mov_b32_e32 v8, 0x7fc00000
	s_mov_b32 s12, exec_lo
	v_cmpx_ngt_f32_e32 0, v16
	s_cbranch_execz .LBB19_1321
; %bb.1316:
                                        ; implicit-def: $vgpr8
	s_mov_b32 s0, exec_lo
	v_cmpx_ge_f32_e32 2.0, v16
	s_xor_b32 s13, exec_lo, s0
	s_cbranch_execz .LBB19_1318
; %bb.1317:
	v_mov_b32_e32 v17, 0.5
	s_mov_b32 s0, 0xa2a2e5b9
	v_mov_b64_e32 v[20:21], 0x3ad6e3ac293fd856
	v_mov_b64_e32 v[24:25], 0xbb8db2f12d3612e2
	;; [unrolled: 1-line block ×3, first 2 shown]
	v_pk_fma_f32 v[8:9], v[16:17], v[16:17], -2.0 op_sel_hi:[0,1,0]
	s_delay_alu instid0(VALU_DEP_1) | instskip(NEXT) | instid1(VALU_DEP_2)
	v_fmaak_f32 v1, s0, v9, 0x24199b15
	v_mul_f32_e32 v22, 0x251e770f, v8
	s_mov_b32 s0, 0xa51e770f
	s_delay_alu instid0(VALU_DEP_2) | instskip(NEXT) | instid1(VALU_DEP_1)
	v_fmaak_f32 v3, v9, v1, 0x22a2e5b9
	v_add_f32_e32 v3, 0xa58c275c, v3
	s_delay_alu instid0(VALU_DEP_1) | instskip(SKIP_1) | instid1(VALU_DEP_2)
	v_fma_f32 v1, v9, v3, -v1
	v_pk_mul_f32 v[26:27], v[16:17], v[16:17] op_sel_hi:[0,1]
	v_add_f32_e32 v1, 0x26f736c5, v1
	s_delay_alu instid0(VALU_DEP_2) | instskip(NEXT) | instid1(VALU_DEP_2)
	v_cmp_gt_f32_e32 vcc_lo, 0x800000, v27
	v_fma_f32 v3, v9, v1, -v3
	v_cndmask_b32_e64 v7, 0, 32, vcc_lo
	s_delay_alu instid0(VALU_DEP_2) | instskip(NEXT) | instid1(VALU_DEP_2)
	v_add_f32_e32 v3, 0xa8528116, v3
	v_ldexp_f32 v7, v27, v7
	s_delay_alu instid0(VALU_DEP_2) | instskip(NEXT) | instid1(VALU_DEP_1)
	v_fma_f32 v1, v9, v3, -v1
	v_add_f32_e32 v1, 0x29acda32, v1
	s_delay_alu instid0(VALU_DEP_1) | instskip(NEXT) | instid1(VALU_DEP_1)
	v_fma_f32 v3, v9, v1, -v3
	v_add_f32_e32 v3, 0xab08b263, v3
	s_delay_alu instid0(VALU_DEP_1) | instskip(NEXT) | instid1(VALU_DEP_1)
	;; [unrolled: 3-line block ×15, first 2 shown]
	v_fma_f32 v3, v9, v1, -v3
	v_add_f32_e32 v19, 0xba1717e9, v3
	s_delay_alu instid0(VALU_DEP_1) | instskip(SKIP_1) | instid1(VALU_DEP_2)
	v_fma_f32 v23, v9, v19, -v1
	v_mul_f32_e32 v1, 0x3fb8aa3b, v16
	v_pk_add_f32 v[20:21], v[22:23], v[20:21]
	s_delay_alu instid0(VALU_DEP_2)
	v_rndne_f32_e32 v3, v1
	v_mov_b32_e32 v18, 0xa51e770f
	v_mov_b64_e32 v[22:23], s[0:1]
	v_fma_f32 v5, 0x3fb8aa3b, v16, -v1
	v_cmp_ngt_f32_e64 s0, 0xc2ce8ed0, v16
	v_sub_f32_e32 v1, v1, v3
	v_pk_fma_f32 v[18:19], v[8:9], v[20:21], v[18:19] neg_lo:[0,0,1] neg_hi:[0,0,1]
	v_cvt_i32_f32_e32 v3, v3
	v_fmamk_f32 v5, v16, 0x32a5705f, v5
	v_pk_fma_f32 v[22:23], v[8:9], v[20:21], v[22:23]
	s_delay_alu instid0(VALU_DEP_2) | instskip(SKIP_1) | instid1(VALU_DEP_1)
	v_dual_mov_b32 v23, v19 :: v_dual_add_f32 v1, v1, v5
	v_log_f32_e32 v5, v7
	v_pk_add_f32 v[18:19], v[22:23], v[24:25]
	v_mov_b64_e32 v[22:23], 0x3c2ccb103102e09b
	v_mov_b64_e32 v[24:25], 0xc000000037bfc808
	s_delay_alu instid0(VALU_DEP_3) | instskip(NEXT) | instid1(TRANS32_DEP_1)
	v_pk_fma_f32 v[20:21], v[8:9], v[18:19], v[20:21] neg_lo:[0,0,1] neg_hi:[0,0,1]
	v_mul_f32_e32 v11, 0x3f317217, v5
	s_delay_alu instid0(VALU_DEP_2) | instskip(SKIP_1) | instid1(VALU_DEP_2)
	v_pk_add_f32 v[20:21], v[20:21], v[22:23]
	v_mov_b64_e32 v[22:23], 0xbcc274f8348815e7
	v_pk_fma_f32 v[18:19], v[8:9], v[20:21], v[18:19] neg_lo:[0,0,1] neg_hi:[0,0,1]
	s_delay_alu instid0(VALU_DEP_1) | instskip(SKIP_1) | instid1(VALU_DEP_2)
	v_pk_add_f32 v[18:19], v[18:19], v[22:23]
	v_mov_b64_e32 v[22:23], 0x3d49f45637bfc808
	v_pk_fma_f32 v[20:21], v[8:9], v[18:19], v[20:21] neg_lo:[0,0,1] neg_hi:[0,0,1]
	s_delay_alu instid0(VALU_DEP_1) | instskip(NEXT) | instid1(VALU_DEP_2)
	v_mov_b32_e32 v26, v20
	v_pk_add_f32 v[20:21], v[20:21], v[22:23]
	v_mov_b32_e32 v22, v8
	s_delay_alu instid0(VALU_DEP_3) | instskip(NEXT) | instid1(VALU_DEP_3)
	v_pk_add_f32 v[24:25], v[26:27], v[24:25]
	v_mov_b32_e32 v23, v21
	s_delay_alu instid0(VALU_DEP_1) | instskip(SKIP_1) | instid1(VALU_DEP_2)
	v_pk_fma_f32 v[18:19], v[24:25], v[22:23], v[18:19] neg_lo:[0,0,1] neg_hi:[0,0,1]
	v_mov_b64_e32 v[22:23], 0x3e2fbd643d135fb3
	v_pk_add_f32 v[18:19], v[18:19], v[28:29]
	s_delay_alu instid0(VALU_DEP_1) | instskip(NEXT) | instid1(VALU_DEP_1)
	v_pk_fma_f32 v[20:21], v[8:9], v[18:19], v[20:21] neg_lo:[0,0,1] neg_hi:[0,0,1]
	v_pk_add_f32 v[20:21], v[20:21], v[22:23]
	s_delay_alu instid0(VALU_DEP_1) | instskip(NEXT) | instid1(VALU_DEP_1)
	v_pk_fma_f32 v[18:19], v[8:9], v[20:21], v[18:19] neg_lo:[0,0,1] neg_hi:[0,0,1]
	v_dual_mov_b32 v22, v20 :: v_dual_add_f32 v7, 0xbe9bff5e, v19
	s_delay_alu instid0(VALU_DEP_2) | instskip(SKIP_2) | instid1(VALU_DEP_2)
	v_add_f32_e32 v13, 0x3eb046c4, v18
	v_mov_b32_e32 v18, 0xbf090b37
	v_exp_f32_e32 v1, v1
	v_dual_fma_f32 v7, v9, v7, -v21 :: v_dual_mul_f32 v8, v8, v13
	s_delay_alu instid0(TRANS32_DEP_1) | instskip(SKIP_1) | instid1(VALU_DEP_3)
	v_ldexp_f32 v1, v1, v3
	v_fma_f32 v3, 0x3f317217, v5, -v11
	v_add_f32_e32 v9, 0x3f2d4275, v7
	s_delay_alu instid0(VALU_DEP_3) | instskip(NEXT) | instid1(VALU_DEP_3)
	v_cndmask_b32_e64 v1, 0, v1, s0
	v_fmamk_f32 v3, v5, 0x3377d1cf, v3
	s_delay_alu instid0(VALU_DEP_3) | instskip(SKIP_1) | instid1(VALU_DEP_3)
	v_pk_add_f32 v[8:9], v[8:9], v[20:21] neg_lo:[0,1] neg_hi:[0,1]
	v_cmp_nlt_f32_e64 s0, 0x42b17218, v16
	v_fmac_f32_e32 v3, 0x3f317217, v5
	s_delay_alu instid0(VALU_DEP_3) | instskip(NEXT) | instid1(VALU_DEP_3)
	v_pk_mul_f32 v[24:25], v[8:9], v[16:17]
	v_cndmask_b32_e64 v23, 0x7f800000, v1, s0
	v_cndmask_b32_e64 v1, 0, 0x41b17218, vcc_lo
	v_cmp_gt_f32_e64 vcc_lo, 0x7f800000, |v5|
	v_pk_add_f32 v[8:9], v[8:9], v[18:19]
                                        ; implicit-def: $vgpr16
	s_delay_alu instid0(VALU_DEP_4) | instskip(SKIP_2) | instid1(VALU_DEP_4)
	v_pk_mul_f32 v[18:19], v[24:25], v[22:23]
	v_mov_b32_e32 v24, v17
	v_cndmask_b32_e32 v3, v5, v3, vcc_lo
	v_pk_add_f32 v[8:9], v[8:9], v[20:21] neg_lo:[0,1] neg_hi:[0,1]
	s_delay_alu instid0(VALU_DEP_4) | instskip(NEXT) | instid1(VALU_DEP_3)
	v_mov_b32_e32 v9, v19
	v_sub_f32_e32 v25, v3, v1
	s_delay_alu instid0(VALU_DEP_1) | instskip(NEXT) | instid1(VALU_DEP_1)
	v_pk_mul_f32 v[8:9], v[24:25], v[8:9]
	v_sub_f32_e32 v1, v8, v9
	s_delay_alu instid0(VALU_DEP_1)
	v_mul_f32_e32 v8, v23, v1
.LBB19_1318:
	s_and_not1_saveexec_b32 s13, s13
	s_cbranch_execz .LBB19_1320
; %bb.1319:
	v_div_scale_f32 v1, null, v16, v16, 0x41000000
	v_div_scale_f32 v7, vcc_lo, 0x41000000, v16, 0x41000000
	s_mov_b32 s0, 0x22c38d2e
	v_rcp_f32_e32 v3, v1
	v_nop
	s_delay_alu instid0(TRANS32_DEP_1) | instskip(NEXT) | instid1(VALU_DEP_1)
	v_fma_f32 v5, -v1, v3, 1.0
	v_fmac_f32_e32 v3, v5, v3
	s_delay_alu instid0(VALU_DEP_1) | instskip(NEXT) | instid1(VALU_DEP_1)
	v_mul_f32_e32 v5, v7, v3
	v_fma_f32 v8, -v1, v5, v7
	s_delay_alu instid0(VALU_DEP_1) | instskip(NEXT) | instid1(VALU_DEP_1)
	v_fmac_f32_e32 v5, v8, v3
	v_fma_f32 v1, -v1, v5, v7
	v_mul_f32_e32 v7, 0x4f800000, v16
	s_delay_alu instid0(VALU_DEP_2) | instskip(SKIP_1) | instid1(VALU_DEP_2)
	v_div_fmas_f32 v1, v1, v3, v5
	v_cmp_gt_f32_e32 vcc_lo, 0xf800000, v16
	v_div_fixup_f32 v1, v1, v16, 0x41000000
	s_delay_alu instid0(VALU_DEP_1) | instskip(NEXT) | instid1(VALU_DEP_1)
	v_dual_cndmask_b32 v7, v16, v7, vcc_lo :: v_dual_add_f32 v1, -2.0, v1
	v_sqrt_f32_e32 v8, v7
	s_delay_alu instid0(VALU_DEP_1) | instskip(NEXT) | instid1(TRANS32_DEP_1)
	v_fmaak_f32 v3, s0, v1, 0xa397f665
	v_dual_add_nc_u32 v9, -1, v8 :: v_dual_add_nc_u32 v11, 1, v8
	s_delay_alu instid0(VALU_DEP_2) | instskip(NEXT) | instid1(VALU_DEP_2)
	v_fmaak_f32 v5, v1, v3, 0xa2c38d2e
	v_dual_fma_f32 v13, -v9, v8, v7 :: v_dual_fma_f32 v15, -v11, v8, v7
	s_delay_alu instid0(VALU_DEP_2) | instskip(NEXT) | instid1(VALU_DEP_2)
	v_add_f32_e32 v5, 0x24704972, v5
	v_cmp_ge_f32_e64 s0, 0, v13
	s_delay_alu instid0(VALU_DEP_2) | instskip(NEXT) | instid1(VALU_DEP_2)
	v_fma_f32 v3, v1, v5, -v3
	v_cndmask_b32_e64 v8, v8, v9, s0
	v_cmp_lt_f32_e64 s0, 0, v15
	s_delay_alu instid0(VALU_DEP_3) | instskip(NEXT) | instid1(VALU_DEP_2)
	v_add_f32_e32 v3, 0xa5417ca4, v3
	v_cndmask_b32_e64 v8, v8, v11, s0
	s_delay_alu instid0(VALU_DEP_2) | instskip(NEXT) | instid1(VALU_DEP_1)
	v_fma_f32 v5, v1, v3, -v5
	v_add_f32_e32 v5, 0x261edfcb, v5
	s_delay_alu instid0(VALU_DEP_1) | instskip(NEXT) | instid1(VALU_DEP_1)
	v_fma_f32 v3, v1, v5, -v3
	v_add_f32_e32 v3, 0xa7053487, v3
	s_delay_alu instid0(VALU_DEP_1) | instskip(NEXT) | instid1(VALU_DEP_1)
	;; [unrolled: 3-line block ×19, first 2 shown]
	v_fma_f32 v3, v1, v5, -v3
	v_add_f32_e32 v3, 0xbd00cfb9, v3
	s_delay_alu instid0(VALU_DEP_1) | instskip(SKIP_1) | instid1(VALU_DEP_2)
	v_fma_f32 v1, v1, v3, -v5
	v_mul_f32_e32 v3, 0x37800000, v8
	v_add_f32_e32 v1, 0x401c2ded, v1
	s_delay_alu instid0(VALU_DEP_2) | instskip(SKIP_1) | instid1(VALU_DEP_1)
	v_cndmask_b32_e32 v3, v8, v3, vcc_lo
	v_cmp_class_f32_e64 vcc_lo, v7, 0x260
	v_dual_sub_f32 v1, v1, v5 :: v_dual_cndmask_b32 v3, v3, v7, vcc_lo
	s_delay_alu instid0(VALU_DEP_1) | instskip(NEXT) | instid1(VALU_DEP_1)
	v_mul_f32_e32 v1, 0.5, v1
	v_div_scale_f32 v5, null, v3, v3, v1
	s_delay_alu instid0(VALU_DEP_1) | instskip(SKIP_1) | instid1(TRANS32_DEP_1)
	v_rcp_f32_e32 v7, v5
	v_nop
	v_fma_f32 v8, -v5, v7, 1.0
	s_delay_alu instid0(VALU_DEP_1) | instskip(SKIP_1) | instid1(VALU_DEP_1)
	v_fmac_f32_e32 v7, v8, v7
	v_div_scale_f32 v8, vcc_lo, v1, v3, v1
	v_mul_f32_e32 v9, v8, v7
	s_delay_alu instid0(VALU_DEP_1) | instskip(NEXT) | instid1(VALU_DEP_1)
	v_fma_f32 v11, -v5, v9, v8
	v_fmac_f32_e32 v9, v11, v7
	s_delay_alu instid0(VALU_DEP_1) | instskip(NEXT) | instid1(VALU_DEP_1)
	v_fma_f32 v5, -v5, v9, v8
	v_div_fmas_f32 v5, v5, v7, v9
	s_delay_alu instid0(VALU_DEP_1)
	v_div_fixup_f32 v8, v5, v3, v1
.LBB19_1320:
	s_or_b32 exec_lo, exec_lo, s13
.LBB19_1321:
	s_delay_alu instid0(SALU_CYCLE_1)
	s_or_b32 exec_lo, exec_lo, s12
.LBB19_1322:
	s_delay_alu instid0(SALU_CYCLE_1) | instskip(SKIP_2) | instid1(SALU_CYCLE_1)
	s_or_b32 exec_lo, exec_lo, s11
	v_mov_b32_e32 v11, 0
	s_and_b32 s10, 0xffff, s10
	s_cmp_lt_i32 s10, 11
	s_delay_alu instid0(VALU_DEP_1)
	v_add_nc_u64_e32 v[10:11], s[6:7], v[10:11]
	s_cbranch_scc1 .LBB19_1329
; %bb.1323:
	s_cmp_gt_i32 s10, 25
	s_mov_b32 s11, 0
	s_cbranch_scc0 .LBB19_1331
; %bb.1324:
	s_cmp_gt_i32 s10, 28
	s_cbranch_scc0 .LBB19_1332
; %bb.1325:
	s_cmp_gt_i32 s10, 43
	;; [unrolled: 3-line block ×3, first 2 shown]
	s_cbranch_scc0 .LBB19_1335
; %bb.1327:
	s_cmp_eq_u32 s10, 46
	s_mov_b32 s13, 0
	s_cbranch_scc0 .LBB19_1338
; %bb.1328:
	global_load_b32 v1, v[10:11], off
	s_mov_b32 s0, 0
	s_mov_b32 s12, -1
	s_wait_loadcnt 0x0
	v_lshlrev_b32_e32 v16, 16, v1
	s_branch .LBB19_1340
.LBB19_1329:
	s_mov_b32 s12, 0
                                        ; implicit-def: $vgpr16
	s_cbranch_execnz .LBB19_1405
.LBB19_1330:
	s_and_not1_b32 vcc_lo, exec_lo, s12
	s_cbranch_vccnz .LBB19_1815
	s_branch .LBB19_1452
.LBB19_1331:
	s_mov_b32 s12, 0
	s_mov_b32 s0, 0
                                        ; implicit-def: $vgpr16
	s_cbranch_execnz .LBB19_1369
	s_branch .LBB19_1401
.LBB19_1332:
	s_mov_b32 s13, -1
	s_mov_b32 s12, 0
	s_mov_b32 s0, 0
                                        ; implicit-def: $vgpr16
	s_branch .LBB19_1350
.LBB19_1333:
	s_mov_b32 s13, -1
	s_mov_b32 s12, 0
	s_mov_b32 s0, 0
                                        ; implicit-def: $vgpr16
	s_branch .LBB19_1345
.LBB19_1334:
	s_or_b32 s1, s8, exec_lo
	s_trap 2
	s_cbranch_execz .LBB19_1267
	s_branch .LBB19_1268
.LBB19_1335:
	s_mov_b32 s13, -1
	s_mov_b32 s12, 0
	s_mov_b32 s0, 0
	s_branch .LBB19_1339
.LBB19_1336:
	s_and_not1_saveexec_b32 s10, s10
	s_cbranch_execz .LBB19_1053
.LBB19_1337:
	v_add_f32_e64 v1, 0x42800000, |v0|
	s_and_not1_b32 s9, s9, exec_lo
	s_delay_alu instid0(VALU_DEP_1) | instskip(NEXT) | instid1(VALU_DEP_1)
	v_and_b32_e32 v1, 0xff, v1
	v_cmp_ne_u32_e32 vcc_lo, 0, v1
	s_and_b32 s11, vcc_lo, exec_lo
	s_delay_alu instid0(SALU_CYCLE_1)
	s_or_b32 s9, s9, s11
	s_or_b32 exec_lo, exec_lo, s10
	v_mov_b32_e32 v2, 0
	s_and_saveexec_b32 s10, s9
	s_cbranch_execnz .LBB19_1054
	s_branch .LBB19_1055
.LBB19_1338:
	s_mov_b32 s0, -1
	s_mov_b32 s12, 0
.LBB19_1339:
                                        ; implicit-def: $vgpr16
.LBB19_1340:
	s_and_b32 vcc_lo, exec_lo, s13
	s_cbranch_vccz .LBB19_1344
; %bb.1341:
	s_cmp_eq_u32 s10, 44
	s_cbranch_scc0 .LBB19_1343
; %bb.1342:
	global_load_u8 v1, v[10:11], off
	s_mov_b32 s0, 0
	s_mov_b32 s12, -1
	s_wait_loadcnt 0x0
	v_lshlrev_b32_e32 v3, 23, v1
	v_cmp_ne_u32_e32 vcc_lo, 0xff, v1
	s_delay_alu instid0(VALU_DEP_2) | instskip(SKIP_1) | instid1(VALU_DEP_2)
	v_cndmask_b32_e32 v3, 0x7f800001, v3, vcc_lo
	v_cmp_ne_u32_e32 vcc_lo, 0, v1
	v_cndmask_b32_e32 v16, 0x400000, v3, vcc_lo
	s_branch .LBB19_1344
.LBB19_1343:
	s_mov_b32 s0, -1
                                        ; implicit-def: $vgpr16
.LBB19_1344:
	s_mov_b32 s13, 0
.LBB19_1345:
	s_delay_alu instid0(SALU_CYCLE_1)
	s_and_b32 vcc_lo, exec_lo, s13
	s_cbranch_vccz .LBB19_1349
; %bb.1346:
	s_cmp_eq_u32 s10, 29
	s_cbranch_scc0 .LBB19_1348
; %bb.1347:
	global_load_b64 v[16:17], v[10:11], off
	s_mov_b32 s0, 0
	s_mov_b32 s12, -1
	s_mov_b32 s13, 0
	s_wait_loadcnt 0x0
	v_clz_i32_u32_e32 v1, v17
	s_delay_alu instid0(VALU_DEP_1) | instskip(NEXT) | instid1(VALU_DEP_1)
	v_min_u32_e32 v1, 32, v1
	v_lshlrev_b64_e32 v[16:17], v1, v[16:17]
	v_sub_nc_u32_e32 v1, 32, v1
	s_delay_alu instid0(VALU_DEP_2) | instskip(NEXT) | instid1(VALU_DEP_1)
	v_min_u32_e32 v3, 1, v16
	v_or_b32_e32 v3, v17, v3
	s_delay_alu instid0(VALU_DEP_1) | instskip(NEXT) | instid1(VALU_DEP_1)
	v_cvt_f32_u32_e32 v3, v3
	v_ldexp_f32 v16, v3, v1
	s_branch .LBB19_1350
.LBB19_1348:
	s_mov_b32 s0, -1
                                        ; implicit-def: $vgpr16
.LBB19_1349:
	s_mov_b32 s13, 0
.LBB19_1350:
	s_delay_alu instid0(SALU_CYCLE_1)
	s_and_b32 vcc_lo, exec_lo, s13
	s_cbranch_vccz .LBB19_1368
; %bb.1351:
	s_cmp_lt_i32 s10, 27
	s_cbranch_scc1 .LBB19_1354
; %bb.1352:
	s_cmp_gt_i32 s10, 27
	s_cbranch_scc0 .LBB19_1355
; %bb.1353:
	global_load_b32 v1, v[10:11], off
	s_mov_b32 s12, 0
	s_wait_loadcnt 0x0
	v_cvt_f32_u32_e32 v16, v1
	s_branch .LBB19_1356
.LBB19_1354:
	s_mov_b32 s12, -1
                                        ; implicit-def: $vgpr16
	s_branch .LBB19_1359
.LBB19_1355:
	s_mov_b32 s12, -1
                                        ; implicit-def: $vgpr16
.LBB19_1356:
	s_delay_alu instid0(SALU_CYCLE_1)
	s_and_not1_b32 vcc_lo, exec_lo, s12
	s_cbranch_vccnz .LBB19_1358
; %bb.1357:
	global_load_u16 v1, v[10:11], off
	s_wait_loadcnt 0x0
	v_cvt_f32_u32_e32 v16, v1
.LBB19_1358:
	s_mov_b32 s12, 0
.LBB19_1359:
	s_delay_alu instid0(SALU_CYCLE_1)
	s_and_not1_b32 vcc_lo, exec_lo, s12
	s_cbranch_vccnz .LBB19_1367
; %bb.1360:
	global_load_u8 v1, v[10:11], off
	s_mov_b32 s12, 0
	s_mov_b32 s13, exec_lo
	s_wait_loadcnt 0x0
	v_cmpx_lt_i16_e32 0x7f, v1
	s_xor_b32 s13, exec_lo, s13
	s_cbranch_execz .LBB19_1380
; %bb.1361:
	s_mov_b32 s12, -1
	s_mov_b32 s14, exec_lo
	v_cmpx_eq_u16_e32 0x80, v1
; %bb.1362:
	s_xor_b32 s12, exec_lo, -1
; %bb.1363:
	s_or_b32 exec_lo, exec_lo, s14
	s_delay_alu instid0(SALU_CYCLE_1)
	s_and_b32 s12, s12, exec_lo
	s_or_saveexec_b32 s13, s13
	v_mov_b32_e32 v16, 0x7f800001
	s_xor_b32 exec_lo, exec_lo, s13
	s_cbranch_execnz .LBB19_1381
.LBB19_1364:
	s_or_b32 exec_lo, exec_lo, s13
	s_and_saveexec_b32 s13, s12
	s_cbranch_execz .LBB19_1366
.LBB19_1365:
	v_and_b32_e32 v3, 0xffff, v1
	s_delay_alu instid0(VALU_DEP_1) | instskip(SKIP_1) | instid1(VALU_DEP_2)
	v_dual_lshlrev_b32 v1, 24, v1 :: v_dual_bitop2_b32 v5, 7, v3 bitop3:0x40
	v_bfe_u32 v13, v3, 3, 4
	v_and_b32_e32 v1, 0x80000000, v1
	s_delay_alu instid0(VALU_DEP_3) | instskip(NEXT) | instid1(VALU_DEP_3)
	v_clz_i32_u32_e32 v7, v5
	v_cmp_eq_u32_e32 vcc_lo, 0, v13
	s_delay_alu instid0(VALU_DEP_2) | instskip(NEXT) | instid1(VALU_DEP_1)
	v_min_u32_e32 v7, 32, v7
	v_subrev_nc_u32_e32 v9, 28, v7
	v_sub_nc_u32_e32 v7, 29, v7
	s_delay_alu instid0(VALU_DEP_2) | instskip(NEXT) | instid1(VALU_DEP_2)
	v_lshlrev_b32_e32 v3, v9, v3
	v_cndmask_b32_e32 v7, v13, v7, vcc_lo
	s_delay_alu instid0(VALU_DEP_2) | instskip(NEXT) | instid1(VALU_DEP_1)
	v_and_b32_e32 v3, 7, v3
	v_cndmask_b32_e32 v3, v5, v3, vcc_lo
	s_delay_alu instid0(VALU_DEP_3) | instskip(NEXT) | instid1(VALU_DEP_2)
	v_lshl_add_u32 v5, v7, 23, 0x3b800000
	v_lshlrev_b32_e32 v3, 20, v3
	s_delay_alu instid0(VALU_DEP_1)
	v_or3_b32 v16, v1, v5, v3
.LBB19_1366:
	s_or_b32 exec_lo, exec_lo, s13
.LBB19_1367:
	s_mov_b32 s12, -1
.LBB19_1368:
	s_branch .LBB19_1401
.LBB19_1369:
	s_cmp_gt_i32 s10, 22
	s_cbranch_scc0 .LBB19_1379
; %bb.1370:
	s_cmp_lt_i32 s10, 24
	s_cbranch_scc1 .LBB19_1382
; %bb.1371:
	s_cmp_gt_i32 s10, 24
	s_cbranch_scc0 .LBB19_1383
; %bb.1372:
	global_load_u8 v1, v[10:11], off
	s_mov_b32 s12, exec_lo
	s_wait_loadcnt 0x0
	v_cmpx_lt_i16_e32 0x7f, v1
	s_xor_b32 s12, exec_lo, s12
	s_cbranch_execz .LBB19_1395
; %bb.1373:
	s_mov_b32 s11, -1
	s_mov_b32 s13, exec_lo
	v_cmpx_eq_u16_e32 0x80, v1
; %bb.1374:
	s_xor_b32 s11, exec_lo, -1
; %bb.1375:
	s_or_b32 exec_lo, exec_lo, s13
	s_delay_alu instid0(SALU_CYCLE_1)
	s_and_b32 s11, s11, exec_lo
	s_or_saveexec_b32 s12, s12
	v_mov_b32_e32 v16, 0x7f800001
	s_xor_b32 exec_lo, exec_lo, s12
	s_cbranch_execnz .LBB19_1396
.LBB19_1376:
	s_or_b32 exec_lo, exec_lo, s12
	s_and_saveexec_b32 s12, s11
	s_cbranch_execz .LBB19_1378
.LBB19_1377:
	v_and_b32_e32 v3, 0xffff, v1
	s_delay_alu instid0(VALU_DEP_1) | instskip(SKIP_1) | instid1(VALU_DEP_2)
	v_dual_lshlrev_b32 v1, 24, v1 :: v_dual_bitop2_b32 v5, 3, v3 bitop3:0x40
	v_bfe_u32 v13, v3, 2, 5
	v_and_b32_e32 v1, 0x80000000, v1
	s_delay_alu instid0(VALU_DEP_3) | instskip(NEXT) | instid1(VALU_DEP_3)
	v_clz_i32_u32_e32 v7, v5
	v_cmp_eq_u32_e32 vcc_lo, 0, v13
	s_delay_alu instid0(VALU_DEP_2) | instskip(NEXT) | instid1(VALU_DEP_1)
	v_min_u32_e32 v7, 32, v7
	v_subrev_nc_u32_e32 v9, 29, v7
	v_sub_nc_u32_e32 v7, 30, v7
	s_delay_alu instid0(VALU_DEP_2) | instskip(NEXT) | instid1(VALU_DEP_2)
	v_lshlrev_b32_e32 v3, v9, v3
	v_cndmask_b32_e32 v7, v13, v7, vcc_lo
	s_delay_alu instid0(VALU_DEP_2) | instskip(NEXT) | instid1(VALU_DEP_1)
	v_and_b32_e32 v3, 3, v3
	v_cndmask_b32_e32 v3, v5, v3, vcc_lo
	s_delay_alu instid0(VALU_DEP_3) | instskip(NEXT) | instid1(VALU_DEP_2)
	v_lshl_add_u32 v5, v7, 23, 0x37800000
	v_lshlrev_b32_e32 v3, 21, v3
	s_delay_alu instid0(VALU_DEP_1)
	v_or3_b32 v16, v1, v5, v3
.LBB19_1378:
	s_or_b32 exec_lo, exec_lo, s12
	s_mov_b32 s11, 0
	s_branch .LBB19_1384
.LBB19_1379:
	s_mov_b32 s11, -1
                                        ; implicit-def: $vgpr16
	s_branch .LBB19_1390
.LBB19_1380:
	s_or_saveexec_b32 s13, s13
	v_mov_b32_e32 v16, 0x7f800001
	s_xor_b32 exec_lo, exec_lo, s13
	s_cbranch_execz .LBB19_1364
.LBB19_1381:
	v_cmp_ne_u16_e32 vcc_lo, 0, v1
	v_mov_b32_e32 v16, 0
	s_and_not1_b32 s12, s12, exec_lo
	s_and_b32 s14, vcc_lo, exec_lo
	s_delay_alu instid0(SALU_CYCLE_1)
	s_or_b32 s12, s12, s14
	s_or_b32 exec_lo, exec_lo, s13
	s_and_saveexec_b32 s13, s12
	s_cbranch_execnz .LBB19_1365
	s_branch .LBB19_1366
.LBB19_1382:
	s_mov_b32 s11, -1
                                        ; implicit-def: $vgpr16
	s_branch .LBB19_1387
.LBB19_1383:
	s_mov_b32 s11, -1
                                        ; implicit-def: $vgpr16
.LBB19_1384:
	s_delay_alu instid0(SALU_CYCLE_1)
	s_and_b32 vcc_lo, exec_lo, s11
	s_cbranch_vccz .LBB19_1386
; %bb.1385:
	global_load_u8 v1, v[10:11], off
	s_wait_loadcnt 0x0
	v_lshlrev_b32_e32 v1, 24, v1
	s_delay_alu instid0(VALU_DEP_1) | instskip(NEXT) | instid1(VALU_DEP_1)
	v_and_b32_e32 v3, 0x7f000000, v1
	v_clz_i32_u32_e32 v5, v3
	v_add_nc_u32_e32 v9, 0x1000000, v3
	v_cmp_ne_u32_e32 vcc_lo, 0, v3
	s_delay_alu instid0(VALU_DEP_3) | instskip(NEXT) | instid1(VALU_DEP_1)
	v_min_u32_e32 v5, 32, v5
	v_sub_nc_u32_e64 v5, v5, 4 clamp
	s_delay_alu instid0(VALU_DEP_1) | instskip(NEXT) | instid1(VALU_DEP_1)
	v_dual_lshlrev_b32 v7, v5, v3 :: v_dual_lshlrev_b32 v5, 23, v5
	v_lshrrev_b32_e32 v7, 4, v7
	s_delay_alu instid0(VALU_DEP_1) | instskip(SKIP_1) | instid1(VALU_DEP_2)
	v_sub_nc_u32_e32 v5, v7, v5
	v_ashrrev_i32_e32 v7, 8, v9
	v_add_nc_u32_e32 v5, 0x3c000000, v5
	s_delay_alu instid0(VALU_DEP_1) | instskip(NEXT) | instid1(VALU_DEP_1)
	v_and_or_b32 v5, 0x7f800000, v7, v5
	v_cndmask_b32_e32 v3, 0, v5, vcc_lo
	s_delay_alu instid0(VALU_DEP_1)
	v_and_or_b32 v16, 0x80000000, v1, v3
.LBB19_1386:
	s_mov_b32 s11, 0
.LBB19_1387:
	s_delay_alu instid0(SALU_CYCLE_1)
	s_and_not1_b32 vcc_lo, exec_lo, s11
	s_cbranch_vccnz .LBB19_1389
; %bb.1388:
	global_load_u8 v1, v[10:11], off
	s_wait_loadcnt 0x0
	v_lshlrev_b32_e32 v3, 25, v1
	v_lshlrev_b16 v1, 8, v1
	s_delay_alu instid0(VALU_DEP_1) | instskip(SKIP_1) | instid1(VALU_DEP_2)
	v_and_or_b32 v7, 0x7f00, v1, 0.5
	v_bfe_i32 v1, v1, 0, 16
	v_add_f32_e32 v7, -0.5, v7
	v_lshrrev_b32_e32 v5, 4, v3
	v_cmp_gt_u32_e32 vcc_lo, 0x8000000, v3
	s_delay_alu instid0(VALU_DEP_2) | instskip(NEXT) | instid1(VALU_DEP_1)
	v_or_b32_e32 v5, 0x70000000, v5
	v_mul_f32_e32 v5, 0x7800000, v5
	s_delay_alu instid0(VALU_DEP_1) | instskip(NEXT) | instid1(VALU_DEP_1)
	v_cndmask_b32_e32 v3, v5, v7, vcc_lo
	v_and_or_b32 v16, 0x80000000, v1, v3
.LBB19_1389:
	s_mov_b32 s11, 0
	s_mov_b32 s12, -1
.LBB19_1390:
	s_and_not1_b32 vcc_lo, exec_lo, s11
	s_mov_b32 s11, 0
	s_cbranch_vccnz .LBB19_1401
; %bb.1391:
	s_cmp_gt_i32 s10, 14
	s_cbranch_scc0 .LBB19_1394
; %bb.1392:
	s_cmp_eq_u32 s10, 15
	s_cbranch_scc0 .LBB19_1397
; %bb.1393:
	global_load_u16 v1, v[10:11], off
	s_mov_b32 s0, 0
	s_mov_b32 s12, -1
	s_wait_loadcnt 0x0
	v_lshlrev_b32_e32 v16, 16, v1
	s_branch .LBB19_1399
.LBB19_1394:
	s_mov_b32 s11, -1
	s_branch .LBB19_1398
.LBB19_1395:
	s_or_saveexec_b32 s12, s12
	v_mov_b32_e32 v16, 0x7f800001
	s_xor_b32 exec_lo, exec_lo, s12
	s_cbranch_execz .LBB19_1376
.LBB19_1396:
	v_cmp_ne_u16_e32 vcc_lo, 0, v1
	v_mov_b32_e32 v16, 0
	s_and_not1_b32 s11, s11, exec_lo
	s_and_b32 s13, vcc_lo, exec_lo
	s_delay_alu instid0(SALU_CYCLE_1)
	s_or_b32 s11, s11, s13
	s_or_b32 exec_lo, exec_lo, s12
	s_and_saveexec_b32 s12, s11
	s_cbranch_execnz .LBB19_1377
	s_branch .LBB19_1378
.LBB19_1397:
	s_mov_b32 s0, -1
.LBB19_1398:
                                        ; implicit-def: $vgpr16
.LBB19_1399:
	s_and_b32 vcc_lo, exec_lo, s11
	s_mov_b32 s11, 0
	s_cbranch_vccz .LBB19_1401
; %bb.1400:
	s_cmp_lg_u32 s10, 11
	s_mov_b32 s11, -1
	s_cselect_b32 s0, -1, 0
.LBB19_1401:
	s_delay_alu instid0(SALU_CYCLE_1)
	s_and_b32 vcc_lo, exec_lo, s0
	s_cbranch_vccnz .LBB19_1472
; %bb.1402:
	s_and_not1_b32 vcc_lo, exec_lo, s11
	s_cbranch_vccnz .LBB19_1404
.LBB19_1403:
	global_load_u8 v1, v[10:11], off
	s_mov_b32 s12, -1
	s_wait_loadcnt 0x0
	v_cmp_ne_u16_e32 vcc_lo, 0, v1
	v_cndmask_b32_e64 v16, 0, 1.0, vcc_lo
.LBB19_1404:
	s_branch .LBB19_1330
.LBB19_1405:
	s_cmp_lt_i32 s10, 5
	s_cbranch_scc1 .LBB19_1410
; %bb.1406:
	s_cmp_lt_i32 s10, 8
	s_cbranch_scc1 .LBB19_1411
; %bb.1407:
	;; [unrolled: 3-line block ×3, first 2 shown]
	s_cmp_gt_i32 s10, 9
	s_cbranch_scc0 .LBB19_1413
; %bb.1409:
	global_load_b64 v[16:17], v[10:11], off
	s_mov_b32 s0, 0
	s_wait_loadcnt 0x0
	v_cvt_f32_f64_e32 v16, v[16:17]
	s_branch .LBB19_1414
.LBB19_1410:
                                        ; implicit-def: $vgpr16
	s_branch .LBB19_1432
.LBB19_1411:
	s_mov_b32 s0, -1
                                        ; implicit-def: $vgpr16
	s_branch .LBB19_1420
.LBB19_1412:
	s_mov_b32 s0, -1
                                        ; implicit-def: $vgpr16
	s_branch .LBB19_1417
.LBB19_1413:
	s_mov_b32 s0, -1
                                        ; implicit-def: $vgpr16
.LBB19_1414:
	s_delay_alu instid0(SALU_CYCLE_1)
	s_and_not1_b32 vcc_lo, exec_lo, s0
	s_cbranch_vccnz .LBB19_1416
; %bb.1415:
	global_load_b32 v16, v[10:11], off
.LBB19_1416:
	s_mov_b32 s0, 0
.LBB19_1417:
	s_delay_alu instid0(SALU_CYCLE_1)
	s_and_not1_b32 vcc_lo, exec_lo, s0
	s_cbranch_vccnz .LBB19_1419
; %bb.1418:
	global_load_b32 v1, v[10:11], off
	s_wait_loadcnt 0x0
	v_cvt_f32_f16_e32 v16, v1
.LBB19_1419:
	s_mov_b32 s0, 0
.LBB19_1420:
	s_delay_alu instid0(SALU_CYCLE_1)
	s_and_not1_b32 vcc_lo, exec_lo, s0
	s_cbranch_vccnz .LBB19_1431
; %bb.1421:
	s_cmp_lt_i32 s10, 6
	s_cbranch_scc1 .LBB19_1424
; %bb.1422:
	s_cmp_gt_i32 s10, 6
	s_cbranch_scc0 .LBB19_1425
; %bb.1423:
	s_wait_loadcnt 0x0
	global_load_b64 v[16:17], v[10:11], off
	s_mov_b32 s0, 0
	s_wait_loadcnt 0x0
	v_cvt_f32_f64_e32 v16, v[16:17]
	s_branch .LBB19_1426
.LBB19_1424:
	s_mov_b32 s0, -1
                                        ; implicit-def: $vgpr16
	s_branch .LBB19_1429
.LBB19_1425:
	s_mov_b32 s0, -1
                                        ; implicit-def: $vgpr16
.LBB19_1426:
	s_delay_alu instid0(SALU_CYCLE_1)
	s_and_not1_b32 vcc_lo, exec_lo, s0
	s_cbranch_vccnz .LBB19_1428
; %bb.1427:
	s_wait_loadcnt 0x0
	global_load_b32 v16, v[10:11], off
.LBB19_1428:
	s_mov_b32 s0, 0
.LBB19_1429:
	s_delay_alu instid0(SALU_CYCLE_1)
	s_and_not1_b32 vcc_lo, exec_lo, s0
	s_cbranch_vccnz .LBB19_1431
; %bb.1430:
	global_load_u16 v1, v[10:11], off
	s_wait_loadcnt 0x0
	v_cvt_f32_f16_e32 v16, v1
.LBB19_1431:
	s_cbranch_execnz .LBB19_1451
.LBB19_1432:
	s_cmp_lt_i32 s10, 2
	s_cbranch_scc1 .LBB19_1436
; %bb.1433:
	s_cmp_lt_i32 s10, 3
	s_cbranch_scc1 .LBB19_1437
; %bb.1434:
	s_cmp_gt_i32 s10, 3
	s_cbranch_scc0 .LBB19_1438
; %bb.1435:
	s_wait_loadcnt 0x0
	global_load_b64 v[16:17], v[10:11], off
	s_mov_b32 s0, 0
	s_wait_loadcnt 0x0
	v_xor_b32_e32 v1, v16, v17
	v_cls_i32_e32 v3, v17
	s_delay_alu instid0(VALU_DEP_2) | instskip(NEXT) | instid1(VALU_DEP_1)
	v_ashrrev_i32_e32 v1, 31, v1
	v_add_nc_u32_e32 v1, 32, v1
	s_delay_alu instid0(VALU_DEP_1) | instskip(NEXT) | instid1(VALU_DEP_1)
	v_add_min_u32_e64 v1, v3, -1, v1
	v_lshlrev_b64_e32 v[16:17], v1, v[16:17]
	v_sub_nc_u32_e32 v1, 32, v1
	s_delay_alu instid0(VALU_DEP_2) | instskip(NEXT) | instid1(VALU_DEP_1)
	v_min_u32_e32 v3, 1, v16
	v_or_b32_e32 v3, v17, v3
	s_delay_alu instid0(VALU_DEP_1) | instskip(NEXT) | instid1(VALU_DEP_1)
	v_cvt_f32_i32_e32 v3, v3
	v_ldexp_f32 v16, v3, v1
	s_branch .LBB19_1439
.LBB19_1436:
	s_mov_b32 s0, -1
                                        ; implicit-def: $vgpr16
	s_branch .LBB19_1445
.LBB19_1437:
	s_mov_b32 s0, -1
                                        ; implicit-def: $vgpr16
	s_branch .LBB19_1442
.LBB19_1438:
	s_mov_b32 s0, -1
                                        ; implicit-def: $vgpr16
.LBB19_1439:
	s_delay_alu instid0(SALU_CYCLE_1)
	s_and_not1_b32 vcc_lo, exec_lo, s0
	s_cbranch_vccnz .LBB19_1441
; %bb.1440:
	global_load_b32 v1, v[10:11], off
	s_wait_loadcnt 0x0
	v_cvt_f32_i32_e32 v16, v1
.LBB19_1441:
	s_mov_b32 s0, 0
.LBB19_1442:
	s_delay_alu instid0(SALU_CYCLE_1)
	s_and_not1_b32 vcc_lo, exec_lo, s0
	s_cbranch_vccnz .LBB19_1444
; %bb.1443:
	global_load_i16 v1, v[10:11], off
	s_wait_loadcnt 0x0
	v_cvt_f32_i32_e32 v16, v1
.LBB19_1444:
	s_mov_b32 s0, 0
.LBB19_1445:
	s_delay_alu instid0(SALU_CYCLE_1)
	s_and_not1_b32 vcc_lo, exec_lo, s0
	s_cbranch_vccnz .LBB19_1451
; %bb.1446:
	s_cmp_gt_i32 s10, 0
	s_mov_b32 s0, 0
	s_cbranch_scc0 .LBB19_1448
; %bb.1447:
	global_load_i8 v1, v[10:11], off
	s_wait_loadcnt 0x0
	v_cvt_f32_i32_e32 v16, v1
	s_branch .LBB19_1449
.LBB19_1448:
	s_mov_b32 s0, -1
                                        ; implicit-def: $vgpr16
.LBB19_1449:
	s_delay_alu instid0(SALU_CYCLE_1)
	s_and_not1_b32 vcc_lo, exec_lo, s0
	s_cbranch_vccnz .LBB19_1451
; %bb.1450:
	global_load_u8 v1, v[10:11], off
	s_wait_loadcnt 0x0
	v_cvt_f32_ubyte0_e32 v16, v1
.LBB19_1451:
.LBB19_1452:
	s_wait_xcnt 0x0
	v_mov_b32_e32 v10, 0x7f800000
	s_mov_b32 s11, exec_lo
	s_wait_loadcnt 0x0
	s_delay_alu instid0(VALU_DEP_2)
	v_cmpx_neq_f32_e32 0, v16
	s_cbranch_execz .LBB19_1460
; %bb.1453:
	v_mov_b32_e32 v10, 0x7fc00000
	s_mov_b32 s12, exec_lo
	v_cmpx_ngt_f32_e32 0, v16
	s_cbranch_execz .LBB19_1459
; %bb.1454:
                                        ; implicit-def: $vgpr10
	s_mov_b32 s0, exec_lo
	v_cmpx_ge_f32_e32 2.0, v16
	s_xor_b32 s13, exec_lo, s0
	s_cbranch_execz .LBB19_1456
; %bb.1455:
	v_mov_b32_e32 v17, 0.5
	s_mov_b32 s0, 0xa2a2e5b9
	v_mov_b64_e32 v[20:21], 0x3ad6e3ac293fd856
	v_mov_b64_e32 v[24:25], 0xbb8db2f12d3612e2
	;; [unrolled: 1-line block ×3, first 2 shown]
	v_pk_fma_f32 v[10:11], v[16:17], v[16:17], -2.0 op_sel_hi:[0,1,0]
	s_delay_alu instid0(VALU_DEP_1) | instskip(NEXT) | instid1(VALU_DEP_2)
	v_fmaak_f32 v1, s0, v11, 0x24199b15
	v_mul_f32_e32 v22, 0x251e770f, v10
	s_mov_b32 s0, 0xa51e770f
	s_delay_alu instid0(VALU_DEP_2) | instskip(NEXT) | instid1(VALU_DEP_1)
	v_fmaak_f32 v3, v11, v1, 0x22a2e5b9
	v_add_f32_e32 v3, 0xa58c275c, v3
	s_delay_alu instid0(VALU_DEP_1) | instskip(SKIP_1) | instid1(VALU_DEP_2)
	v_fma_f32 v1, v11, v3, -v1
	v_pk_mul_f32 v[26:27], v[16:17], v[16:17] op_sel_hi:[0,1]
	v_add_f32_e32 v1, 0x26f736c5, v1
	s_delay_alu instid0(VALU_DEP_2) | instskip(NEXT) | instid1(VALU_DEP_2)
	v_cmp_gt_f32_e32 vcc_lo, 0x800000, v27
	v_fma_f32 v3, v11, v1, -v3
	v_cndmask_b32_e64 v7, 0, 32, vcc_lo
	s_delay_alu instid0(VALU_DEP_2) | instskip(NEXT) | instid1(VALU_DEP_2)
	v_add_f32_e32 v3, 0xa8528116, v3
	v_ldexp_f32 v7, v27, v7
	s_delay_alu instid0(VALU_DEP_2) | instskip(NEXT) | instid1(VALU_DEP_1)
	v_fma_f32 v1, v11, v3, -v1
	v_add_f32_e32 v1, 0x29acda32, v1
	s_delay_alu instid0(VALU_DEP_1) | instskip(NEXT) | instid1(VALU_DEP_1)
	v_fma_f32 v3, v11, v1, -v3
	v_add_f32_e32 v3, 0xab08b263, v3
	s_delay_alu instid0(VALU_DEP_1) | instskip(NEXT) | instid1(VALU_DEP_1)
	;; [unrolled: 3-line block ×15, first 2 shown]
	v_fma_f32 v3, v11, v1, -v3
	v_add_f32_e32 v19, 0xba1717e9, v3
	s_delay_alu instid0(VALU_DEP_1) | instskip(SKIP_1) | instid1(VALU_DEP_2)
	v_fma_f32 v23, v11, v19, -v1
	v_mul_f32_e32 v1, 0x3fb8aa3b, v16
	v_pk_add_f32 v[20:21], v[22:23], v[20:21]
	s_delay_alu instid0(VALU_DEP_2)
	v_rndne_f32_e32 v3, v1
	v_mov_b32_e32 v18, 0xa51e770f
	v_mov_b64_e32 v[22:23], s[0:1]
	v_fma_f32 v5, 0x3fb8aa3b, v16, -v1
	v_cmp_ngt_f32_e64 s0, 0xc2ce8ed0, v16
	v_sub_f32_e32 v1, v1, v3
	v_pk_fma_f32 v[18:19], v[10:11], v[20:21], v[18:19] neg_lo:[0,0,1] neg_hi:[0,0,1]
	v_cvt_i32_f32_e32 v3, v3
	v_fmamk_f32 v5, v16, 0x32a5705f, v5
	v_pk_fma_f32 v[22:23], v[10:11], v[20:21], v[22:23]
	s_delay_alu instid0(VALU_DEP_2) | instskip(SKIP_1) | instid1(VALU_DEP_1)
	v_dual_mov_b32 v23, v19 :: v_dual_add_f32 v1, v1, v5
	v_log_f32_e32 v5, v7
	v_pk_add_f32 v[18:19], v[22:23], v[24:25]
	v_mov_b64_e32 v[22:23], 0x3c2ccb103102e09b
	v_mov_b64_e32 v[24:25], 0xc000000037bfc808
	s_delay_alu instid0(VALU_DEP_3) | instskip(NEXT) | instid1(TRANS32_DEP_1)
	v_pk_fma_f32 v[20:21], v[10:11], v[18:19], v[20:21] neg_lo:[0,0,1] neg_hi:[0,0,1]
	v_mul_f32_e32 v9, 0x3f317217, v5
	s_delay_alu instid0(VALU_DEP_2) | instskip(SKIP_1) | instid1(VALU_DEP_2)
	v_pk_add_f32 v[20:21], v[20:21], v[22:23]
	v_mov_b64_e32 v[22:23], 0xbcc274f8348815e7
	v_pk_fma_f32 v[18:19], v[10:11], v[20:21], v[18:19] neg_lo:[0,0,1] neg_hi:[0,0,1]
	s_delay_alu instid0(VALU_DEP_1) | instskip(SKIP_1) | instid1(VALU_DEP_2)
	v_pk_add_f32 v[18:19], v[18:19], v[22:23]
	v_mov_b64_e32 v[22:23], 0x3d49f45637bfc808
	v_pk_fma_f32 v[20:21], v[10:11], v[18:19], v[20:21] neg_lo:[0,0,1] neg_hi:[0,0,1]
	s_delay_alu instid0(VALU_DEP_1) | instskip(NEXT) | instid1(VALU_DEP_2)
	v_mov_b32_e32 v26, v20
	v_pk_add_f32 v[20:21], v[20:21], v[22:23]
	v_mov_b32_e32 v22, v10
	s_delay_alu instid0(VALU_DEP_3) | instskip(NEXT) | instid1(VALU_DEP_3)
	v_pk_add_f32 v[24:25], v[26:27], v[24:25]
	v_mov_b32_e32 v23, v21
	s_delay_alu instid0(VALU_DEP_1) | instskip(SKIP_1) | instid1(VALU_DEP_2)
	v_pk_fma_f32 v[18:19], v[24:25], v[22:23], v[18:19] neg_lo:[0,0,1] neg_hi:[0,0,1]
	v_mov_b64_e32 v[22:23], 0x3e2fbd643d135fb3
	v_pk_add_f32 v[18:19], v[18:19], v[28:29]
	s_delay_alu instid0(VALU_DEP_1) | instskip(NEXT) | instid1(VALU_DEP_1)
	v_pk_fma_f32 v[20:21], v[10:11], v[18:19], v[20:21] neg_lo:[0,0,1] neg_hi:[0,0,1]
	v_pk_add_f32 v[20:21], v[20:21], v[22:23]
	s_delay_alu instid0(VALU_DEP_1) | instskip(NEXT) | instid1(VALU_DEP_1)
	v_pk_fma_f32 v[18:19], v[10:11], v[20:21], v[18:19] neg_lo:[0,0,1] neg_hi:[0,0,1]
	v_dual_mov_b32 v22, v20 :: v_dual_add_f32 v7, 0xbe9bff5e, v19
	s_delay_alu instid0(VALU_DEP_2) | instskip(SKIP_2) | instid1(VALU_DEP_2)
	v_add_f32_e32 v13, 0x3eb046c4, v18
	v_mov_b32_e32 v18, 0xbf090b37
	v_exp_f32_e32 v1, v1
	v_dual_fma_f32 v7, v11, v7, -v21 :: v_dual_mul_f32 v10, v10, v13
	s_delay_alu instid0(TRANS32_DEP_1) | instskip(SKIP_1) | instid1(VALU_DEP_3)
	v_ldexp_f32 v1, v1, v3
	v_fma_f32 v3, 0x3f317217, v5, -v9
	v_add_f32_e32 v11, 0x3f2d4275, v7
	s_delay_alu instid0(VALU_DEP_3) | instskip(NEXT) | instid1(VALU_DEP_3)
	v_cndmask_b32_e64 v1, 0, v1, s0
	v_fmamk_f32 v3, v5, 0x3377d1cf, v3
	s_delay_alu instid0(VALU_DEP_3) | instskip(SKIP_1) | instid1(VALU_DEP_3)
	v_pk_add_f32 v[10:11], v[10:11], v[20:21] neg_lo:[0,1] neg_hi:[0,1]
	v_cmp_nlt_f32_e64 s0, 0x42b17218, v16
	v_fmac_f32_e32 v3, 0x3f317217, v5
	s_delay_alu instid0(VALU_DEP_3) | instskip(NEXT) | instid1(VALU_DEP_3)
	v_pk_mul_f32 v[24:25], v[10:11], v[16:17]
	v_cndmask_b32_e64 v23, 0x7f800000, v1, s0
	v_cndmask_b32_e64 v1, 0, 0x41b17218, vcc_lo
	v_cmp_gt_f32_e64 vcc_lo, 0x7f800000, |v5|
	v_pk_add_f32 v[10:11], v[10:11], v[18:19]
                                        ; implicit-def: $vgpr16
	s_delay_alu instid0(VALU_DEP_4) | instskip(SKIP_2) | instid1(VALU_DEP_4)
	v_pk_mul_f32 v[18:19], v[24:25], v[22:23]
	v_mov_b32_e32 v24, v17
	v_cndmask_b32_e32 v3, v5, v3, vcc_lo
	v_pk_add_f32 v[10:11], v[10:11], v[20:21] neg_lo:[0,1] neg_hi:[0,1]
	s_delay_alu instid0(VALU_DEP_4) | instskip(NEXT) | instid1(VALU_DEP_3)
	v_mov_b32_e32 v11, v19
	v_sub_f32_e32 v25, v3, v1
	s_delay_alu instid0(VALU_DEP_1) | instskip(NEXT) | instid1(VALU_DEP_1)
	v_pk_mul_f32 v[10:11], v[24:25], v[10:11]
	v_sub_f32_e32 v1, v10, v11
	s_delay_alu instid0(VALU_DEP_1)
	v_mul_f32_e32 v10, v23, v1
.LBB19_1456:
	s_and_not1_saveexec_b32 s13, s13
	s_cbranch_execz .LBB19_1458
; %bb.1457:
	v_div_scale_f32 v1, null, v16, v16, 0x41000000
	v_div_scale_f32 v7, vcc_lo, 0x41000000, v16, 0x41000000
	s_mov_b32 s0, 0x22c38d2e
	v_rcp_f32_e32 v3, v1
	v_nop
	s_delay_alu instid0(TRANS32_DEP_1) | instskip(NEXT) | instid1(VALU_DEP_1)
	v_fma_f32 v5, -v1, v3, 1.0
	v_fmac_f32_e32 v3, v5, v3
	s_delay_alu instid0(VALU_DEP_1) | instskip(NEXT) | instid1(VALU_DEP_1)
	v_mul_f32_e32 v5, v7, v3
	v_fma_f32 v9, -v1, v5, v7
	s_delay_alu instid0(VALU_DEP_1) | instskip(NEXT) | instid1(VALU_DEP_1)
	v_fmac_f32_e32 v5, v9, v3
	v_fma_f32 v1, -v1, v5, v7
	v_mul_f32_e32 v7, 0x4f800000, v16
	s_delay_alu instid0(VALU_DEP_2) | instskip(SKIP_1) | instid1(VALU_DEP_2)
	v_div_fmas_f32 v1, v1, v3, v5
	v_cmp_gt_f32_e32 vcc_lo, 0xf800000, v16
	v_div_fixup_f32 v1, v1, v16, 0x41000000
	s_delay_alu instid0(VALU_DEP_1) | instskip(NEXT) | instid1(VALU_DEP_1)
	v_dual_cndmask_b32 v7, v16, v7, vcc_lo :: v_dual_add_f32 v1, -2.0, v1
	v_sqrt_f32_e32 v9, v7
	s_delay_alu instid0(VALU_DEP_1) | instskip(NEXT) | instid1(TRANS32_DEP_1)
	v_fmaak_f32 v3, s0, v1, 0xa397f665
	v_dual_add_nc_u32 v10, -1, v9 :: v_dual_add_nc_u32 v11, 1, v9
	s_delay_alu instid0(VALU_DEP_2) | instskip(NEXT) | instid1(VALU_DEP_2)
	v_fmaak_f32 v5, v1, v3, 0xa2c38d2e
	v_dual_fma_f32 v13, -v10, v9, v7 :: v_dual_fma_f32 v15, -v11, v9, v7
	s_delay_alu instid0(VALU_DEP_2) | instskip(NEXT) | instid1(VALU_DEP_2)
	v_add_f32_e32 v5, 0x24704972, v5
	v_cmp_ge_f32_e64 s0, 0, v13
	s_delay_alu instid0(VALU_DEP_2) | instskip(NEXT) | instid1(VALU_DEP_2)
	v_fma_f32 v3, v1, v5, -v3
	v_cndmask_b32_e64 v9, v9, v10, s0
	v_cmp_lt_f32_e64 s0, 0, v15
	s_delay_alu instid0(VALU_DEP_3) | instskip(NEXT) | instid1(VALU_DEP_2)
	v_add_f32_e32 v3, 0xa5417ca4, v3
	v_cndmask_b32_e64 v9, v9, v11, s0
	s_delay_alu instid0(VALU_DEP_2) | instskip(NEXT) | instid1(VALU_DEP_1)
	v_fma_f32 v5, v1, v3, -v5
	v_add_f32_e32 v5, 0x261edfcb, v5
	s_delay_alu instid0(VALU_DEP_1) | instskip(NEXT) | instid1(VALU_DEP_1)
	v_fma_f32 v3, v1, v5, -v3
	v_add_f32_e32 v3, 0xa7053487, v3
	s_delay_alu instid0(VALU_DEP_1) | instskip(NEXT) | instid1(VALU_DEP_1)
	;; [unrolled: 3-line block ×19, first 2 shown]
	v_fma_f32 v3, v1, v5, -v3
	v_add_f32_e32 v3, 0xbd00cfb9, v3
	s_delay_alu instid0(VALU_DEP_1) | instskip(SKIP_1) | instid1(VALU_DEP_2)
	v_fma_f32 v1, v1, v3, -v5
	v_mul_f32_e32 v3, 0x37800000, v9
	v_add_f32_e32 v1, 0x401c2ded, v1
	s_delay_alu instid0(VALU_DEP_2) | instskip(SKIP_1) | instid1(VALU_DEP_1)
	v_cndmask_b32_e32 v3, v9, v3, vcc_lo
	v_cmp_class_f32_e64 vcc_lo, v7, 0x260
	v_dual_sub_f32 v1, v1, v5 :: v_dual_cndmask_b32 v3, v3, v7, vcc_lo
	s_delay_alu instid0(VALU_DEP_1) | instskip(NEXT) | instid1(VALU_DEP_1)
	v_mul_f32_e32 v1, 0.5, v1
	v_div_scale_f32 v5, null, v3, v3, v1
	s_delay_alu instid0(VALU_DEP_1) | instskip(SKIP_1) | instid1(TRANS32_DEP_1)
	v_rcp_f32_e32 v7, v5
	v_nop
	v_fma_f32 v9, -v5, v7, 1.0
	s_delay_alu instid0(VALU_DEP_1) | instskip(SKIP_1) | instid1(VALU_DEP_1)
	v_fmac_f32_e32 v7, v9, v7
	v_div_scale_f32 v9, vcc_lo, v1, v3, v1
	v_mul_f32_e32 v10, v9, v7
	s_delay_alu instid0(VALU_DEP_1) | instskip(NEXT) | instid1(VALU_DEP_1)
	v_fma_f32 v11, -v5, v10, v9
	v_fmac_f32_e32 v10, v11, v7
	s_delay_alu instid0(VALU_DEP_1) | instskip(NEXT) | instid1(VALU_DEP_1)
	v_fma_f32 v5, -v5, v10, v9
	v_div_fmas_f32 v5, v5, v7, v10
	s_delay_alu instid0(VALU_DEP_1)
	v_div_fixup_f32 v10, v5, v3, v1
.LBB19_1458:
	s_or_b32 exec_lo, exec_lo, s13
.LBB19_1459:
	s_delay_alu instid0(SALU_CYCLE_1)
	s_or_b32 exec_lo, exec_lo, s12
.LBB19_1460:
	s_delay_alu instid0(SALU_CYCLE_1) | instskip(SKIP_2) | instid1(VALU_DEP_1)
	s_or_b32 exec_lo, exec_lo, s11
	v_mov_b32_e32 v13, 0
	s_cmp_lt_i32 s10, 11
	v_add_nc_u64_e32 v[12:13], s[6:7], v[12:13]
	s_cbranch_scc1 .LBB19_1467
; %bb.1461:
	s_cmp_gt_i32 s10, 25
	s_mov_b32 s11, 0
	s_cbranch_scc0 .LBB19_1469
; %bb.1462:
	s_cmp_gt_i32 s10, 28
	s_cbranch_scc0 .LBB19_1470
; %bb.1463:
	s_cmp_gt_i32 s10, 43
	;; [unrolled: 3-line block ×3, first 2 shown]
	s_cbranch_scc0 .LBB19_1473
; %bb.1465:
	s_cmp_eq_u32 s10, 46
	s_mov_b32 s13, 0
	s_cbranch_scc0 .LBB19_1474
; %bb.1466:
	global_load_b32 v1, v[12:13], off
	s_mov_b32 s0, 0
	s_mov_b32 s12, -1
	s_wait_loadcnt 0x0
	v_lshlrev_b32_e32 v16, 16, v1
	s_branch .LBB19_1476
.LBB19_1467:
	s_mov_b32 s12, 0
                                        ; implicit-def: $vgpr16
	s_cbranch_execnz .LBB19_1542
.LBB19_1468:
	s_and_not1_b32 vcc_lo, exec_lo, s12
	s_cbranch_vccnz .LBB19_1815
	s_branch .LBB19_1590
.LBB19_1469:
	s_mov_b32 s13, -1
	s_mov_b32 s12, 0
	s_mov_b32 s0, 0
                                        ; implicit-def: $vgpr16
	s_branch .LBB19_1505
.LBB19_1470:
	s_mov_b32 s13, -1
	s_mov_b32 s12, 0
	s_mov_b32 s0, 0
                                        ; implicit-def: $vgpr16
	s_branch .LBB19_1486
.LBB19_1471:
	s_mov_b32 s13, -1
	s_mov_b32 s12, 0
	s_mov_b32 s0, 0
                                        ; implicit-def: $vgpr16
	s_branch .LBB19_1481
.LBB19_1472:
	s_or_b32 s1, s1, exec_lo
	s_trap 2
	s_cbranch_execz .LBB19_1403
	s_branch .LBB19_1404
.LBB19_1473:
	s_mov_b32 s13, -1
	s_mov_b32 s12, 0
	s_mov_b32 s0, 0
	s_branch .LBB19_1475
.LBB19_1474:
	s_mov_b32 s0, -1
	s_mov_b32 s12, 0
.LBB19_1475:
                                        ; implicit-def: $vgpr16
.LBB19_1476:
	s_and_b32 vcc_lo, exec_lo, s13
	s_cbranch_vccz .LBB19_1480
; %bb.1477:
	s_cmp_eq_u32 s10, 44
	s_cbranch_scc0 .LBB19_1479
; %bb.1478:
	global_load_u8 v1, v[12:13], off
	s_mov_b32 s0, 0
	s_mov_b32 s12, -1
	s_wait_loadcnt 0x0
	v_lshlrev_b32_e32 v3, 23, v1
	v_cmp_ne_u32_e32 vcc_lo, 0xff, v1
	s_delay_alu instid0(VALU_DEP_2) | instskip(SKIP_1) | instid1(VALU_DEP_2)
	v_cndmask_b32_e32 v3, 0x7f800001, v3, vcc_lo
	v_cmp_ne_u32_e32 vcc_lo, 0, v1
	v_cndmask_b32_e32 v16, 0x400000, v3, vcc_lo
	s_branch .LBB19_1480
.LBB19_1479:
	s_mov_b32 s0, -1
                                        ; implicit-def: $vgpr16
.LBB19_1480:
	s_mov_b32 s13, 0
.LBB19_1481:
	s_delay_alu instid0(SALU_CYCLE_1)
	s_and_b32 vcc_lo, exec_lo, s13
	s_cbranch_vccz .LBB19_1485
; %bb.1482:
	s_cmp_eq_u32 s10, 29
	s_cbranch_scc0 .LBB19_1484
; %bb.1483:
	global_load_b64 v[16:17], v[12:13], off
	s_mov_b32 s0, 0
	s_mov_b32 s12, -1
	s_mov_b32 s13, 0
	s_wait_loadcnt 0x0
	v_clz_i32_u32_e32 v1, v17
	s_delay_alu instid0(VALU_DEP_1) | instskip(NEXT) | instid1(VALU_DEP_1)
	v_min_u32_e32 v1, 32, v1
	v_lshlrev_b64_e32 v[16:17], v1, v[16:17]
	v_sub_nc_u32_e32 v1, 32, v1
	s_delay_alu instid0(VALU_DEP_2) | instskip(NEXT) | instid1(VALU_DEP_1)
	v_min_u32_e32 v3, 1, v16
	v_or_b32_e32 v3, v17, v3
	s_delay_alu instid0(VALU_DEP_1) | instskip(NEXT) | instid1(VALU_DEP_1)
	v_cvt_f32_u32_e32 v3, v3
	v_ldexp_f32 v16, v3, v1
	s_branch .LBB19_1486
.LBB19_1484:
	s_mov_b32 s0, -1
                                        ; implicit-def: $vgpr16
.LBB19_1485:
	s_mov_b32 s13, 0
.LBB19_1486:
	s_delay_alu instid0(SALU_CYCLE_1)
	s_and_b32 vcc_lo, exec_lo, s13
	s_cbranch_vccz .LBB19_1504
; %bb.1487:
	s_cmp_lt_i32 s10, 27
	s_cbranch_scc1 .LBB19_1490
; %bb.1488:
	s_cmp_gt_i32 s10, 27
	s_cbranch_scc0 .LBB19_1491
; %bb.1489:
	global_load_b32 v1, v[12:13], off
	s_mov_b32 s12, 0
	s_wait_loadcnt 0x0
	v_cvt_f32_u32_e32 v16, v1
	s_branch .LBB19_1492
.LBB19_1490:
	s_mov_b32 s12, -1
                                        ; implicit-def: $vgpr16
	s_branch .LBB19_1495
.LBB19_1491:
	s_mov_b32 s12, -1
                                        ; implicit-def: $vgpr16
.LBB19_1492:
	s_delay_alu instid0(SALU_CYCLE_1)
	s_and_not1_b32 vcc_lo, exec_lo, s12
	s_cbranch_vccnz .LBB19_1494
; %bb.1493:
	global_load_u16 v1, v[12:13], off
	s_wait_loadcnt 0x0
	v_cvt_f32_u32_e32 v16, v1
.LBB19_1494:
	s_mov_b32 s12, 0
.LBB19_1495:
	s_delay_alu instid0(SALU_CYCLE_1)
	s_and_not1_b32 vcc_lo, exec_lo, s12
	s_cbranch_vccnz .LBB19_1503
; %bb.1496:
	global_load_u8 v1, v[12:13], off
	s_mov_b32 s12, 0
	s_mov_b32 s13, exec_lo
	s_wait_loadcnt 0x0
	v_cmpx_lt_i16_e32 0x7f, v1
	s_xor_b32 s13, exec_lo, s13
	s_cbranch_execz .LBB19_1517
; %bb.1497:
	s_mov_b32 s12, -1
	s_mov_b32 s14, exec_lo
	v_cmpx_eq_u16_e32 0x80, v1
; %bb.1498:
	s_xor_b32 s12, exec_lo, -1
; %bb.1499:
	s_or_b32 exec_lo, exec_lo, s14
	s_delay_alu instid0(SALU_CYCLE_1)
	s_and_b32 s12, s12, exec_lo
	s_or_saveexec_b32 s13, s13
	v_mov_b32_e32 v16, 0x7f800001
	s_xor_b32 exec_lo, exec_lo, s13
	s_cbranch_execnz .LBB19_1518
.LBB19_1500:
	s_or_b32 exec_lo, exec_lo, s13
	s_and_saveexec_b32 s13, s12
	s_cbranch_execz .LBB19_1502
.LBB19_1501:
	v_and_b32_e32 v3, 0xffff, v1
	s_delay_alu instid0(VALU_DEP_1) | instskip(SKIP_1) | instid1(VALU_DEP_2)
	v_dual_lshlrev_b32 v1, 24, v1 :: v_dual_bitop2_b32 v5, 7, v3 bitop3:0x40
	v_bfe_u32 v11, v3, 3, 4
	v_and_b32_e32 v1, 0x80000000, v1
	s_delay_alu instid0(VALU_DEP_3) | instskip(NEXT) | instid1(VALU_DEP_3)
	v_clz_i32_u32_e32 v7, v5
	v_cmp_eq_u32_e32 vcc_lo, 0, v11
	s_delay_alu instid0(VALU_DEP_2) | instskip(NEXT) | instid1(VALU_DEP_1)
	v_min_u32_e32 v7, 32, v7
	v_subrev_nc_u32_e32 v9, 28, v7
	v_sub_nc_u32_e32 v7, 29, v7
	s_delay_alu instid0(VALU_DEP_2) | instskip(NEXT) | instid1(VALU_DEP_2)
	v_lshlrev_b32_e32 v3, v9, v3
	v_cndmask_b32_e32 v7, v11, v7, vcc_lo
	s_delay_alu instid0(VALU_DEP_2) | instskip(NEXT) | instid1(VALU_DEP_1)
	v_and_b32_e32 v3, 7, v3
	v_cndmask_b32_e32 v3, v5, v3, vcc_lo
	s_delay_alu instid0(VALU_DEP_3) | instskip(NEXT) | instid1(VALU_DEP_2)
	v_lshl_add_u32 v5, v7, 23, 0x3b800000
	v_lshlrev_b32_e32 v3, 20, v3
	s_delay_alu instid0(VALU_DEP_1)
	v_or3_b32 v16, v1, v5, v3
.LBB19_1502:
	s_or_b32 exec_lo, exec_lo, s13
.LBB19_1503:
	s_mov_b32 s12, -1
.LBB19_1504:
	s_mov_b32 s13, 0
.LBB19_1505:
	s_delay_alu instid0(SALU_CYCLE_1)
	s_and_b32 vcc_lo, exec_lo, s13
	s_cbranch_vccz .LBB19_1538
; %bb.1506:
	s_cmp_gt_i32 s10, 22
	s_cbranch_scc0 .LBB19_1516
; %bb.1507:
	s_cmp_lt_i32 s10, 24
	s_cbranch_scc1 .LBB19_1519
; %bb.1508:
	s_cmp_gt_i32 s10, 24
	s_cbranch_scc0 .LBB19_1520
; %bb.1509:
	global_load_u8 v1, v[12:13], off
	s_mov_b32 s12, exec_lo
	s_wait_loadcnt 0x0
	v_cmpx_lt_i16_e32 0x7f, v1
	s_xor_b32 s12, exec_lo, s12
	s_cbranch_execz .LBB19_1532
; %bb.1510:
	s_mov_b32 s11, -1
	s_mov_b32 s13, exec_lo
	v_cmpx_eq_u16_e32 0x80, v1
; %bb.1511:
	s_xor_b32 s11, exec_lo, -1
; %bb.1512:
	s_or_b32 exec_lo, exec_lo, s13
	s_delay_alu instid0(SALU_CYCLE_1)
	s_and_b32 s11, s11, exec_lo
	s_or_saveexec_b32 s12, s12
	v_mov_b32_e32 v16, 0x7f800001
	s_xor_b32 exec_lo, exec_lo, s12
	s_cbranch_execnz .LBB19_1533
.LBB19_1513:
	s_or_b32 exec_lo, exec_lo, s12
	s_and_saveexec_b32 s12, s11
	s_cbranch_execz .LBB19_1515
.LBB19_1514:
	v_and_b32_e32 v3, 0xffff, v1
	s_delay_alu instid0(VALU_DEP_1) | instskip(SKIP_1) | instid1(VALU_DEP_2)
	v_dual_lshlrev_b32 v1, 24, v1 :: v_dual_bitop2_b32 v5, 3, v3 bitop3:0x40
	v_bfe_u32 v11, v3, 2, 5
	v_and_b32_e32 v1, 0x80000000, v1
	s_delay_alu instid0(VALU_DEP_3) | instskip(NEXT) | instid1(VALU_DEP_3)
	v_clz_i32_u32_e32 v7, v5
	v_cmp_eq_u32_e32 vcc_lo, 0, v11
	s_delay_alu instid0(VALU_DEP_2) | instskip(NEXT) | instid1(VALU_DEP_1)
	v_min_u32_e32 v7, 32, v7
	v_subrev_nc_u32_e32 v9, 29, v7
	v_sub_nc_u32_e32 v7, 30, v7
	s_delay_alu instid0(VALU_DEP_2) | instskip(NEXT) | instid1(VALU_DEP_2)
	v_lshlrev_b32_e32 v3, v9, v3
	v_cndmask_b32_e32 v7, v11, v7, vcc_lo
	s_delay_alu instid0(VALU_DEP_2) | instskip(NEXT) | instid1(VALU_DEP_1)
	v_and_b32_e32 v3, 3, v3
	v_cndmask_b32_e32 v3, v5, v3, vcc_lo
	s_delay_alu instid0(VALU_DEP_3) | instskip(NEXT) | instid1(VALU_DEP_2)
	v_lshl_add_u32 v5, v7, 23, 0x37800000
	v_lshlrev_b32_e32 v3, 21, v3
	s_delay_alu instid0(VALU_DEP_1)
	v_or3_b32 v16, v1, v5, v3
.LBB19_1515:
	s_or_b32 exec_lo, exec_lo, s12
	s_mov_b32 s11, 0
	s_branch .LBB19_1521
.LBB19_1516:
	s_mov_b32 s11, -1
                                        ; implicit-def: $vgpr16
	s_branch .LBB19_1527
.LBB19_1517:
	s_or_saveexec_b32 s13, s13
	v_mov_b32_e32 v16, 0x7f800001
	s_xor_b32 exec_lo, exec_lo, s13
	s_cbranch_execz .LBB19_1500
.LBB19_1518:
	v_cmp_ne_u16_e32 vcc_lo, 0, v1
	v_mov_b32_e32 v16, 0
	s_and_not1_b32 s12, s12, exec_lo
	s_and_b32 s14, vcc_lo, exec_lo
	s_delay_alu instid0(SALU_CYCLE_1)
	s_or_b32 s12, s12, s14
	s_or_b32 exec_lo, exec_lo, s13
	s_and_saveexec_b32 s13, s12
	s_cbranch_execnz .LBB19_1501
	s_branch .LBB19_1502
.LBB19_1519:
	s_mov_b32 s11, -1
                                        ; implicit-def: $vgpr16
	s_branch .LBB19_1524
.LBB19_1520:
	s_mov_b32 s11, -1
                                        ; implicit-def: $vgpr16
.LBB19_1521:
	s_delay_alu instid0(SALU_CYCLE_1)
	s_and_b32 vcc_lo, exec_lo, s11
	s_cbranch_vccz .LBB19_1523
; %bb.1522:
	global_load_u8 v1, v[12:13], off
	s_wait_loadcnt 0x0
	v_lshlrev_b32_e32 v1, 24, v1
	s_delay_alu instid0(VALU_DEP_1) | instskip(NEXT) | instid1(VALU_DEP_1)
	v_and_b32_e32 v3, 0x7f000000, v1
	v_clz_i32_u32_e32 v5, v3
	v_add_nc_u32_e32 v9, 0x1000000, v3
	v_cmp_ne_u32_e32 vcc_lo, 0, v3
	s_delay_alu instid0(VALU_DEP_3) | instskip(NEXT) | instid1(VALU_DEP_1)
	v_min_u32_e32 v5, 32, v5
	v_sub_nc_u32_e64 v5, v5, 4 clamp
	s_delay_alu instid0(VALU_DEP_1) | instskip(NEXT) | instid1(VALU_DEP_1)
	v_dual_lshlrev_b32 v7, v5, v3 :: v_dual_lshlrev_b32 v5, 23, v5
	v_lshrrev_b32_e32 v7, 4, v7
	s_delay_alu instid0(VALU_DEP_1) | instskip(SKIP_1) | instid1(VALU_DEP_2)
	v_sub_nc_u32_e32 v5, v7, v5
	v_ashrrev_i32_e32 v7, 8, v9
	v_add_nc_u32_e32 v5, 0x3c000000, v5
	s_delay_alu instid0(VALU_DEP_1) | instskip(NEXT) | instid1(VALU_DEP_1)
	v_and_or_b32 v5, 0x7f800000, v7, v5
	v_cndmask_b32_e32 v3, 0, v5, vcc_lo
	s_delay_alu instid0(VALU_DEP_1)
	v_and_or_b32 v16, 0x80000000, v1, v3
.LBB19_1523:
	s_mov_b32 s11, 0
.LBB19_1524:
	s_delay_alu instid0(SALU_CYCLE_1)
	s_and_not1_b32 vcc_lo, exec_lo, s11
	s_cbranch_vccnz .LBB19_1526
; %bb.1525:
	global_load_u8 v1, v[12:13], off
	s_wait_loadcnt 0x0
	v_lshlrev_b32_e32 v3, 25, v1
	v_lshlrev_b16 v1, 8, v1
	s_delay_alu instid0(VALU_DEP_1) | instskip(SKIP_1) | instid1(VALU_DEP_2)
	v_and_or_b32 v7, 0x7f00, v1, 0.5
	v_bfe_i32 v1, v1, 0, 16
	v_add_f32_e32 v7, -0.5, v7
	v_lshrrev_b32_e32 v5, 4, v3
	v_cmp_gt_u32_e32 vcc_lo, 0x8000000, v3
	s_delay_alu instid0(VALU_DEP_2) | instskip(NEXT) | instid1(VALU_DEP_1)
	v_or_b32_e32 v5, 0x70000000, v5
	v_mul_f32_e32 v5, 0x7800000, v5
	s_delay_alu instid0(VALU_DEP_1) | instskip(NEXT) | instid1(VALU_DEP_1)
	v_cndmask_b32_e32 v3, v5, v7, vcc_lo
	v_and_or_b32 v16, 0x80000000, v1, v3
.LBB19_1526:
	s_mov_b32 s11, 0
	s_mov_b32 s12, -1
.LBB19_1527:
	s_and_not1_b32 vcc_lo, exec_lo, s11
	s_mov_b32 s11, 0
	s_cbranch_vccnz .LBB19_1538
; %bb.1528:
	s_cmp_gt_i32 s10, 14
	s_cbranch_scc0 .LBB19_1531
; %bb.1529:
	s_cmp_eq_u32 s10, 15
	s_cbranch_scc0 .LBB19_1534
; %bb.1530:
	global_load_u16 v1, v[12:13], off
	s_mov_b32 s0, 0
	s_mov_b32 s12, -1
	s_wait_loadcnt 0x0
	v_lshlrev_b32_e32 v16, 16, v1
	s_branch .LBB19_1536
.LBB19_1531:
	s_mov_b32 s11, -1
	s_branch .LBB19_1535
.LBB19_1532:
	s_or_saveexec_b32 s12, s12
	v_mov_b32_e32 v16, 0x7f800001
	s_xor_b32 exec_lo, exec_lo, s12
	s_cbranch_execz .LBB19_1513
.LBB19_1533:
	v_cmp_ne_u16_e32 vcc_lo, 0, v1
	v_mov_b32_e32 v16, 0
	s_and_not1_b32 s11, s11, exec_lo
	s_and_b32 s13, vcc_lo, exec_lo
	s_delay_alu instid0(SALU_CYCLE_1)
	s_or_b32 s11, s11, s13
	s_or_b32 exec_lo, exec_lo, s12
	s_and_saveexec_b32 s12, s11
	s_cbranch_execnz .LBB19_1514
	s_branch .LBB19_1515
.LBB19_1534:
	s_mov_b32 s0, -1
.LBB19_1535:
                                        ; implicit-def: $vgpr16
.LBB19_1536:
	s_and_b32 vcc_lo, exec_lo, s11
	s_mov_b32 s11, 0
	s_cbranch_vccz .LBB19_1538
; %bb.1537:
	s_cmp_lg_u32 s10, 11
	s_mov_b32 s11, -1
	s_cselect_b32 s0, -1, 0
.LBB19_1538:
	s_delay_alu instid0(SALU_CYCLE_1)
	s_and_b32 vcc_lo, exec_lo, s0
	s_cbranch_vccnz .LBB19_1609
; %bb.1539:
	s_and_not1_b32 vcc_lo, exec_lo, s11
	s_cbranch_vccnz .LBB19_1541
.LBB19_1540:
	global_load_u8 v1, v[12:13], off
	s_mov_b32 s12, -1
	s_wait_loadcnt 0x0
	v_cmp_ne_u16_e32 vcc_lo, 0, v1
	v_cndmask_b32_e64 v16, 0, 1.0, vcc_lo
.LBB19_1541:
	s_branch .LBB19_1468
.LBB19_1542:
	s_cmp_lt_i32 s10, 5
	s_cbranch_scc1 .LBB19_1547
; %bb.1543:
	s_cmp_lt_i32 s10, 8
	s_cbranch_scc1 .LBB19_1548
; %bb.1544:
	s_cmp_lt_i32 s10, 9
	s_cbranch_scc1 .LBB19_1549
; %bb.1545:
	s_cmp_gt_i32 s10, 9
	s_cbranch_scc0 .LBB19_1550
; %bb.1546:
	global_load_b64 v[16:17], v[12:13], off
	s_mov_b32 s0, 0
	s_wait_loadcnt 0x0
	v_cvt_f32_f64_e32 v16, v[16:17]
	s_branch .LBB19_1551
.LBB19_1547:
	s_mov_b32 s0, -1
                                        ; implicit-def: $vgpr16
	s_branch .LBB19_1569
.LBB19_1548:
	s_mov_b32 s0, -1
                                        ; implicit-def: $vgpr16
	s_branch .LBB19_1557
.LBB19_1549:
	s_mov_b32 s0, -1
                                        ; implicit-def: $vgpr16
	s_branch .LBB19_1554
.LBB19_1550:
	s_mov_b32 s0, -1
                                        ; implicit-def: $vgpr16
.LBB19_1551:
	s_delay_alu instid0(SALU_CYCLE_1)
	s_and_not1_b32 vcc_lo, exec_lo, s0
	s_cbranch_vccnz .LBB19_1553
; %bb.1552:
	global_load_b32 v16, v[12:13], off
.LBB19_1553:
	s_mov_b32 s0, 0
.LBB19_1554:
	s_delay_alu instid0(SALU_CYCLE_1)
	s_and_not1_b32 vcc_lo, exec_lo, s0
	s_cbranch_vccnz .LBB19_1556
; %bb.1555:
	global_load_b32 v1, v[12:13], off
	s_wait_loadcnt 0x0
	v_cvt_f32_f16_e32 v16, v1
.LBB19_1556:
	s_mov_b32 s0, 0
.LBB19_1557:
	s_delay_alu instid0(SALU_CYCLE_1)
	s_and_not1_b32 vcc_lo, exec_lo, s0
	s_cbranch_vccnz .LBB19_1568
; %bb.1558:
	s_cmp_lt_i32 s10, 6
	s_cbranch_scc1 .LBB19_1561
; %bb.1559:
	s_cmp_gt_i32 s10, 6
	s_cbranch_scc0 .LBB19_1562
; %bb.1560:
	s_wait_loadcnt 0x0
	global_load_b64 v[16:17], v[12:13], off
	s_mov_b32 s0, 0
	s_wait_loadcnt 0x0
	v_cvt_f32_f64_e32 v16, v[16:17]
	s_branch .LBB19_1563
.LBB19_1561:
	s_mov_b32 s0, -1
                                        ; implicit-def: $vgpr16
	s_branch .LBB19_1566
.LBB19_1562:
	s_mov_b32 s0, -1
                                        ; implicit-def: $vgpr16
.LBB19_1563:
	s_delay_alu instid0(SALU_CYCLE_1)
	s_and_not1_b32 vcc_lo, exec_lo, s0
	s_cbranch_vccnz .LBB19_1565
; %bb.1564:
	s_wait_loadcnt 0x0
	global_load_b32 v16, v[12:13], off
.LBB19_1565:
	s_mov_b32 s0, 0
.LBB19_1566:
	s_delay_alu instid0(SALU_CYCLE_1)
	s_and_not1_b32 vcc_lo, exec_lo, s0
	s_cbranch_vccnz .LBB19_1568
; %bb.1567:
	global_load_u16 v1, v[12:13], off
	s_wait_loadcnt 0x0
	v_cvt_f32_f16_e32 v16, v1
.LBB19_1568:
	s_mov_b32 s0, 0
.LBB19_1569:
	s_delay_alu instid0(SALU_CYCLE_1)
	s_and_not1_b32 vcc_lo, exec_lo, s0
	s_cbranch_vccnz .LBB19_1589
; %bb.1570:
	s_cmp_lt_i32 s10, 2
	s_cbranch_scc1 .LBB19_1574
; %bb.1571:
	s_cmp_lt_i32 s10, 3
	s_cbranch_scc1 .LBB19_1575
; %bb.1572:
	s_cmp_gt_i32 s10, 3
	s_cbranch_scc0 .LBB19_1576
; %bb.1573:
	s_wait_loadcnt 0x0
	global_load_b64 v[16:17], v[12:13], off
	s_mov_b32 s0, 0
	s_wait_loadcnt 0x0
	v_xor_b32_e32 v1, v16, v17
	v_cls_i32_e32 v3, v17
	s_delay_alu instid0(VALU_DEP_2) | instskip(NEXT) | instid1(VALU_DEP_1)
	v_ashrrev_i32_e32 v1, 31, v1
	v_add_nc_u32_e32 v1, 32, v1
	s_delay_alu instid0(VALU_DEP_1) | instskip(NEXT) | instid1(VALU_DEP_1)
	v_add_min_u32_e64 v1, v3, -1, v1
	v_lshlrev_b64_e32 v[16:17], v1, v[16:17]
	v_sub_nc_u32_e32 v1, 32, v1
	s_delay_alu instid0(VALU_DEP_2) | instskip(NEXT) | instid1(VALU_DEP_1)
	v_min_u32_e32 v3, 1, v16
	v_or_b32_e32 v3, v17, v3
	s_delay_alu instid0(VALU_DEP_1) | instskip(NEXT) | instid1(VALU_DEP_1)
	v_cvt_f32_i32_e32 v3, v3
	v_ldexp_f32 v16, v3, v1
	s_branch .LBB19_1577
.LBB19_1574:
	s_mov_b32 s0, -1
                                        ; implicit-def: $vgpr16
	s_branch .LBB19_1583
.LBB19_1575:
	s_mov_b32 s0, -1
                                        ; implicit-def: $vgpr16
	s_branch .LBB19_1580
.LBB19_1576:
	s_mov_b32 s0, -1
                                        ; implicit-def: $vgpr16
.LBB19_1577:
	s_delay_alu instid0(SALU_CYCLE_1)
	s_and_not1_b32 vcc_lo, exec_lo, s0
	s_cbranch_vccnz .LBB19_1579
; %bb.1578:
	global_load_b32 v1, v[12:13], off
	s_wait_loadcnt 0x0
	v_cvt_f32_i32_e32 v16, v1
.LBB19_1579:
	s_mov_b32 s0, 0
.LBB19_1580:
	s_delay_alu instid0(SALU_CYCLE_1)
	s_and_not1_b32 vcc_lo, exec_lo, s0
	s_cbranch_vccnz .LBB19_1582
; %bb.1581:
	global_load_i16 v1, v[12:13], off
	s_wait_loadcnt 0x0
	v_cvt_f32_i32_e32 v16, v1
.LBB19_1582:
	s_mov_b32 s0, 0
.LBB19_1583:
	s_delay_alu instid0(SALU_CYCLE_1)
	s_and_not1_b32 vcc_lo, exec_lo, s0
	s_cbranch_vccnz .LBB19_1589
; %bb.1584:
	s_cmp_gt_i32 s10, 0
	s_mov_b32 s0, 0
	s_cbranch_scc0 .LBB19_1586
; %bb.1585:
	global_load_i8 v1, v[12:13], off
	s_wait_loadcnt 0x0
	v_cvt_f32_i32_e32 v16, v1
	s_branch .LBB19_1587
.LBB19_1586:
	s_mov_b32 s0, -1
                                        ; implicit-def: $vgpr16
.LBB19_1587:
	s_delay_alu instid0(SALU_CYCLE_1)
	s_and_not1_b32 vcc_lo, exec_lo, s0
	s_cbranch_vccnz .LBB19_1589
; %bb.1588:
	global_load_u8 v1, v[12:13], off
	s_wait_loadcnt 0x0
	v_cvt_f32_ubyte0_e32 v16, v1
.LBB19_1589:
.LBB19_1590:
	s_wait_xcnt 0x0
	v_mov_b32_e32 v12, 0x7f800000
	s_mov_b32 s11, exec_lo
	s_wait_loadcnt 0x0
	s_delay_alu instid0(VALU_DEP_2)
	v_cmpx_neq_f32_e32 0, v16
	s_cbranch_execz .LBB19_1598
; %bb.1591:
	v_mov_b32_e32 v12, 0x7fc00000
	s_mov_b32 s12, exec_lo
	v_cmpx_ngt_f32_e32 0, v16
	s_cbranch_execz .LBB19_1597
; %bb.1592:
                                        ; implicit-def: $vgpr12
	s_mov_b32 s0, exec_lo
	v_cmpx_ge_f32_e32 2.0, v16
	s_xor_b32 s13, exec_lo, s0
	s_cbranch_execz .LBB19_1594
; %bb.1593:
	v_mov_b32_e32 v17, 0.5
	s_mov_b32 s0, 0xa2a2e5b9
	v_mov_b64_e32 v[20:21], 0x3ad6e3ac293fd856
	v_mov_b64_e32 v[24:25], 0xbb8db2f12d3612e2
	;; [unrolled: 1-line block ×3, first 2 shown]
	v_pk_fma_f32 v[12:13], v[16:17], v[16:17], -2.0 op_sel_hi:[0,1,0]
	s_delay_alu instid0(VALU_DEP_1) | instskip(NEXT) | instid1(VALU_DEP_2)
	v_fmaak_f32 v1, s0, v13, 0x24199b15
	v_mul_f32_e32 v22, 0x251e770f, v12
	s_mov_b32 s0, 0xa51e770f
	s_delay_alu instid0(VALU_DEP_2) | instskip(NEXT) | instid1(VALU_DEP_1)
	v_fmaak_f32 v3, v13, v1, 0x22a2e5b9
	v_add_f32_e32 v3, 0xa58c275c, v3
	s_delay_alu instid0(VALU_DEP_1) | instskip(SKIP_1) | instid1(VALU_DEP_2)
	v_fma_f32 v1, v13, v3, -v1
	v_pk_mul_f32 v[26:27], v[16:17], v[16:17] op_sel_hi:[0,1]
	v_add_f32_e32 v1, 0x26f736c5, v1
	s_delay_alu instid0(VALU_DEP_2) | instskip(NEXT) | instid1(VALU_DEP_2)
	v_cmp_gt_f32_e32 vcc_lo, 0x800000, v27
	v_fma_f32 v3, v13, v1, -v3
	v_cndmask_b32_e64 v7, 0, 32, vcc_lo
	s_delay_alu instid0(VALU_DEP_2) | instskip(NEXT) | instid1(VALU_DEP_2)
	v_add_f32_e32 v3, 0xa8528116, v3
	v_ldexp_f32 v7, v27, v7
	s_delay_alu instid0(VALU_DEP_2) | instskip(NEXT) | instid1(VALU_DEP_1)
	v_fma_f32 v1, v13, v3, -v1
	v_add_f32_e32 v1, 0x29acda32, v1
	s_delay_alu instid0(VALU_DEP_1) | instskip(NEXT) | instid1(VALU_DEP_1)
	v_fma_f32 v3, v13, v1, -v3
	v_add_f32_e32 v3, 0xab08b263, v3
	s_delay_alu instid0(VALU_DEP_1) | instskip(NEXT) | instid1(VALU_DEP_1)
	;; [unrolled: 3-line block ×15, first 2 shown]
	v_fma_f32 v3, v13, v1, -v3
	v_add_f32_e32 v19, 0xba1717e9, v3
	s_delay_alu instid0(VALU_DEP_1) | instskip(SKIP_1) | instid1(VALU_DEP_2)
	v_fma_f32 v23, v13, v19, -v1
	v_mul_f32_e32 v1, 0x3fb8aa3b, v16
	v_pk_add_f32 v[20:21], v[22:23], v[20:21]
	s_delay_alu instid0(VALU_DEP_2)
	v_rndne_f32_e32 v3, v1
	v_mov_b32_e32 v18, 0xa51e770f
	v_mov_b64_e32 v[22:23], s[0:1]
	v_fma_f32 v5, 0x3fb8aa3b, v16, -v1
	v_cmp_ngt_f32_e64 s0, 0xc2ce8ed0, v16
	v_sub_f32_e32 v1, v1, v3
	v_pk_fma_f32 v[18:19], v[12:13], v[20:21], v[18:19] neg_lo:[0,0,1] neg_hi:[0,0,1]
	v_cvt_i32_f32_e32 v3, v3
	v_fmamk_f32 v5, v16, 0x32a5705f, v5
	v_pk_fma_f32 v[22:23], v[12:13], v[20:21], v[22:23]
	s_delay_alu instid0(VALU_DEP_2) | instskip(SKIP_1) | instid1(VALU_DEP_1)
	v_dual_mov_b32 v23, v19 :: v_dual_add_f32 v1, v1, v5
	v_log_f32_e32 v5, v7
	v_pk_add_f32 v[18:19], v[22:23], v[24:25]
	v_mov_b64_e32 v[22:23], 0x3c2ccb103102e09b
	v_mov_b64_e32 v[24:25], 0xc000000037bfc808
	s_delay_alu instid0(VALU_DEP_3) | instskip(NEXT) | instid1(TRANS32_DEP_1)
	v_pk_fma_f32 v[20:21], v[12:13], v[18:19], v[20:21] neg_lo:[0,0,1] neg_hi:[0,0,1]
	v_mul_f32_e32 v9, 0x3f317217, v5
	s_delay_alu instid0(VALU_DEP_2) | instskip(SKIP_1) | instid1(VALU_DEP_2)
	v_pk_add_f32 v[20:21], v[20:21], v[22:23]
	v_mov_b64_e32 v[22:23], 0xbcc274f8348815e7
	v_pk_fma_f32 v[18:19], v[12:13], v[20:21], v[18:19] neg_lo:[0,0,1] neg_hi:[0,0,1]
	s_delay_alu instid0(VALU_DEP_1) | instskip(SKIP_1) | instid1(VALU_DEP_2)
	v_pk_add_f32 v[18:19], v[18:19], v[22:23]
	v_mov_b64_e32 v[22:23], 0x3d49f45637bfc808
	v_pk_fma_f32 v[20:21], v[12:13], v[18:19], v[20:21] neg_lo:[0,0,1] neg_hi:[0,0,1]
	s_delay_alu instid0(VALU_DEP_1) | instskip(NEXT) | instid1(VALU_DEP_2)
	v_mov_b32_e32 v26, v20
	v_pk_add_f32 v[20:21], v[20:21], v[22:23]
	v_mov_b32_e32 v22, v12
	s_delay_alu instid0(VALU_DEP_3) | instskip(NEXT) | instid1(VALU_DEP_3)
	v_pk_add_f32 v[24:25], v[26:27], v[24:25]
	v_mov_b32_e32 v23, v21
	s_delay_alu instid0(VALU_DEP_1) | instskip(SKIP_1) | instid1(VALU_DEP_2)
	v_pk_fma_f32 v[18:19], v[24:25], v[22:23], v[18:19] neg_lo:[0,0,1] neg_hi:[0,0,1]
	v_mov_b64_e32 v[22:23], 0x3e2fbd643d135fb3
	v_pk_add_f32 v[18:19], v[18:19], v[28:29]
	s_delay_alu instid0(VALU_DEP_1) | instskip(NEXT) | instid1(VALU_DEP_1)
	v_pk_fma_f32 v[20:21], v[12:13], v[18:19], v[20:21] neg_lo:[0,0,1] neg_hi:[0,0,1]
	v_pk_add_f32 v[20:21], v[20:21], v[22:23]
	s_delay_alu instid0(VALU_DEP_1) | instskip(NEXT) | instid1(VALU_DEP_1)
	v_pk_fma_f32 v[18:19], v[12:13], v[20:21], v[18:19] neg_lo:[0,0,1] neg_hi:[0,0,1]
	v_dual_mov_b32 v22, v20 :: v_dual_add_f32 v7, 0xbe9bff5e, v19
	s_delay_alu instid0(VALU_DEP_2) | instskip(SKIP_2) | instid1(VALU_DEP_3)
	v_add_f32_e32 v11, 0x3eb046c4, v18
	v_mov_b32_e32 v18, 0xbf090b37
	v_exp_f32_e32 v1, v1
	v_fma_f32 v7, v13, v7, -v21
	s_delay_alu instid0(VALU_DEP_3) | instskip(NEXT) | instid1(TRANS32_DEP_1)
	v_mul_f32_e32 v12, v12, v11
	v_ldexp_f32 v1, v1, v3
	v_fma_f32 v3, 0x3f317217, v5, -v9
	s_delay_alu instid0(VALU_DEP_4) | instskip(NEXT) | instid1(VALU_DEP_3)
	v_add_f32_e32 v13, 0x3f2d4275, v7
	v_cndmask_b32_e64 v1, 0, v1, s0
	s_delay_alu instid0(VALU_DEP_3) | instskip(NEXT) | instid1(VALU_DEP_3)
	v_fmamk_f32 v3, v5, 0x3377d1cf, v3
	v_pk_add_f32 v[12:13], v[12:13], v[20:21] neg_lo:[0,1] neg_hi:[0,1]
	v_cmp_nlt_f32_e64 s0, 0x42b17218, v16
	s_delay_alu instid0(VALU_DEP_3) | instskip(NEXT) | instid1(VALU_DEP_3)
	v_fmac_f32_e32 v3, 0x3f317217, v5
	v_pk_mul_f32 v[24:25], v[12:13], v[16:17]
	s_delay_alu instid0(VALU_DEP_3) | instskip(SKIP_3) | instid1(VALU_DEP_4)
	v_cndmask_b32_e64 v23, 0x7f800000, v1, s0
	v_cndmask_b32_e64 v1, 0, 0x41b17218, vcc_lo
	v_cmp_gt_f32_e64 vcc_lo, 0x7f800000, |v5|
	v_pk_add_f32 v[12:13], v[12:13], v[18:19]
                                        ; implicit-def: $vgpr16
	v_pk_mul_f32 v[18:19], v[24:25], v[22:23]
	v_mov_b32_e32 v24, v17
	v_cndmask_b32_e32 v3, v5, v3, vcc_lo
	s_delay_alu instid0(VALU_DEP_4) | instskip(NEXT) | instid1(VALU_DEP_4)
	v_pk_add_f32 v[12:13], v[12:13], v[20:21] neg_lo:[0,1] neg_hi:[0,1]
	v_mov_b32_e32 v13, v19
	s_delay_alu instid0(VALU_DEP_3) | instskip(NEXT) | instid1(VALU_DEP_1)
	v_sub_f32_e32 v25, v3, v1
	v_pk_mul_f32 v[12:13], v[24:25], v[12:13]
	s_delay_alu instid0(VALU_DEP_1) | instskip(NEXT) | instid1(VALU_DEP_1)
	v_sub_f32_e32 v1, v12, v13
	v_mul_f32_e32 v12, v23, v1
.LBB19_1594:
	s_and_not1_saveexec_b32 s13, s13
	s_cbranch_execz .LBB19_1596
; %bb.1595:
	v_div_scale_f32 v1, null, v16, v16, 0x41000000
	v_div_scale_f32 v7, vcc_lo, 0x41000000, v16, 0x41000000
	s_mov_b32 s0, 0x22c38d2e
	v_rcp_f32_e32 v3, v1
	v_nop
	s_delay_alu instid0(TRANS32_DEP_1) | instskip(NEXT) | instid1(VALU_DEP_1)
	v_fma_f32 v5, -v1, v3, 1.0
	v_fmac_f32_e32 v3, v5, v3
	s_delay_alu instid0(VALU_DEP_1) | instskip(NEXT) | instid1(VALU_DEP_1)
	v_mul_f32_e32 v5, v7, v3
	v_fma_f32 v9, -v1, v5, v7
	s_delay_alu instid0(VALU_DEP_1) | instskip(NEXT) | instid1(VALU_DEP_1)
	v_fmac_f32_e32 v5, v9, v3
	v_fma_f32 v1, -v1, v5, v7
	v_mul_f32_e32 v7, 0x4f800000, v16
	s_delay_alu instid0(VALU_DEP_2) | instskip(SKIP_1) | instid1(VALU_DEP_2)
	v_div_fmas_f32 v1, v1, v3, v5
	v_cmp_gt_f32_e32 vcc_lo, 0xf800000, v16
	v_div_fixup_f32 v1, v1, v16, 0x41000000
	s_delay_alu instid0(VALU_DEP_1) | instskip(NEXT) | instid1(VALU_DEP_1)
	v_dual_cndmask_b32 v7, v16, v7, vcc_lo :: v_dual_add_f32 v1, -2.0, v1
	v_sqrt_f32_e32 v9, v7
	s_delay_alu instid0(VALU_DEP_1) | instskip(NEXT) | instid1(TRANS32_DEP_1)
	v_fmaak_f32 v3, s0, v1, 0xa397f665
	v_dual_add_nc_u32 v11, -1, v9 :: v_dual_add_nc_u32 v12, 1, v9
	s_delay_alu instid0(VALU_DEP_2) | instskip(NEXT) | instid1(VALU_DEP_2)
	v_fmaak_f32 v5, v1, v3, 0xa2c38d2e
	v_dual_fma_f32 v13, -v11, v9, v7 :: v_dual_fma_f32 v15, -v12, v9, v7
	s_delay_alu instid0(VALU_DEP_2) | instskip(NEXT) | instid1(VALU_DEP_2)
	v_add_f32_e32 v5, 0x24704972, v5
	v_cmp_ge_f32_e64 s0, 0, v13
	s_delay_alu instid0(VALU_DEP_2) | instskip(NEXT) | instid1(VALU_DEP_2)
	v_fma_f32 v3, v1, v5, -v3
	v_cndmask_b32_e64 v9, v9, v11, s0
	v_cmp_lt_f32_e64 s0, 0, v15
	s_delay_alu instid0(VALU_DEP_3) | instskip(NEXT) | instid1(VALU_DEP_2)
	v_add_f32_e32 v3, 0xa5417ca4, v3
	v_cndmask_b32_e64 v9, v9, v12, s0
	s_delay_alu instid0(VALU_DEP_2) | instskip(NEXT) | instid1(VALU_DEP_1)
	v_fma_f32 v5, v1, v3, -v5
	v_add_f32_e32 v5, 0x261edfcb, v5
	s_delay_alu instid0(VALU_DEP_1) | instskip(NEXT) | instid1(VALU_DEP_1)
	v_fma_f32 v3, v1, v5, -v3
	v_add_f32_e32 v3, 0xa7053487, v3
	s_delay_alu instid0(VALU_DEP_1) | instskip(NEXT) | instid1(VALU_DEP_1)
	;; [unrolled: 3-line block ×19, first 2 shown]
	v_fma_f32 v3, v1, v5, -v3
	v_add_f32_e32 v3, 0xbd00cfb9, v3
	s_delay_alu instid0(VALU_DEP_1) | instskip(SKIP_1) | instid1(VALU_DEP_2)
	v_fma_f32 v1, v1, v3, -v5
	v_mul_f32_e32 v3, 0x37800000, v9
	v_add_f32_e32 v1, 0x401c2ded, v1
	s_delay_alu instid0(VALU_DEP_2) | instskip(SKIP_1) | instid1(VALU_DEP_1)
	v_cndmask_b32_e32 v3, v9, v3, vcc_lo
	v_cmp_class_f32_e64 vcc_lo, v7, 0x260
	v_dual_sub_f32 v1, v1, v5 :: v_dual_cndmask_b32 v3, v3, v7, vcc_lo
	s_delay_alu instid0(VALU_DEP_1) | instskip(NEXT) | instid1(VALU_DEP_1)
	v_mul_f32_e32 v1, 0.5, v1
	v_div_scale_f32 v5, null, v3, v3, v1
	s_delay_alu instid0(VALU_DEP_1) | instskip(SKIP_1) | instid1(TRANS32_DEP_1)
	v_rcp_f32_e32 v7, v5
	v_nop
	v_fma_f32 v9, -v5, v7, 1.0
	s_delay_alu instid0(VALU_DEP_1) | instskip(SKIP_1) | instid1(VALU_DEP_1)
	v_fmac_f32_e32 v7, v9, v7
	v_div_scale_f32 v9, vcc_lo, v1, v3, v1
	v_mul_f32_e32 v11, v9, v7
	s_delay_alu instid0(VALU_DEP_1) | instskip(NEXT) | instid1(VALU_DEP_1)
	v_fma_f32 v12, -v5, v11, v9
	v_fmac_f32_e32 v11, v12, v7
	s_delay_alu instid0(VALU_DEP_1) | instskip(NEXT) | instid1(VALU_DEP_1)
	v_fma_f32 v5, -v5, v11, v9
	v_div_fmas_f32 v5, v5, v7, v11
	s_delay_alu instid0(VALU_DEP_1)
	v_div_fixup_f32 v12, v5, v3, v1
.LBB19_1596:
	s_or_b32 exec_lo, exec_lo, s13
.LBB19_1597:
	s_delay_alu instid0(SALU_CYCLE_1)
	s_or_b32 exec_lo, exec_lo, s12
.LBB19_1598:
	s_delay_alu instid0(SALU_CYCLE_1) | instskip(SKIP_2) | instid1(VALU_DEP_1)
	s_or_b32 exec_lo, exec_lo, s11
	v_mov_b32_e32 v15, 0
	s_cmp_lt_i32 s10, 11
	v_add_nc_u64_e32 v[14:15], s[6:7], v[14:15]
	s_cbranch_scc1 .LBB19_1605
; %bb.1599:
	s_cmp_gt_i32 s10, 25
	s_mov_b32 s6, 0
	s_cbranch_scc0 .LBB19_1606
; %bb.1600:
	s_cmp_gt_i32 s10, 28
	s_cbranch_scc0 .LBB19_1607
; %bb.1601:
	s_cmp_gt_i32 s10, 43
	;; [unrolled: 3-line block ×3, first 2 shown]
	s_cbranch_scc0 .LBB19_1610
; %bb.1603:
	s_cmp_eq_u32 s10, 46
	s_mov_b32 s11, 0
	s_cbranch_scc0 .LBB19_1611
; %bb.1604:
	global_load_b32 v1, v[14:15], off
	s_mov_b32 s0, 0
	s_mov_b32 s7, -1
	s_wait_loadcnt 0x0
	v_lshlrev_b32_e32 v16, 16, v1
	s_branch .LBB19_1613
.LBB19_1605:
	s_mov_b32 s0, -1
	s_mov_b32 s7, 0
                                        ; implicit-def: $vgpr16
	s_branch .LBB19_1679
.LBB19_1606:
	s_mov_b32 s11, -1
	s_mov_b32 s7, 0
	s_mov_b32 s0, 0
                                        ; implicit-def: $vgpr16
	s_branch .LBB19_1642
.LBB19_1607:
	s_mov_b32 s11, -1
	s_mov_b32 s7, 0
	s_mov_b32 s0, 0
                                        ; implicit-def: $vgpr16
	s_branch .LBB19_1623
.LBB19_1608:
	s_mov_b32 s11, -1
	s_mov_b32 s7, 0
	s_mov_b32 s0, 0
                                        ; implicit-def: $vgpr16
	s_branch .LBB19_1618
.LBB19_1609:
	s_or_b32 s1, s1, exec_lo
	s_trap 2
	s_cbranch_execz .LBB19_1540
	s_branch .LBB19_1541
.LBB19_1610:
	s_mov_b32 s11, -1
	s_mov_b32 s7, 0
	s_mov_b32 s0, 0
	s_branch .LBB19_1612
.LBB19_1611:
	s_mov_b32 s0, -1
	s_mov_b32 s7, 0
.LBB19_1612:
                                        ; implicit-def: $vgpr16
.LBB19_1613:
	s_and_b32 vcc_lo, exec_lo, s11
	s_cbranch_vccz .LBB19_1617
; %bb.1614:
	s_cmp_eq_u32 s10, 44
	s_cbranch_scc0 .LBB19_1616
; %bb.1615:
	global_load_u8 v1, v[14:15], off
	s_mov_b32 s0, 0
	s_mov_b32 s7, -1
	s_wait_loadcnt 0x0
	v_lshlrev_b32_e32 v3, 23, v1
	v_cmp_ne_u32_e32 vcc_lo, 0xff, v1
	s_delay_alu instid0(VALU_DEP_2) | instskip(SKIP_1) | instid1(VALU_DEP_2)
	v_cndmask_b32_e32 v3, 0x7f800001, v3, vcc_lo
	v_cmp_ne_u32_e32 vcc_lo, 0, v1
	v_cndmask_b32_e32 v16, 0x400000, v3, vcc_lo
	s_branch .LBB19_1617
.LBB19_1616:
	s_mov_b32 s0, -1
                                        ; implicit-def: $vgpr16
.LBB19_1617:
	s_mov_b32 s11, 0
.LBB19_1618:
	s_delay_alu instid0(SALU_CYCLE_1)
	s_and_b32 vcc_lo, exec_lo, s11
	s_cbranch_vccz .LBB19_1622
; %bb.1619:
	s_cmp_eq_u32 s10, 29
	s_cbranch_scc0 .LBB19_1621
; %bb.1620:
	global_load_b64 v[16:17], v[14:15], off
	s_mov_b32 s0, 0
	s_mov_b32 s7, -1
	s_mov_b32 s11, 0
	s_wait_loadcnt 0x0
	v_clz_i32_u32_e32 v1, v17
	s_delay_alu instid0(VALU_DEP_1) | instskip(NEXT) | instid1(VALU_DEP_1)
	v_min_u32_e32 v1, 32, v1
	v_lshlrev_b64_e32 v[16:17], v1, v[16:17]
	v_sub_nc_u32_e32 v1, 32, v1
	s_delay_alu instid0(VALU_DEP_2) | instskip(NEXT) | instid1(VALU_DEP_1)
	v_min_u32_e32 v3, 1, v16
	v_or_b32_e32 v3, v17, v3
	s_delay_alu instid0(VALU_DEP_1) | instskip(NEXT) | instid1(VALU_DEP_1)
	v_cvt_f32_u32_e32 v3, v3
	v_ldexp_f32 v16, v3, v1
	s_branch .LBB19_1623
.LBB19_1621:
	s_mov_b32 s0, -1
                                        ; implicit-def: $vgpr16
.LBB19_1622:
	s_mov_b32 s11, 0
.LBB19_1623:
	s_delay_alu instid0(SALU_CYCLE_1)
	s_and_b32 vcc_lo, exec_lo, s11
	s_cbranch_vccz .LBB19_1641
; %bb.1624:
	s_cmp_lt_i32 s10, 27
	s_cbranch_scc1 .LBB19_1627
; %bb.1625:
	s_cmp_gt_i32 s10, 27
	s_cbranch_scc0 .LBB19_1628
; %bb.1626:
	global_load_b32 v1, v[14:15], off
	s_mov_b32 s7, 0
	s_wait_loadcnt 0x0
	v_cvt_f32_u32_e32 v16, v1
	s_branch .LBB19_1629
.LBB19_1627:
	s_mov_b32 s7, -1
                                        ; implicit-def: $vgpr16
	s_branch .LBB19_1632
.LBB19_1628:
	s_mov_b32 s7, -1
                                        ; implicit-def: $vgpr16
.LBB19_1629:
	s_delay_alu instid0(SALU_CYCLE_1)
	s_and_not1_b32 vcc_lo, exec_lo, s7
	s_cbranch_vccnz .LBB19_1631
; %bb.1630:
	global_load_u16 v1, v[14:15], off
	s_wait_loadcnt 0x0
	v_cvt_f32_u32_e32 v16, v1
.LBB19_1631:
	s_mov_b32 s7, 0
.LBB19_1632:
	s_delay_alu instid0(SALU_CYCLE_1)
	s_and_not1_b32 vcc_lo, exec_lo, s7
	s_cbranch_vccnz .LBB19_1640
; %bb.1633:
	global_load_u8 v1, v[14:15], off
	s_mov_b32 s7, 0
	s_mov_b32 s11, exec_lo
	s_wait_loadcnt 0x0
	v_cmpx_lt_i16_e32 0x7f, v1
	s_xor_b32 s11, exec_lo, s11
	s_cbranch_execz .LBB19_1654
; %bb.1634:
	s_mov_b32 s7, -1
	s_mov_b32 s12, exec_lo
	v_cmpx_eq_u16_e32 0x80, v1
; %bb.1635:
	s_xor_b32 s7, exec_lo, -1
; %bb.1636:
	s_or_b32 exec_lo, exec_lo, s12
	s_delay_alu instid0(SALU_CYCLE_1)
	s_and_b32 s7, s7, exec_lo
	s_or_saveexec_b32 s11, s11
	v_mov_b32_e32 v16, 0x7f800001
	s_xor_b32 exec_lo, exec_lo, s11
	s_cbranch_execnz .LBB19_1655
.LBB19_1637:
	s_or_b32 exec_lo, exec_lo, s11
	s_and_saveexec_b32 s11, s7
	s_cbranch_execz .LBB19_1639
.LBB19_1638:
	v_and_b32_e32 v3, 0xffff, v1
	s_delay_alu instid0(VALU_DEP_1) | instskip(SKIP_1) | instid1(VALU_DEP_2)
	v_dual_lshlrev_b32 v1, 24, v1 :: v_dual_bitop2_b32 v5, 7, v3 bitop3:0x40
	v_bfe_u32 v11, v3, 3, 4
	v_and_b32_e32 v1, 0x80000000, v1
	s_delay_alu instid0(VALU_DEP_3) | instskip(NEXT) | instid1(VALU_DEP_3)
	v_clz_i32_u32_e32 v7, v5
	v_cmp_eq_u32_e32 vcc_lo, 0, v11
	s_delay_alu instid0(VALU_DEP_2) | instskip(NEXT) | instid1(VALU_DEP_1)
	v_min_u32_e32 v7, 32, v7
	v_subrev_nc_u32_e32 v9, 28, v7
	v_sub_nc_u32_e32 v7, 29, v7
	s_delay_alu instid0(VALU_DEP_2) | instskip(NEXT) | instid1(VALU_DEP_2)
	v_lshlrev_b32_e32 v3, v9, v3
	v_cndmask_b32_e32 v7, v11, v7, vcc_lo
	s_delay_alu instid0(VALU_DEP_2) | instskip(NEXT) | instid1(VALU_DEP_1)
	v_and_b32_e32 v3, 7, v3
	v_cndmask_b32_e32 v3, v5, v3, vcc_lo
	s_delay_alu instid0(VALU_DEP_3) | instskip(NEXT) | instid1(VALU_DEP_2)
	v_lshl_add_u32 v5, v7, 23, 0x3b800000
	v_lshlrev_b32_e32 v3, 20, v3
	s_delay_alu instid0(VALU_DEP_1)
	v_or3_b32 v16, v1, v5, v3
.LBB19_1639:
	s_or_b32 exec_lo, exec_lo, s11
.LBB19_1640:
	s_mov_b32 s7, -1
.LBB19_1641:
	s_mov_b32 s11, 0
.LBB19_1642:
	s_delay_alu instid0(SALU_CYCLE_1)
	s_and_b32 vcc_lo, exec_lo, s11
	s_cbranch_vccz .LBB19_1675
; %bb.1643:
	s_cmp_gt_i32 s10, 22
	s_cbranch_scc0 .LBB19_1653
; %bb.1644:
	s_cmp_lt_i32 s10, 24
	s_cbranch_scc1 .LBB19_1656
; %bb.1645:
	s_cmp_gt_i32 s10, 24
	s_cbranch_scc0 .LBB19_1657
; %bb.1646:
	global_load_u8 v1, v[14:15], off
	s_mov_b32 s7, exec_lo
	s_wait_loadcnt 0x0
	v_cmpx_lt_i16_e32 0x7f, v1
	s_xor_b32 s7, exec_lo, s7
	s_cbranch_execz .LBB19_1669
; %bb.1647:
	s_mov_b32 s6, -1
	s_mov_b32 s11, exec_lo
	v_cmpx_eq_u16_e32 0x80, v1
; %bb.1648:
	s_xor_b32 s6, exec_lo, -1
; %bb.1649:
	s_or_b32 exec_lo, exec_lo, s11
	s_delay_alu instid0(SALU_CYCLE_1)
	s_and_b32 s6, s6, exec_lo
	s_or_saveexec_b32 s7, s7
	v_mov_b32_e32 v16, 0x7f800001
	s_xor_b32 exec_lo, exec_lo, s7
	s_cbranch_execnz .LBB19_1670
.LBB19_1650:
	s_or_b32 exec_lo, exec_lo, s7
	s_and_saveexec_b32 s7, s6
	s_cbranch_execz .LBB19_1652
.LBB19_1651:
	v_and_b32_e32 v3, 0xffff, v1
	s_delay_alu instid0(VALU_DEP_1) | instskip(SKIP_1) | instid1(VALU_DEP_2)
	v_dual_lshlrev_b32 v1, 24, v1 :: v_dual_bitop2_b32 v5, 3, v3 bitop3:0x40
	v_bfe_u32 v11, v3, 2, 5
	v_and_b32_e32 v1, 0x80000000, v1
	s_delay_alu instid0(VALU_DEP_3) | instskip(NEXT) | instid1(VALU_DEP_3)
	v_clz_i32_u32_e32 v7, v5
	v_cmp_eq_u32_e32 vcc_lo, 0, v11
	s_delay_alu instid0(VALU_DEP_2) | instskip(NEXT) | instid1(VALU_DEP_1)
	v_min_u32_e32 v7, 32, v7
	v_subrev_nc_u32_e32 v9, 29, v7
	v_sub_nc_u32_e32 v7, 30, v7
	s_delay_alu instid0(VALU_DEP_2) | instskip(NEXT) | instid1(VALU_DEP_2)
	v_lshlrev_b32_e32 v3, v9, v3
	v_cndmask_b32_e32 v7, v11, v7, vcc_lo
	s_delay_alu instid0(VALU_DEP_2) | instskip(NEXT) | instid1(VALU_DEP_1)
	v_and_b32_e32 v3, 3, v3
	v_cndmask_b32_e32 v3, v5, v3, vcc_lo
	s_delay_alu instid0(VALU_DEP_3) | instskip(NEXT) | instid1(VALU_DEP_2)
	v_lshl_add_u32 v5, v7, 23, 0x37800000
	v_lshlrev_b32_e32 v3, 21, v3
	s_delay_alu instid0(VALU_DEP_1)
	v_or3_b32 v16, v1, v5, v3
.LBB19_1652:
	s_or_b32 exec_lo, exec_lo, s7
	s_mov_b32 s6, 0
	s_branch .LBB19_1658
.LBB19_1653:
	s_mov_b32 s6, -1
                                        ; implicit-def: $vgpr16
	s_branch .LBB19_1664
.LBB19_1654:
	s_or_saveexec_b32 s11, s11
	v_mov_b32_e32 v16, 0x7f800001
	s_xor_b32 exec_lo, exec_lo, s11
	s_cbranch_execz .LBB19_1637
.LBB19_1655:
	v_cmp_ne_u16_e32 vcc_lo, 0, v1
	v_mov_b32_e32 v16, 0
	s_and_not1_b32 s7, s7, exec_lo
	s_and_b32 s12, vcc_lo, exec_lo
	s_delay_alu instid0(SALU_CYCLE_1)
	s_or_b32 s7, s7, s12
	s_or_b32 exec_lo, exec_lo, s11
	s_and_saveexec_b32 s11, s7
	s_cbranch_execnz .LBB19_1638
	s_branch .LBB19_1639
.LBB19_1656:
	s_mov_b32 s6, -1
                                        ; implicit-def: $vgpr16
	s_branch .LBB19_1661
.LBB19_1657:
	s_mov_b32 s6, -1
                                        ; implicit-def: $vgpr16
.LBB19_1658:
	s_delay_alu instid0(SALU_CYCLE_1)
	s_and_b32 vcc_lo, exec_lo, s6
	s_cbranch_vccz .LBB19_1660
; %bb.1659:
	global_load_u8 v1, v[14:15], off
	s_wait_loadcnt 0x0
	v_lshlrev_b32_e32 v1, 24, v1
	s_delay_alu instid0(VALU_DEP_1) | instskip(NEXT) | instid1(VALU_DEP_1)
	v_and_b32_e32 v3, 0x7f000000, v1
	v_clz_i32_u32_e32 v5, v3
	v_add_nc_u32_e32 v9, 0x1000000, v3
	v_cmp_ne_u32_e32 vcc_lo, 0, v3
	s_delay_alu instid0(VALU_DEP_3) | instskip(NEXT) | instid1(VALU_DEP_1)
	v_min_u32_e32 v5, 32, v5
	v_sub_nc_u32_e64 v5, v5, 4 clamp
	s_delay_alu instid0(VALU_DEP_1) | instskip(NEXT) | instid1(VALU_DEP_1)
	v_dual_lshlrev_b32 v7, v5, v3 :: v_dual_lshlrev_b32 v5, 23, v5
	v_lshrrev_b32_e32 v7, 4, v7
	s_delay_alu instid0(VALU_DEP_1) | instskip(SKIP_1) | instid1(VALU_DEP_2)
	v_sub_nc_u32_e32 v5, v7, v5
	v_ashrrev_i32_e32 v7, 8, v9
	v_add_nc_u32_e32 v5, 0x3c000000, v5
	s_delay_alu instid0(VALU_DEP_1) | instskip(NEXT) | instid1(VALU_DEP_1)
	v_and_or_b32 v5, 0x7f800000, v7, v5
	v_cndmask_b32_e32 v3, 0, v5, vcc_lo
	s_delay_alu instid0(VALU_DEP_1)
	v_and_or_b32 v16, 0x80000000, v1, v3
.LBB19_1660:
	s_mov_b32 s6, 0
.LBB19_1661:
	s_delay_alu instid0(SALU_CYCLE_1)
	s_and_not1_b32 vcc_lo, exec_lo, s6
	s_cbranch_vccnz .LBB19_1663
; %bb.1662:
	global_load_u8 v1, v[14:15], off
	s_wait_loadcnt 0x0
	v_lshlrev_b32_e32 v3, 25, v1
	v_lshlrev_b16 v1, 8, v1
	s_delay_alu instid0(VALU_DEP_1) | instskip(SKIP_1) | instid1(VALU_DEP_2)
	v_and_or_b32 v7, 0x7f00, v1, 0.5
	v_bfe_i32 v1, v1, 0, 16
	v_add_f32_e32 v7, -0.5, v7
	v_lshrrev_b32_e32 v5, 4, v3
	v_cmp_gt_u32_e32 vcc_lo, 0x8000000, v3
	s_delay_alu instid0(VALU_DEP_2) | instskip(NEXT) | instid1(VALU_DEP_1)
	v_or_b32_e32 v5, 0x70000000, v5
	v_mul_f32_e32 v5, 0x7800000, v5
	s_delay_alu instid0(VALU_DEP_1) | instskip(NEXT) | instid1(VALU_DEP_1)
	v_cndmask_b32_e32 v3, v5, v7, vcc_lo
	v_and_or_b32 v16, 0x80000000, v1, v3
.LBB19_1663:
	s_mov_b32 s6, 0
	s_mov_b32 s7, -1
.LBB19_1664:
	s_and_not1_b32 vcc_lo, exec_lo, s6
	s_mov_b32 s6, 0
	s_cbranch_vccnz .LBB19_1675
; %bb.1665:
	s_cmp_gt_i32 s10, 14
	s_cbranch_scc0 .LBB19_1668
; %bb.1666:
	s_cmp_eq_u32 s10, 15
	s_cbranch_scc0 .LBB19_1671
; %bb.1667:
	global_load_u16 v1, v[14:15], off
	s_mov_b32 s0, 0
	s_mov_b32 s7, -1
	s_wait_loadcnt 0x0
	v_lshlrev_b32_e32 v16, 16, v1
	s_branch .LBB19_1673
.LBB19_1668:
	s_mov_b32 s6, -1
	s_branch .LBB19_1672
.LBB19_1669:
	s_or_saveexec_b32 s7, s7
	v_mov_b32_e32 v16, 0x7f800001
	s_xor_b32 exec_lo, exec_lo, s7
	s_cbranch_execz .LBB19_1650
.LBB19_1670:
	v_cmp_ne_u16_e32 vcc_lo, 0, v1
	v_mov_b32_e32 v16, 0
	s_and_not1_b32 s6, s6, exec_lo
	s_and_b32 s11, vcc_lo, exec_lo
	s_delay_alu instid0(SALU_CYCLE_1)
	s_or_b32 s6, s6, s11
	s_or_b32 exec_lo, exec_lo, s7
	s_and_saveexec_b32 s7, s6
	s_cbranch_execnz .LBB19_1651
	s_branch .LBB19_1652
.LBB19_1671:
	s_mov_b32 s0, -1
.LBB19_1672:
                                        ; implicit-def: $vgpr16
.LBB19_1673:
	s_and_b32 vcc_lo, exec_lo, s6
	s_mov_b32 s6, 0
	s_cbranch_vccz .LBB19_1675
; %bb.1674:
	s_cmp_lg_u32 s10, 11
	s_mov_b32 s6, -1
	s_cselect_b32 s0, -1, 0
.LBB19_1675:
	s_delay_alu instid0(SALU_CYCLE_1)
	s_and_b32 vcc_lo, exec_lo, s0
	s_cbranch_vccnz .LBB19_2217
; %bb.1676:
	s_and_not1_b32 vcc_lo, exec_lo, s6
	s_cbranch_vccnz .LBB19_1678
.LBB19_1677:
	global_load_u8 v1, v[14:15], off
	s_mov_b32 s7, -1
	s_wait_loadcnt 0x0
	v_cmp_ne_u16_e32 vcc_lo, 0, v1
	v_cndmask_b32_e64 v16, 0, 1.0, vcc_lo
.LBB19_1678:
	s_mov_b32 s0, 0
.LBB19_1679:
	s_delay_alu instid0(SALU_CYCLE_1)
	s_and_b32 vcc_lo, exec_lo, s0
	s_cbranch_vccz .LBB19_1728
; %bb.1680:
	s_cmp_lt_i32 s10, 5
	s_cbranch_scc1 .LBB19_1685
; %bb.1681:
	s_cmp_lt_i32 s10, 8
	s_cbranch_scc1 .LBB19_1686
	;; [unrolled: 3-line block ×3, first 2 shown]
; %bb.1683:
	s_cmp_gt_i32 s10, 9
	s_cbranch_scc0 .LBB19_1688
; %bb.1684:
	global_load_b64 v[16:17], v[14:15], off
	s_mov_b32 s0, 0
	s_wait_loadcnt 0x0
	v_cvt_f32_f64_e32 v16, v[16:17]
	s_branch .LBB19_1689
.LBB19_1685:
	s_mov_b32 s0, -1
                                        ; implicit-def: $vgpr16
	s_branch .LBB19_1707
.LBB19_1686:
	s_mov_b32 s0, -1
                                        ; implicit-def: $vgpr16
	s_branch .LBB19_1695
.LBB19_1687:
	s_mov_b32 s0, -1
                                        ; implicit-def: $vgpr16
	s_branch .LBB19_1692
.LBB19_1688:
	s_mov_b32 s0, -1
                                        ; implicit-def: $vgpr16
.LBB19_1689:
	s_delay_alu instid0(SALU_CYCLE_1)
	s_and_not1_b32 vcc_lo, exec_lo, s0
	s_cbranch_vccnz .LBB19_1691
; %bb.1690:
	global_load_b32 v16, v[14:15], off
.LBB19_1691:
	s_mov_b32 s0, 0
.LBB19_1692:
	s_delay_alu instid0(SALU_CYCLE_1)
	s_and_not1_b32 vcc_lo, exec_lo, s0
	s_cbranch_vccnz .LBB19_1694
; %bb.1693:
	global_load_b32 v1, v[14:15], off
	s_wait_loadcnt 0x0
	v_cvt_f32_f16_e32 v16, v1
.LBB19_1694:
	s_mov_b32 s0, 0
.LBB19_1695:
	s_delay_alu instid0(SALU_CYCLE_1)
	s_and_not1_b32 vcc_lo, exec_lo, s0
	s_cbranch_vccnz .LBB19_1706
; %bb.1696:
	s_cmp_lt_i32 s10, 6
	s_cbranch_scc1 .LBB19_1699
; %bb.1697:
	s_cmp_gt_i32 s10, 6
	s_cbranch_scc0 .LBB19_1700
; %bb.1698:
	s_wait_loadcnt 0x0
	global_load_b64 v[16:17], v[14:15], off
	s_mov_b32 s0, 0
	s_wait_loadcnt 0x0
	v_cvt_f32_f64_e32 v16, v[16:17]
	s_branch .LBB19_1701
.LBB19_1699:
	s_mov_b32 s0, -1
                                        ; implicit-def: $vgpr16
	s_branch .LBB19_1704
.LBB19_1700:
	s_mov_b32 s0, -1
                                        ; implicit-def: $vgpr16
.LBB19_1701:
	s_delay_alu instid0(SALU_CYCLE_1)
	s_and_not1_b32 vcc_lo, exec_lo, s0
	s_cbranch_vccnz .LBB19_1703
; %bb.1702:
	s_wait_loadcnt 0x0
	global_load_b32 v16, v[14:15], off
.LBB19_1703:
	s_mov_b32 s0, 0
.LBB19_1704:
	s_delay_alu instid0(SALU_CYCLE_1)
	s_and_not1_b32 vcc_lo, exec_lo, s0
	s_cbranch_vccnz .LBB19_1706
; %bb.1705:
	global_load_u16 v1, v[14:15], off
	s_wait_loadcnt 0x0
	v_cvt_f32_f16_e32 v16, v1
.LBB19_1706:
	s_mov_b32 s0, 0
.LBB19_1707:
	s_delay_alu instid0(SALU_CYCLE_1)
	s_and_not1_b32 vcc_lo, exec_lo, s0
	s_cbranch_vccnz .LBB19_1727
; %bb.1708:
	s_cmp_lt_i32 s10, 2
	s_cbranch_scc1 .LBB19_1712
; %bb.1709:
	s_cmp_lt_i32 s10, 3
	s_cbranch_scc1 .LBB19_1713
; %bb.1710:
	s_cmp_gt_i32 s10, 3
	s_cbranch_scc0 .LBB19_1714
; %bb.1711:
	s_wait_loadcnt 0x0
	global_load_b64 v[16:17], v[14:15], off
	s_mov_b32 s0, 0
	s_wait_loadcnt 0x0
	v_xor_b32_e32 v1, v16, v17
	v_cls_i32_e32 v3, v17
	s_delay_alu instid0(VALU_DEP_2) | instskip(NEXT) | instid1(VALU_DEP_1)
	v_ashrrev_i32_e32 v1, 31, v1
	v_add_nc_u32_e32 v1, 32, v1
	s_delay_alu instid0(VALU_DEP_1) | instskip(NEXT) | instid1(VALU_DEP_1)
	v_add_min_u32_e64 v1, v3, -1, v1
	v_lshlrev_b64_e32 v[16:17], v1, v[16:17]
	v_sub_nc_u32_e32 v1, 32, v1
	s_delay_alu instid0(VALU_DEP_2) | instskip(NEXT) | instid1(VALU_DEP_1)
	v_min_u32_e32 v3, 1, v16
	v_or_b32_e32 v3, v17, v3
	s_delay_alu instid0(VALU_DEP_1) | instskip(NEXT) | instid1(VALU_DEP_1)
	v_cvt_f32_i32_e32 v3, v3
	v_ldexp_f32 v16, v3, v1
	s_branch .LBB19_1715
.LBB19_1712:
	s_mov_b32 s0, -1
                                        ; implicit-def: $vgpr16
	s_branch .LBB19_1721
.LBB19_1713:
	s_mov_b32 s0, -1
                                        ; implicit-def: $vgpr16
	s_branch .LBB19_1718
.LBB19_1714:
	s_mov_b32 s0, -1
                                        ; implicit-def: $vgpr16
.LBB19_1715:
	s_delay_alu instid0(SALU_CYCLE_1)
	s_and_not1_b32 vcc_lo, exec_lo, s0
	s_cbranch_vccnz .LBB19_1717
; %bb.1716:
	global_load_b32 v1, v[14:15], off
	s_wait_loadcnt 0x0
	v_cvt_f32_i32_e32 v16, v1
.LBB19_1717:
	s_mov_b32 s0, 0
.LBB19_1718:
	s_delay_alu instid0(SALU_CYCLE_1)
	s_and_not1_b32 vcc_lo, exec_lo, s0
	s_cbranch_vccnz .LBB19_1720
; %bb.1719:
	global_load_i16 v1, v[14:15], off
	s_wait_loadcnt 0x0
	v_cvt_f32_i32_e32 v16, v1
.LBB19_1720:
	s_mov_b32 s0, 0
.LBB19_1721:
	s_delay_alu instid0(SALU_CYCLE_1)
	s_and_not1_b32 vcc_lo, exec_lo, s0
	s_cbranch_vccnz .LBB19_1727
; %bb.1722:
	s_cmp_gt_i32 s10, 0
	s_mov_b32 s0, 0
	s_cbranch_scc0 .LBB19_1724
; %bb.1723:
	global_load_i8 v1, v[14:15], off
	s_wait_loadcnt 0x0
	v_cvt_f32_i32_e32 v16, v1
	s_branch .LBB19_1725
.LBB19_1724:
	s_mov_b32 s0, -1
                                        ; implicit-def: $vgpr16
.LBB19_1725:
	s_delay_alu instid0(SALU_CYCLE_1)
	s_and_not1_b32 vcc_lo, exec_lo, s0
	s_cbranch_vccnz .LBB19_1727
; %bb.1726:
	global_load_u8 v1, v[14:15], off
	s_wait_loadcnt 0x0
	v_cvt_f32_ubyte0_e32 v16, v1
.LBB19_1727:
	s_mov_b32 s7, -1
.LBB19_1728:
	s_delay_alu instid0(SALU_CYCLE_1)
	s_and_not1_b32 vcc_lo, exec_lo, s7
	s_cbranch_vccnz .LBB19_1815
; %bb.1729:
	s_wait_xcnt 0x0
	v_mov_b32_e32 v14, 0x7f800000
	s_mov_b32 s6, exec_lo
	s_wait_loadcnt 0x0
	s_delay_alu instid0(VALU_DEP_2)
	v_cmpx_neq_f32_e32 0, v16
	s_cbranch_execz .LBB19_1737
; %bb.1730:
	v_mov_b32_e32 v14, 0x7fc00000
	s_mov_b32 s7, exec_lo
	v_cmpx_ngt_f32_e32 0, v16
	s_cbranch_execz .LBB19_1736
; %bb.1731:
                                        ; implicit-def: $vgpr14
	s_mov_b32 s0, exec_lo
	v_cmpx_ge_f32_e32 2.0, v16
	s_xor_b32 s10, exec_lo, s0
	s_cbranch_execz .LBB19_1733
; %bb.1732:
	v_mov_b32_e32 v17, 0.5
	s_mov_b32 s0, 0xa2a2e5b9
	v_mov_b64_e32 v[20:21], 0x3ad6e3ac293fd856
	v_mov_b64_e32 v[24:25], 0xbb8db2f12d3612e2
	v_mov_b64_e32 v[28:29], 0xbdc25b823aa5c174
	v_pk_fma_f32 v[14:15], v[16:17], v[16:17], -2.0 op_sel_hi:[0,1,0]
	s_delay_alu instid0(VALU_DEP_1) | instskip(NEXT) | instid1(VALU_DEP_2)
	v_fmaak_f32 v1, s0, v15, 0x24199b15
	v_mul_f32_e32 v22, 0x251e770f, v14
	s_mov_b32 s0, 0xa51e770f
	s_delay_alu instid0(VALU_DEP_2) | instskip(NEXT) | instid1(VALU_DEP_1)
	v_fmaak_f32 v3, v15, v1, 0x22a2e5b9
	v_add_f32_e32 v3, 0xa58c275c, v3
	s_delay_alu instid0(VALU_DEP_1) | instskip(SKIP_1) | instid1(VALU_DEP_2)
	v_fma_f32 v1, v15, v3, -v1
	v_pk_mul_f32 v[26:27], v[16:17], v[16:17] op_sel_hi:[0,1]
	v_add_f32_e32 v1, 0x26f736c5, v1
	s_delay_alu instid0(VALU_DEP_2) | instskip(NEXT) | instid1(VALU_DEP_2)
	v_cmp_gt_f32_e32 vcc_lo, 0x800000, v27
	v_fma_f32 v3, v15, v1, -v3
	v_cndmask_b32_e64 v7, 0, 32, vcc_lo
	s_delay_alu instid0(VALU_DEP_2) | instskip(NEXT) | instid1(VALU_DEP_2)
	v_add_f32_e32 v3, 0xa8528116, v3
	v_ldexp_f32 v7, v27, v7
	s_delay_alu instid0(VALU_DEP_2) | instskip(NEXT) | instid1(VALU_DEP_1)
	v_fma_f32 v1, v15, v3, -v1
	v_add_f32_e32 v1, 0x29acda32, v1
	s_delay_alu instid0(VALU_DEP_1) | instskip(NEXT) | instid1(VALU_DEP_1)
	v_fma_f32 v3, v15, v1, -v3
	v_add_f32_e32 v3, 0xab08b263, v3
	s_delay_alu instid0(VALU_DEP_1) | instskip(NEXT) | instid1(VALU_DEP_1)
	;; [unrolled: 3-line block ×15, first 2 shown]
	v_fma_f32 v3, v15, v1, -v3
	v_add_f32_e32 v19, 0xba1717e9, v3
	s_delay_alu instid0(VALU_DEP_1) | instskip(SKIP_1) | instid1(VALU_DEP_2)
	v_fma_f32 v23, v15, v19, -v1
	v_mul_f32_e32 v1, 0x3fb8aa3b, v16
	v_pk_add_f32 v[20:21], v[22:23], v[20:21]
	s_delay_alu instid0(VALU_DEP_2)
	v_rndne_f32_e32 v3, v1
	v_mov_b32_e32 v18, 0xa51e770f
	v_mov_b64_e32 v[22:23], s[0:1]
	v_fma_f32 v5, 0x3fb8aa3b, v16, -v1
	v_cmp_ngt_f32_e64 s0, 0xc2ce8ed0, v16
	v_sub_f32_e32 v1, v1, v3
	v_pk_fma_f32 v[18:19], v[14:15], v[20:21], v[18:19] neg_lo:[0,0,1] neg_hi:[0,0,1]
	v_cvt_i32_f32_e32 v3, v3
	v_fmamk_f32 v5, v16, 0x32a5705f, v5
	v_pk_fma_f32 v[22:23], v[14:15], v[20:21], v[22:23]
	s_delay_alu instid0(VALU_DEP_2) | instskip(SKIP_1) | instid1(VALU_DEP_1)
	v_dual_mov_b32 v23, v19 :: v_dual_add_f32 v1, v1, v5
	v_log_f32_e32 v5, v7
	v_pk_add_f32 v[18:19], v[22:23], v[24:25]
	v_mov_b64_e32 v[22:23], 0x3c2ccb103102e09b
	v_mov_b64_e32 v[24:25], 0xc000000037bfc808
	s_delay_alu instid0(VALU_DEP_3) | instskip(NEXT) | instid1(TRANS32_DEP_1)
	v_pk_fma_f32 v[20:21], v[14:15], v[18:19], v[20:21] neg_lo:[0,0,1] neg_hi:[0,0,1]
	v_mul_f32_e32 v9, 0x3f317217, v5
	s_delay_alu instid0(VALU_DEP_2) | instskip(SKIP_1) | instid1(VALU_DEP_2)
	v_pk_add_f32 v[20:21], v[20:21], v[22:23]
	v_mov_b64_e32 v[22:23], 0xbcc274f8348815e7
	v_pk_fma_f32 v[18:19], v[14:15], v[20:21], v[18:19] neg_lo:[0,0,1] neg_hi:[0,0,1]
	s_delay_alu instid0(VALU_DEP_1) | instskip(SKIP_1) | instid1(VALU_DEP_2)
	v_pk_add_f32 v[18:19], v[18:19], v[22:23]
	v_mov_b64_e32 v[22:23], 0x3d49f45637bfc808
	v_pk_fma_f32 v[20:21], v[14:15], v[18:19], v[20:21] neg_lo:[0,0,1] neg_hi:[0,0,1]
	s_delay_alu instid0(VALU_DEP_1) | instskip(NEXT) | instid1(VALU_DEP_2)
	v_mov_b32_e32 v26, v20
	v_pk_add_f32 v[20:21], v[20:21], v[22:23]
	v_mov_b32_e32 v22, v14
	s_delay_alu instid0(VALU_DEP_3) | instskip(NEXT) | instid1(VALU_DEP_3)
	v_pk_add_f32 v[24:25], v[26:27], v[24:25]
	v_mov_b32_e32 v23, v21
	s_delay_alu instid0(VALU_DEP_1) | instskip(SKIP_1) | instid1(VALU_DEP_2)
	v_pk_fma_f32 v[18:19], v[24:25], v[22:23], v[18:19] neg_lo:[0,0,1] neg_hi:[0,0,1]
	v_mov_b64_e32 v[22:23], 0x3e2fbd643d135fb3
	v_pk_add_f32 v[18:19], v[18:19], v[28:29]
	s_delay_alu instid0(VALU_DEP_1) | instskip(NEXT) | instid1(VALU_DEP_1)
	v_pk_fma_f32 v[20:21], v[14:15], v[18:19], v[20:21] neg_lo:[0,0,1] neg_hi:[0,0,1]
	v_pk_add_f32 v[20:21], v[20:21], v[22:23]
	s_delay_alu instid0(VALU_DEP_1) | instskip(NEXT) | instid1(VALU_DEP_1)
	v_pk_fma_f32 v[18:19], v[14:15], v[20:21], v[18:19] neg_lo:[0,0,1] neg_hi:[0,0,1]
	v_dual_mov_b32 v22, v20 :: v_dual_add_f32 v7, 0xbe9bff5e, v19
	s_delay_alu instid0(VALU_DEP_2) | instskip(SKIP_2) | instid1(VALU_DEP_3)
	v_add_f32_e32 v11, 0x3eb046c4, v18
	v_mov_b32_e32 v18, 0xbf090b37
	v_exp_f32_e32 v1, v1
	v_fma_f32 v7, v15, v7, -v21
	s_delay_alu instid0(VALU_DEP_3) | instskip(NEXT) | instid1(TRANS32_DEP_1)
	v_mul_f32_e32 v14, v14, v11
	v_ldexp_f32 v1, v1, v3
	v_fma_f32 v3, 0x3f317217, v5, -v9
	s_delay_alu instid0(VALU_DEP_4) | instskip(NEXT) | instid1(VALU_DEP_3)
	v_add_f32_e32 v15, 0x3f2d4275, v7
	v_cndmask_b32_e64 v1, 0, v1, s0
	s_delay_alu instid0(VALU_DEP_3) | instskip(NEXT) | instid1(VALU_DEP_3)
	v_fmamk_f32 v3, v5, 0x3377d1cf, v3
	v_pk_add_f32 v[14:15], v[14:15], v[20:21] neg_lo:[0,1] neg_hi:[0,1]
	v_cmp_nlt_f32_e64 s0, 0x42b17218, v16
	s_delay_alu instid0(VALU_DEP_3) | instskip(NEXT) | instid1(VALU_DEP_3)
	v_fmac_f32_e32 v3, 0x3f317217, v5
	v_pk_mul_f32 v[24:25], v[14:15], v[16:17]
	s_delay_alu instid0(VALU_DEP_3) | instskip(SKIP_3) | instid1(VALU_DEP_4)
	v_cndmask_b32_e64 v23, 0x7f800000, v1, s0
	v_cndmask_b32_e64 v1, 0, 0x41b17218, vcc_lo
	v_cmp_gt_f32_e64 vcc_lo, 0x7f800000, |v5|
	v_pk_add_f32 v[14:15], v[14:15], v[18:19]
                                        ; implicit-def: $vgpr16
	v_pk_mul_f32 v[18:19], v[24:25], v[22:23]
	v_mov_b32_e32 v24, v17
	v_cndmask_b32_e32 v3, v5, v3, vcc_lo
	s_delay_alu instid0(VALU_DEP_4) | instskip(NEXT) | instid1(VALU_DEP_4)
	v_pk_add_f32 v[14:15], v[14:15], v[20:21] neg_lo:[0,1] neg_hi:[0,1]
	v_mov_b32_e32 v15, v19
	s_delay_alu instid0(VALU_DEP_3) | instskip(NEXT) | instid1(VALU_DEP_1)
	v_sub_f32_e32 v25, v3, v1
	v_pk_mul_f32 v[14:15], v[24:25], v[14:15]
	s_delay_alu instid0(VALU_DEP_1) | instskip(NEXT) | instid1(VALU_DEP_1)
	v_sub_f32_e32 v1, v14, v15
	v_mul_f32_e32 v14, v23, v1
.LBB19_1733:
	s_and_not1_saveexec_b32 s10, s10
	s_cbranch_execz .LBB19_1735
; %bb.1734:
	v_div_scale_f32 v1, null, v16, v16, 0x41000000
	v_div_scale_f32 v7, vcc_lo, 0x41000000, v16, 0x41000000
	s_mov_b32 s0, 0x22c38d2e
	v_rcp_f32_e32 v3, v1
	v_nop
	s_delay_alu instid0(TRANS32_DEP_1) | instskip(NEXT) | instid1(VALU_DEP_1)
	v_fma_f32 v5, -v1, v3, 1.0
	v_fmac_f32_e32 v3, v5, v3
	s_delay_alu instid0(VALU_DEP_1) | instskip(NEXT) | instid1(VALU_DEP_1)
	v_mul_f32_e32 v5, v7, v3
	v_fma_f32 v9, -v1, v5, v7
	s_delay_alu instid0(VALU_DEP_1) | instskip(NEXT) | instid1(VALU_DEP_1)
	v_fmac_f32_e32 v5, v9, v3
	v_fma_f32 v1, -v1, v5, v7
	v_mul_f32_e32 v7, 0x4f800000, v16
	s_delay_alu instid0(VALU_DEP_2) | instskip(SKIP_1) | instid1(VALU_DEP_2)
	v_div_fmas_f32 v1, v1, v3, v5
	v_cmp_gt_f32_e32 vcc_lo, 0xf800000, v16
	v_div_fixup_f32 v1, v1, v16, 0x41000000
	s_delay_alu instid0(VALU_DEP_1) | instskip(NEXT) | instid1(VALU_DEP_1)
	v_dual_cndmask_b32 v7, v16, v7, vcc_lo :: v_dual_add_f32 v1, -2.0, v1
	v_sqrt_f32_e32 v9, v7
	s_delay_alu instid0(VALU_DEP_1) | instskip(NEXT) | instid1(TRANS32_DEP_1)
	v_fmaak_f32 v3, s0, v1, 0xa397f665
	v_dual_add_nc_u32 v11, -1, v9 :: v_dual_add_nc_u32 v13, 1, v9
	s_delay_alu instid0(VALU_DEP_2) | instskip(NEXT) | instid1(VALU_DEP_2)
	v_fmaak_f32 v5, v1, v3, 0xa2c38d2e
	v_dual_fma_f32 v14, -v11, v9, v7 :: v_dual_fma_f32 v15, -v13, v9, v7
	s_delay_alu instid0(VALU_DEP_2) | instskip(NEXT) | instid1(VALU_DEP_2)
	v_add_f32_e32 v5, 0x24704972, v5
	v_cmp_ge_f32_e64 s0, 0, v14
	s_delay_alu instid0(VALU_DEP_2) | instskip(NEXT) | instid1(VALU_DEP_2)
	v_fma_f32 v3, v1, v5, -v3
	v_cndmask_b32_e64 v9, v9, v11, s0
	v_cmp_lt_f32_e64 s0, 0, v15
	s_delay_alu instid0(VALU_DEP_3) | instskip(NEXT) | instid1(VALU_DEP_2)
	v_add_f32_e32 v3, 0xa5417ca4, v3
	v_cndmask_b32_e64 v9, v9, v13, s0
	s_delay_alu instid0(VALU_DEP_2) | instskip(NEXT) | instid1(VALU_DEP_1)
	v_fma_f32 v5, v1, v3, -v5
	v_add_f32_e32 v5, 0x261edfcb, v5
	s_delay_alu instid0(VALU_DEP_1) | instskip(NEXT) | instid1(VALU_DEP_1)
	v_fma_f32 v3, v1, v5, -v3
	v_add_f32_e32 v3, 0xa7053487, v3
	s_delay_alu instid0(VALU_DEP_1) | instskip(NEXT) | instid1(VALU_DEP_1)
	;; [unrolled: 3-line block ×19, first 2 shown]
	v_fma_f32 v3, v1, v5, -v3
	v_add_f32_e32 v3, 0xbd00cfb9, v3
	s_delay_alu instid0(VALU_DEP_1) | instskip(SKIP_1) | instid1(VALU_DEP_2)
	v_fma_f32 v1, v1, v3, -v5
	v_mul_f32_e32 v3, 0x37800000, v9
	v_add_f32_e32 v1, 0x401c2ded, v1
	s_delay_alu instid0(VALU_DEP_2) | instskip(SKIP_1) | instid1(VALU_DEP_1)
	v_cndmask_b32_e32 v3, v9, v3, vcc_lo
	v_cmp_class_f32_e64 vcc_lo, v7, 0x260
	v_dual_sub_f32 v1, v1, v5 :: v_dual_cndmask_b32 v3, v3, v7, vcc_lo
	s_delay_alu instid0(VALU_DEP_1) | instskip(NEXT) | instid1(VALU_DEP_1)
	v_mul_f32_e32 v1, 0.5, v1
	v_div_scale_f32 v5, null, v3, v3, v1
	s_delay_alu instid0(VALU_DEP_1) | instskip(SKIP_1) | instid1(TRANS32_DEP_1)
	v_rcp_f32_e32 v7, v5
	v_nop
	v_fma_f32 v9, -v5, v7, 1.0
	s_delay_alu instid0(VALU_DEP_1) | instskip(SKIP_1) | instid1(VALU_DEP_1)
	v_fmac_f32_e32 v7, v9, v7
	v_div_scale_f32 v9, vcc_lo, v1, v3, v1
	v_mul_f32_e32 v11, v9, v7
	s_delay_alu instid0(VALU_DEP_1) | instskip(NEXT) | instid1(VALU_DEP_1)
	v_fma_f32 v13, -v5, v11, v9
	v_fmac_f32_e32 v11, v13, v7
	s_delay_alu instid0(VALU_DEP_1) | instskip(NEXT) | instid1(VALU_DEP_1)
	v_fma_f32 v5, -v5, v11, v9
	v_div_fmas_f32 v5, v5, v7, v11
	s_delay_alu instid0(VALU_DEP_1)
	v_div_fixup_f32 v14, v5, v3, v1
.LBB19_1735:
	s_or_b32 exec_lo, exec_lo, s10
.LBB19_1736:
	s_delay_alu instid0(SALU_CYCLE_1)
	s_or_b32 exec_lo, exec_lo, s7
.LBB19_1737:
	s_delay_alu instid0(SALU_CYCLE_1)
	s_or_b32 exec_lo, exec_lo, s6
	v_mov_b32_e32 v7, 0
	global_load_u8 v1, v7, s[2:3] offset:345
	s_wait_xcnt 0x0
	v_add_nc_u64_e32 v[6:7], s[4:5], v[6:7]
	s_wait_loadcnt 0x0
	v_and_b32_e32 v3, 0xffff, v1
	v_readfirstlane_b32 s6, v1
	s_delay_alu instid0(VALU_DEP_2)
	v_cmp_gt_i32_e32 vcc_lo, 11, v3
	s_cbranch_vccnz .LBB19_1860
; %bb.1738:
	s_and_b32 s2, 0xffff, s6
	s_mov_b32 s10, -1
	s_mov_b32 s3, 0
	s_cmp_gt_i32 s2, 25
	s_mov_b32 s7, 0
	s_mov_b32 s0, 0
	s_cbranch_scc0 .LBB19_1771
; %bb.1739:
	s_cmp_gt_i32 s2, 28
	s_cbranch_scc0 .LBB19_1754
; %bb.1740:
	s_cmp_gt_i32 s2, 43
	;; [unrolled: 3-line block ×3, first 2 shown]
	s_cbranch_scc0 .LBB19_1744
; %bb.1742:
	s_mov_b32 s0, -1
	s_mov_b32 s10, 0
	s_cmp_eq_u32 s2, 46
	s_cbranch_scc0 .LBB19_1744
; %bb.1743:
	v_bfe_u32 v1, v8, 16, 1
	v_cmp_o_f32_e32 vcc_lo, v8, v8
	s_mov_b32 s0, 0
	s_mov_b32 s7, -1
	s_delay_alu instid0(VALU_DEP_2) | instskip(NEXT) | instid1(VALU_DEP_1)
	v_add3_u32 v1, v8, v1, 0x7fff
	v_lshrrev_b32_e32 v1, 16, v1
	s_delay_alu instid0(VALU_DEP_1)
	v_cndmask_b32_e32 v1, 0x7fc0, v1, vcc_lo
	global_store_b32 v[6:7], v1, off
.LBB19_1744:
	s_and_b32 vcc_lo, exec_lo, s10
	s_cbranch_vccz .LBB19_1749
; %bb.1745:
	s_cmp_eq_u32 s2, 44
	s_mov_b32 s0, -1
	s_cbranch_scc0 .LBB19_1749
; %bb.1746:
	v_bfe_u32 v3, v8, 23, 8
	s_wait_xcnt 0x0
	v_mov_b32_e32 v1, 0xff
	s_mov_b32 s7, exec_lo
	s_delay_alu instid0(VALU_DEP_2)
	v_cmpx_ne_u32_e32 0xff, v3
	s_cbranch_execz .LBB19_1748
; %bb.1747:
	v_and_b32_e32 v1, 0x400000, v8
	v_and_or_b32 v3, 0x3fffff, v8, v3
	s_delay_alu instid0(VALU_DEP_2) | instskip(NEXT) | instid1(VALU_DEP_2)
	v_cmp_ne_u32_e32 vcc_lo, 0, v1
	v_cmp_ne_u32_e64 s0, 0, v3
	v_lshrrev_b32_e32 v1, 23, v8
	s_and_b32 s0, vcc_lo, s0
	s_delay_alu instid0(SALU_CYCLE_1) | instskip(NEXT) | instid1(VALU_DEP_1)
	v_cndmask_b32_e64 v3, 0, 1, s0
	v_add_nc_u32_e32 v1, v1, v3
.LBB19_1748:
	s_or_b32 exec_lo, exec_lo, s7
	s_mov_b32 s0, 0
	s_mov_b32 s7, -1
	global_store_b8 v[6:7], v1, off
.LBB19_1749:
	s_mov_b32 s10, 0
.LBB19_1750:
	s_delay_alu instid0(SALU_CYCLE_1)
	s_and_b32 vcc_lo, exec_lo, s10
	s_cbranch_vccz .LBB19_1753
; %bb.1751:
	s_cmp_eq_u32 s2, 29
	s_mov_b32 s0, -1
	s_cbranch_scc0 .LBB19_1753
; %bb.1752:
	s_wait_xcnt 0x0
	v_trunc_f32_e32 v1, v8
	s_mov_b32 s0, 0
	s_mov_b32 s7, -1
	s_delay_alu instid0(VALU_DEP_1) | instskip(NEXT) | instid1(VALU_DEP_1)
	v_mul_f32_e32 v3, 0x2f800000, v1
	v_floor_f32_e32 v3, v3
	s_delay_alu instid0(VALU_DEP_1) | instskip(SKIP_1) | instid1(VALU_DEP_2)
	v_fmamk_f32 v1, v3, 0xcf800000, v1
	v_cvt_u32_f32_e32 v17, v3
	v_cvt_u32_f32_e32 v16, v1
	global_store_b64 v[6:7], v[16:17], off
.LBB19_1753:
	s_mov_b32 s10, 0
.LBB19_1754:
	s_delay_alu instid0(SALU_CYCLE_1)
	s_and_b32 vcc_lo, exec_lo, s10
	s_cbranch_vccz .LBB19_1770
; %bb.1755:
	s_cmp_lt_i32 s2, 27
	s_mov_b32 s7, -1
	s_cbranch_scc1 .LBB19_1761
; %bb.1756:
	s_wait_xcnt 0x0
	v_cvt_u32_f32_e32 v1, v8
	s_cmp_gt_i32 s2, 27
	s_cbranch_scc0 .LBB19_1758
; %bb.1757:
	s_mov_b32 s7, 0
	global_store_b32 v[6:7], v1, off
.LBB19_1758:
	s_and_not1_b32 vcc_lo, exec_lo, s7
	s_cbranch_vccnz .LBB19_1760
; %bb.1759:
	global_store_b16 v[6:7], v1, off
.LBB19_1760:
	s_mov_b32 s7, 0
.LBB19_1761:
	s_delay_alu instid0(SALU_CYCLE_1)
	s_and_not1_b32 vcc_lo, exec_lo, s7
	s_cbranch_vccnz .LBB19_1769
; %bb.1762:
	s_wait_xcnt 0x0
	v_and_b32_e32 v1, 0x7fffffff, v8
	v_mov_b32_e32 v3, 0x80
	s_mov_b32 s7, exec_lo
	s_delay_alu instid0(VALU_DEP_2)
	v_cmpx_gt_u32_e32 0x43800000, v1
	s_cbranch_execz .LBB19_1768
; %bb.1763:
	v_cmp_lt_u32_e32 vcc_lo, 0x3bffffff, v1
	s_mov_b32 s10, 0
                                        ; implicit-def: $vgpr1
	s_and_saveexec_b32 s11, vcc_lo
	s_delay_alu instid0(SALU_CYCLE_1)
	s_xor_b32 s11, exec_lo, s11
	s_cbranch_execz .LBB19_2218
; %bb.1764:
	v_bfe_u32 v1, v8, 20, 1
	s_mov_b32 s10, exec_lo
	s_delay_alu instid0(VALU_DEP_1) | instskip(NEXT) | instid1(VALU_DEP_1)
	v_add3_u32 v1, v8, v1, 0x487ffff
	v_lshrrev_b32_e32 v1, 20, v1
	s_and_not1_saveexec_b32 s11, s11
	s_cbranch_execnz .LBB19_2219
.LBB19_1765:
	s_or_b32 exec_lo, exec_lo, s11
	v_mov_b32_e32 v3, 0
	s_and_saveexec_b32 s11, s10
.LBB19_1766:
	v_lshrrev_b32_e32 v3, 24, v8
	s_delay_alu instid0(VALU_DEP_1)
	v_and_or_b32 v3, 0x80, v3, v1
.LBB19_1767:
	s_or_b32 exec_lo, exec_lo, s11
.LBB19_1768:
	s_delay_alu instid0(SALU_CYCLE_1)
	s_or_b32 exec_lo, exec_lo, s7
	global_store_b8 v[6:7], v3, off
.LBB19_1769:
	s_mov_b32 s7, -1
.LBB19_1770:
	s_mov_b32 s10, 0
.LBB19_1771:
	s_delay_alu instid0(SALU_CYCLE_1)
	s_and_b32 vcc_lo, exec_lo, s10
	s_cbranch_vccz .LBB19_1811
; %bb.1772:
	s_cmp_gt_i32 s2, 22
	s_mov_b32 s3, -1
	s_cbranch_scc0 .LBB19_1804
; %bb.1773:
	s_cmp_lt_i32 s2, 24
	s_cbranch_scc1 .LBB19_1793
; %bb.1774:
	s_cmp_gt_i32 s2, 24
	s_cbranch_scc0 .LBB19_1782
; %bb.1775:
	s_wait_xcnt 0x0
	v_and_b32_e32 v1, 0x7fffffff, v8
	v_mov_b32_e32 v3, 0x80
	s_mov_b32 s3, exec_lo
	s_delay_alu instid0(VALU_DEP_2)
	v_cmpx_gt_u32_e32 0x47800000, v1
	s_cbranch_execz .LBB19_1781
; %bb.1776:
	v_cmp_lt_u32_e32 vcc_lo, 0x37ffffff, v1
	s_mov_b32 s7, 0
                                        ; implicit-def: $vgpr1
	s_and_saveexec_b32 s10, vcc_lo
	s_delay_alu instid0(SALU_CYCLE_1)
	s_xor_b32 s10, exec_lo, s10
	s_cbranch_execz .LBB19_2221
; %bb.1777:
	v_bfe_u32 v1, v8, 21, 1
	s_mov_b32 s7, exec_lo
	s_delay_alu instid0(VALU_DEP_1) | instskip(NEXT) | instid1(VALU_DEP_1)
	v_add3_u32 v1, v8, v1, 0x88fffff
	v_lshrrev_b32_e32 v1, 21, v1
	s_and_not1_saveexec_b32 s10, s10
	s_cbranch_execnz .LBB19_2222
.LBB19_1778:
	s_or_b32 exec_lo, exec_lo, s10
	v_mov_b32_e32 v3, 0
	s_and_saveexec_b32 s10, s7
.LBB19_1779:
	v_lshrrev_b32_e32 v3, 24, v8
	s_delay_alu instid0(VALU_DEP_1)
	v_and_or_b32 v3, 0x80, v3, v1
.LBB19_1780:
	s_or_b32 exec_lo, exec_lo, s10
.LBB19_1781:
	s_delay_alu instid0(SALU_CYCLE_1)
	s_or_b32 exec_lo, exec_lo, s3
	s_mov_b32 s3, 0
	global_store_b8 v[6:7], v3, off
.LBB19_1782:
	s_and_b32 vcc_lo, exec_lo, s3
	s_cbranch_vccz .LBB19_1792
; %bb.1783:
	s_wait_xcnt 0x0
	v_and_b32_e32 v3, 0x7fffffff, v8
	s_mov_b32 s3, exec_lo
                                        ; implicit-def: $vgpr1
	s_delay_alu instid0(VALU_DEP_1)
	v_cmpx_gt_u32_e32 0x43f00000, v3
	s_xor_b32 s3, exec_lo, s3
	s_cbranch_execz .LBB19_1789
; %bb.1784:
	s_mov_b32 s7, exec_lo
                                        ; implicit-def: $vgpr1
	v_cmpx_lt_u32_e32 0x3c7fffff, v3
	s_xor_b32 s7, exec_lo, s7
; %bb.1785:
	v_bfe_u32 v1, v8, 20, 1
	s_delay_alu instid0(VALU_DEP_1) | instskip(NEXT) | instid1(VALU_DEP_1)
	v_add3_u32 v1, v8, v1, 0x407ffff
	v_and_b32_e32 v3, 0xff00000, v1
	v_lshrrev_b32_e32 v1, 20, v1
	s_delay_alu instid0(VALU_DEP_2) | instskip(NEXT) | instid1(VALU_DEP_2)
	v_cmp_ne_u32_e32 vcc_lo, 0x7f00000, v3
	v_cndmask_b32_e32 v1, 0x7e, v1, vcc_lo
; %bb.1786:
	s_and_not1_saveexec_b32 s7, s7
; %bb.1787:
	v_add_f32_e64 v1, 0x46800000, |v8|
; %bb.1788:
	s_or_b32 exec_lo, exec_lo, s7
                                        ; implicit-def: $vgpr3
.LBB19_1789:
	s_and_not1_saveexec_b32 s3, s3
; %bb.1790:
	v_mov_b32_e32 v1, 0x7f
	v_cmp_lt_u32_e32 vcc_lo, 0x7f800000, v3
	s_delay_alu instid0(VALU_DEP_2)
	v_cndmask_b32_e32 v1, 0x7e, v1, vcc_lo
; %bb.1791:
	s_or_b32 exec_lo, exec_lo, s3
	v_lshrrev_b32_e32 v3, 24, v8
	s_delay_alu instid0(VALU_DEP_1)
	v_and_or_b32 v1, 0x80, v3, v1
	global_store_b8 v[6:7], v1, off
.LBB19_1792:
	s_mov_b32 s3, 0
.LBB19_1793:
	s_delay_alu instid0(SALU_CYCLE_1)
	s_and_not1_b32 vcc_lo, exec_lo, s3
	s_cbranch_vccnz .LBB19_1803
; %bb.1794:
	s_wait_xcnt 0x0
	v_and_b32_e32 v3, 0x7fffffff, v8
	s_mov_b32 s3, exec_lo
                                        ; implicit-def: $vgpr1
	s_delay_alu instid0(VALU_DEP_1)
	v_cmpx_gt_u32_e32 0x47800000, v3
	s_xor_b32 s3, exec_lo, s3
	s_cbranch_execz .LBB19_1800
; %bb.1795:
	s_mov_b32 s7, exec_lo
                                        ; implicit-def: $vgpr1
	v_cmpx_lt_u32_e32 0x387fffff, v3
	s_xor_b32 s7, exec_lo, s7
; %bb.1796:
	v_bfe_u32 v1, v8, 21, 1
	s_delay_alu instid0(VALU_DEP_1) | instskip(NEXT) | instid1(VALU_DEP_1)
	v_add3_u32 v1, v8, v1, 0x80fffff
	v_lshrrev_b32_e32 v1, 21, v1
; %bb.1797:
	s_and_not1_saveexec_b32 s7, s7
; %bb.1798:
	v_add_f32_e64 v1, 0x43000000, |v8|
; %bb.1799:
	s_or_b32 exec_lo, exec_lo, s7
                                        ; implicit-def: $vgpr3
.LBB19_1800:
	s_and_not1_saveexec_b32 s3, s3
; %bb.1801:
	v_mov_b32_e32 v1, 0x7f
	v_cmp_lt_u32_e32 vcc_lo, 0x7f800000, v3
	s_delay_alu instid0(VALU_DEP_2)
	v_cndmask_b32_e32 v1, 0x7c, v1, vcc_lo
; %bb.1802:
	s_or_b32 exec_lo, exec_lo, s3
	v_lshrrev_b32_e32 v3, 24, v8
	s_delay_alu instid0(VALU_DEP_1)
	v_and_or_b32 v1, 0x80, v3, v1
	global_store_b8 v[6:7], v1, off
.LBB19_1803:
	s_mov_b32 s3, 0
	s_mov_b32 s7, -1
.LBB19_1804:
	s_and_not1_b32 vcc_lo, exec_lo, s3
	s_mov_b32 s3, 0
	s_cbranch_vccnz .LBB19_1811
; %bb.1805:
	s_cmp_gt_i32 s2, 14
	s_mov_b32 s3, -1
	s_cbranch_scc0 .LBB19_1809
; %bb.1806:
	s_cmp_eq_u32 s2, 15
	s_mov_b32 s0, -1
	s_cbranch_scc0 .LBB19_1808
; %bb.1807:
	s_wait_xcnt 0x0
	v_bfe_u32 v1, v8, 16, 1
	v_cmp_o_f32_e32 vcc_lo, v8, v8
	s_mov_b32 s0, 0
	s_mov_b32 s7, -1
	s_delay_alu instid0(VALU_DEP_2) | instskip(NEXT) | instid1(VALU_DEP_1)
	v_add3_u32 v1, v8, v1, 0x7fff
	v_lshrrev_b32_e32 v1, 16, v1
	s_delay_alu instid0(VALU_DEP_1)
	v_cndmask_b32_e32 v1, 0x7fc0, v1, vcc_lo
	global_store_b16 v[6:7], v1, off
.LBB19_1808:
	s_mov_b32 s3, 0
.LBB19_1809:
	s_delay_alu instid0(SALU_CYCLE_1)
	s_and_b32 vcc_lo, exec_lo, s3
	s_mov_b32 s3, 0
	s_cbranch_vccz .LBB19_1811
; %bb.1810:
	s_cmp_lg_u32 s2, 11
	s_mov_b32 s3, -1
	s_cselect_b32 s0, -1, 0
.LBB19_1811:
	s_delay_alu instid0(SALU_CYCLE_1)
	s_and_b32 vcc_lo, exec_lo, s0
	s_cbranch_vccnz .LBB19_2220
; %bb.1812:
	s_and_not1_b32 vcc_lo, exec_lo, s3
	s_cbranch_vccnz .LBB19_1814
.LBB19_1813:
	v_cmp_neq_f32_e32 vcc_lo, 0, v8
	s_mov_b32 s7, -1
	s_wait_xcnt 0x0
	v_cndmask_b32_e64 v1, 0, 1, vcc_lo
	global_store_b8 v[6:7], v1, off
.LBB19_1814:
	s_mov_b32 s0, 0
	s_branch .LBB19_1861
.LBB19_1815:
	s_mov_b32 s0, 0
	s_mov_b32 s3, 0
                                        ; implicit-def: $vgpr2_vgpr3
                                        ; implicit-def: $sgpr6
                                        ; implicit-def: $vgpr14
.LBB19_1816:
	s_and_not1_b32 s2, s8, exec_lo
	s_and_b32 s1, s1, exec_lo
	s_and_b32 s0, s0, exec_lo
	;; [unrolled: 1-line block ×3, first 2 shown]
	s_or_b32 s8, s2, s1
.LBB19_1817:
	s_wait_xcnt 0x0
	s_or_b32 exec_lo, exec_lo, s9
	s_and_saveexec_b32 s1, s8
	s_cbranch_execz .LBB19_1820
; %bb.1818:
	; divergent unreachable
	s_or_b32 exec_lo, exec_lo, s1
	s_and_saveexec_b32 s1, s30
	s_delay_alu instid0(SALU_CYCLE_1)
	s_xor_b32 s1, exec_lo, s1
	s_cbranch_execnz .LBB19_1821
.LBB19_1819:
	s_or_b32 exec_lo, exec_lo, s1
	s_and_saveexec_b32 s1, s0
	s_cbranch_execnz .LBB19_1822
	s_branch .LBB19_1859
.LBB19_1820:
	s_or_b32 exec_lo, exec_lo, s1
	s_and_saveexec_b32 s1, s30
	s_delay_alu instid0(SALU_CYCLE_1)
	s_xor_b32 s1, exec_lo, s1
	s_cbranch_execz .LBB19_1819
.LBB19_1821:
	v_cmp_neq_f32_e32 vcc_lo, 0, v14
	v_cndmask_b32_e64 v0, 0, 1, vcc_lo
	global_store_b8 v[2:3], v0, off
	s_wait_xcnt 0x0
	s_or_b32 exec_lo, exec_lo, s1
	s_and_saveexec_b32 s1, s0
	s_cbranch_execz .LBB19_1859
.LBB19_1822:
	s_sext_i32_i16 s1, s6
	s_mov_b32 s0, -1
	s_cmp_lt_i32 s1, 5
	s_cbranch_scc1 .LBB19_1843
; %bb.1823:
	s_cmp_lt_i32 s1, 8
	s_cbranch_scc1 .LBB19_1833
; %bb.1824:
	s_cmp_lt_i32 s1, 9
	s_cbranch_scc1 .LBB19_1830
; %bb.1825:
	s_cmp_gt_i32 s1, 9
	s_cbranch_scc0 .LBB19_1827
; %bb.1826:
	v_cvt_f64_f32_e32 v[4:5], v14
	s_wait_loadcnt 0x0
	v_mov_b32_e32 v6, 0
	s_mov_b32 s0, 0
	s_delay_alu instid0(VALU_DEP_1)
	v_mov_b32_e32 v7, v6
	global_store_b128 v[2:3], v[4:7], off
.LBB19_1827:
	s_and_not1_b32 vcc_lo, exec_lo, s0
	s_cbranch_vccnz .LBB19_1829
; %bb.1828:
	v_mov_b32_e32 v15, 0
	global_store_b64 v[2:3], v[14:15], off
.LBB19_1829:
	s_mov_b32 s0, 0
.LBB19_1830:
	s_delay_alu instid0(SALU_CYCLE_1)
	s_and_not1_b32 vcc_lo, exec_lo, s0
	s_cbranch_vccnz .LBB19_1832
; %bb.1831:
	v_cvt_f16_f32_e32 v0, v14
	s_delay_alu instid0(VALU_DEP_1)
	v_and_b32_e32 v0, 0xffff, v0
	global_store_b32 v[2:3], v0, off
.LBB19_1832:
	s_mov_b32 s0, 0
.LBB19_1833:
	s_delay_alu instid0(SALU_CYCLE_1)
	s_and_not1_b32 vcc_lo, exec_lo, s0
	s_cbranch_vccnz .LBB19_1842
; %bb.1834:
	s_sext_i32_i16 s1, s6
	s_mov_b32 s0, -1
	s_cmp_lt_i32 s1, 6
	s_cbranch_scc1 .LBB19_1840
; %bb.1835:
	s_cmp_gt_i32 s1, 6
	s_cbranch_scc0 .LBB19_1837
; %bb.1836:
	s_wait_xcnt 0x0
	v_cvt_f64_f32_e32 v[0:1], v14
	s_mov_b32 s0, 0
	global_store_b64 v[2:3], v[0:1], off
.LBB19_1837:
	s_and_not1_b32 vcc_lo, exec_lo, s0
	s_cbranch_vccnz .LBB19_1839
; %bb.1838:
	global_store_b32 v[2:3], v14, off
.LBB19_1839:
	s_mov_b32 s0, 0
.LBB19_1840:
	s_delay_alu instid0(SALU_CYCLE_1)
	s_and_not1_b32 vcc_lo, exec_lo, s0
	s_cbranch_vccnz .LBB19_1842
; %bb.1841:
	s_wait_xcnt 0x0
	v_cvt_f16_f32_e32 v0, v14
	global_store_b16 v[2:3], v0, off
.LBB19_1842:
	s_mov_b32 s0, 0
.LBB19_1843:
	s_delay_alu instid0(SALU_CYCLE_1)
	s_and_not1_b32 vcc_lo, exec_lo, s0
	s_cbranch_vccnz .LBB19_1859
; %bb.1844:
	s_sext_i32_i16 s1, s6
	s_mov_b32 s0, -1
	s_cmp_lt_i32 s1, 2
	s_cbranch_scc1 .LBB19_1854
; %bb.1845:
	s_cmp_lt_i32 s1, 3
	s_cbranch_scc1 .LBB19_1851
; %bb.1846:
	s_cmp_gt_i32 s1, 3
	s_cbranch_scc0 .LBB19_1848
; %bb.1847:
	s_wait_xcnt 0x0
	v_trunc_f32_e32 v0, v14
	s_mov_b32 s0, 0
	s_delay_alu instid0(VALU_DEP_1) | instskip(NEXT) | instid1(VALU_DEP_1)
	v_mul_f32_e64 v1, 0x2f800000, |v0|
	v_floor_f32_e32 v1, v1
	s_delay_alu instid0(VALU_DEP_1) | instskip(SKIP_2) | instid1(VALU_DEP_3)
	v_fma_f32 v4, 0xcf800000, v1, |v0|
	v_ashrrev_i32_e32 v0, 31, v0
	v_cvt_u32_f32_e32 v5, v1
	v_cvt_u32_f32_e32 v4, v4
	s_delay_alu instid0(VALU_DEP_2) | instskip(NEXT) | instid1(VALU_DEP_2)
	v_dual_mov_b32 v1, v0 :: v_dual_bitop2_b32 v5, v5, v0 bitop3:0x14
	v_xor_b32_e32 v4, v4, v0
	s_delay_alu instid0(VALU_DEP_1)
	v_sub_nc_u64_e32 v[0:1], v[4:5], v[0:1]
	global_store_b64 v[2:3], v[0:1], off
.LBB19_1848:
	s_and_not1_b32 vcc_lo, exec_lo, s0
	s_cbranch_vccnz .LBB19_1850
; %bb.1849:
	s_wait_xcnt 0x0
	v_cvt_i32_f32_e32 v0, v14
	global_store_b32 v[2:3], v0, off
.LBB19_1850:
	s_mov_b32 s0, 0
.LBB19_1851:
	s_delay_alu instid0(SALU_CYCLE_1)
	s_and_not1_b32 vcc_lo, exec_lo, s0
	s_cbranch_vccnz .LBB19_1853
; %bb.1852:
	s_wait_xcnt 0x0
	v_cvt_i32_f32_e32 v0, v14
	global_store_b16 v[2:3], v0, off
.LBB19_1853:
	s_mov_b32 s0, 0
.LBB19_1854:
	s_delay_alu instid0(SALU_CYCLE_1)
	s_and_not1_b32 vcc_lo, exec_lo, s0
	s_cbranch_vccnz .LBB19_1859
; %bb.1855:
	s_sext_i32_i16 s0, s6
	s_delay_alu instid0(SALU_CYCLE_1)
	s_cmp_gt_i32 s0, 0
	s_mov_b32 s0, -1
	s_cbranch_scc0 .LBB19_1857
; %bb.1856:
	s_wait_xcnt 0x0
	v_cvt_i32_f32_e32 v0, v14
	s_mov_b32 s0, 0
	global_store_b8 v[2:3], v0, off
.LBB19_1857:
	s_and_not1_b32 vcc_lo, exec_lo, s0
	s_cbranch_vccnz .LBB19_1859
; %bb.1858:
	s_wait_xcnt 0x0
	v_trunc_f32_e32 v0, v14
	s_delay_alu instid0(VALU_DEP_1) | instskip(NEXT) | instid1(VALU_DEP_1)
	v_mul_f32_e64 v1, 0x2f800000, |v0|
	v_floor_f32_e32 v1, v1
	s_delay_alu instid0(VALU_DEP_1) | instskip(SKIP_1) | instid1(VALU_DEP_2)
	v_fma_f32 v1, 0xcf800000, v1, |v0|
	v_ashrrev_i32_e32 v0, 31, v0
	v_cvt_u32_f32_e32 v1, v1
	s_delay_alu instid0(VALU_DEP_1) | instskip(NEXT) | instid1(VALU_DEP_1)
	v_xor_b32_e32 v1, v1, v0
	v_sub_nc_u32_e32 v0, v1, v0
	global_store_b8 v[2:3], v0, off
	s_endpgm
.LBB19_1859:
	s_endpgm
.LBB19_1860:
	s_mov_b32 s0, -1
	s_mov_b32 s7, 0
.LBB19_1861:
	s_and_b32 vcc_lo, exec_lo, s0
	s_cbranch_vccz .LBB19_1900
; %bb.1862:
	s_and_b32 s0, 0xffff, s6
	s_mov_b32 s2, -1
	s_cmp_lt_i32 s0, 5
	s_cbranch_scc1 .LBB19_1883
; %bb.1863:
	s_cmp_lt_i32 s0, 8
	s_cbranch_scc1 .LBB19_1873
; %bb.1864:
	;; [unrolled: 3-line block ×3, first 2 shown]
	s_cmp_gt_i32 s0, 9
	s_cbranch_scc0 .LBB19_1867
; %bb.1866:
	s_wait_xcnt 0x0
	v_cvt_f64_f32_e32 v[16:17], v8
	v_mov_b32_e32 v18, 0
	s_mov_b32 s2, 0
	s_delay_alu instid0(VALU_DEP_1)
	v_mov_b32_e32 v19, v18
	global_store_b128 v[6:7], v[16:19], off
.LBB19_1867:
	s_and_not1_b32 vcc_lo, exec_lo, s2
	s_cbranch_vccnz .LBB19_1869
; %bb.1868:
	v_mov_b32_e32 v9, 0
	global_store_b64 v[6:7], v[8:9], off
.LBB19_1869:
	s_mov_b32 s2, 0
.LBB19_1870:
	s_delay_alu instid0(SALU_CYCLE_1)
	s_and_not1_b32 vcc_lo, exec_lo, s2
	s_cbranch_vccnz .LBB19_1872
; %bb.1871:
	s_wait_xcnt 0x0
	v_cvt_f16_f32_e32 v1, v8
	s_delay_alu instid0(VALU_DEP_1)
	v_and_b32_e32 v1, 0xffff, v1
	global_store_b32 v[6:7], v1, off
.LBB19_1872:
	s_mov_b32 s2, 0
.LBB19_1873:
	s_delay_alu instid0(SALU_CYCLE_1)
	s_and_not1_b32 vcc_lo, exec_lo, s2
	s_cbranch_vccnz .LBB19_1882
; %bb.1874:
	s_cmp_lt_i32 s0, 6
	s_mov_b32 s2, -1
	s_cbranch_scc1 .LBB19_1880
; %bb.1875:
	s_cmp_gt_i32 s0, 6
	s_cbranch_scc0 .LBB19_1877
; %bb.1876:
	s_wait_xcnt 0x0
	v_cvt_f64_f32_e32 v[16:17], v8
	s_mov_b32 s2, 0
	global_store_b64 v[6:7], v[16:17], off
.LBB19_1877:
	s_and_not1_b32 vcc_lo, exec_lo, s2
	s_cbranch_vccnz .LBB19_1879
; %bb.1878:
	global_store_b32 v[6:7], v8, off
.LBB19_1879:
	s_mov_b32 s2, 0
.LBB19_1880:
	s_delay_alu instid0(SALU_CYCLE_1)
	s_and_not1_b32 vcc_lo, exec_lo, s2
	s_cbranch_vccnz .LBB19_1882
; %bb.1881:
	s_wait_xcnt 0x0
	v_cvt_f16_f32_e32 v1, v8
	global_store_b16 v[6:7], v1, off
.LBB19_1882:
	s_mov_b32 s2, 0
.LBB19_1883:
	s_delay_alu instid0(SALU_CYCLE_1)
	s_and_not1_b32 vcc_lo, exec_lo, s2
	s_cbranch_vccnz .LBB19_1899
; %bb.1884:
	s_cmp_lt_i32 s0, 2
	s_mov_b32 s2, -1
	s_cbranch_scc1 .LBB19_1894
; %bb.1885:
	s_cmp_lt_i32 s0, 3
	s_cbranch_scc1 .LBB19_1891
; %bb.1886:
	s_cmp_gt_i32 s0, 3
	s_cbranch_scc0 .LBB19_1888
; %bb.1887:
	s_wait_xcnt 0x0
	v_trunc_f32_e32 v1, v8
	s_mov_b32 s2, 0
	s_delay_alu instid0(VALU_DEP_1) | instskip(SKIP_1) | instid1(VALU_DEP_2)
	v_mul_f32_e64 v3, 0x2f800000, |v1|
	v_ashrrev_i32_e32 v16, 31, v1
	v_floor_f32_e32 v3, v3
	s_delay_alu instid0(VALU_DEP_1) | instskip(SKIP_1) | instid1(VALU_DEP_4)
	v_fma_f32 v5, 0xcf800000, v3, |v1|
	v_cvt_u32_f32_e32 v1, v3
	v_mov_b32_e32 v17, v16
	s_delay_alu instid0(VALU_DEP_3) | instskip(NEXT) | instid1(VALU_DEP_3)
	v_cvt_u32_f32_e32 v3, v5
	v_xor_b32_e32 v19, v1, v16
	s_delay_alu instid0(VALU_DEP_2) | instskip(NEXT) | instid1(VALU_DEP_1)
	v_xor_b32_e32 v18, v3, v16
	v_sub_nc_u64_e32 v[16:17], v[18:19], v[16:17]
	global_store_b64 v[6:7], v[16:17], off
.LBB19_1888:
	s_and_not1_b32 vcc_lo, exec_lo, s2
	s_cbranch_vccnz .LBB19_1890
; %bb.1889:
	s_wait_xcnt 0x0
	v_cvt_i32_f32_e32 v1, v8
	global_store_b32 v[6:7], v1, off
.LBB19_1890:
	s_mov_b32 s2, 0
.LBB19_1891:
	s_delay_alu instid0(SALU_CYCLE_1)
	s_and_not1_b32 vcc_lo, exec_lo, s2
	s_cbranch_vccnz .LBB19_1893
; %bb.1892:
	s_wait_xcnt 0x0
	v_cvt_i32_f32_e32 v1, v8
	global_store_b16 v[6:7], v1, off
.LBB19_1893:
	s_mov_b32 s2, 0
.LBB19_1894:
	s_delay_alu instid0(SALU_CYCLE_1)
	s_and_not1_b32 vcc_lo, exec_lo, s2
	s_cbranch_vccnz .LBB19_1899
; %bb.1895:
	s_cmp_gt_i32 s0, 0
	s_mov_b32 s0, -1
	s_cbranch_scc0 .LBB19_1897
; %bb.1896:
	s_wait_xcnt 0x0
	v_cvt_i32_f32_e32 v1, v8
	s_mov_b32 s0, 0
	global_store_b8 v[6:7], v1, off
.LBB19_1897:
	s_and_not1_b32 vcc_lo, exec_lo, s0
	s_cbranch_vccnz .LBB19_1899
; %bb.1898:
	s_wait_xcnt 0x0
	v_trunc_f32_e32 v1, v8
	s_delay_alu instid0(VALU_DEP_1) | instskip(NEXT) | instid1(VALU_DEP_1)
	v_mul_f32_e64 v3, 0x2f800000, |v1|
	v_floor_f32_e32 v3, v3
	s_delay_alu instid0(VALU_DEP_1) | instskip(SKIP_1) | instid1(VALU_DEP_2)
	v_fma_f32 v3, 0xcf800000, v3, |v1|
	v_ashrrev_i32_e32 v1, 31, v1
	v_cvt_u32_f32_e32 v3, v3
	s_delay_alu instid0(VALU_DEP_1) | instskip(NEXT) | instid1(VALU_DEP_1)
	v_xor_b32_e32 v3, v3, v1
	v_sub_nc_u32_e32 v1, v3, v1
	global_store_b8 v[6:7], v1, off
.LBB19_1899:
	s_mov_b32 s7, -1
.LBB19_1900:
	s_delay_alu instid0(SALU_CYCLE_1)
	s_and_not1_b32 vcc_lo, exec_lo, s7
	s_cbranch_vccnz .LBB19_2215
; %bb.1901:
	v_mov_b32_e32 v5, 0
	s_and_b32 s2, 0xffff, s6
	s_delay_alu instid0(SALU_CYCLE_1) | instskip(NEXT) | instid1(VALU_DEP_1)
	s_cmp_lt_i32 s2, 11
	v_add_nc_u64_e32 v[4:5], s[4:5], v[4:5]
	s_cbranch_scc1 .LBB19_1979
; %bb.1902:
	s_mov_b32 s10, -1
	s_mov_b32 s3, 0
	s_cmp_gt_i32 s2, 25
	s_mov_b32 s7, 0
	s_mov_b32 s0, 0
	s_cbranch_scc0 .LBB19_1935
; %bb.1903:
	s_cmp_gt_i32 s2, 28
	s_cbranch_scc0 .LBB19_1918
; %bb.1904:
	s_cmp_gt_i32 s2, 43
	;; [unrolled: 3-line block ×3, first 2 shown]
	s_cbranch_scc0 .LBB19_1908
; %bb.1906:
	s_mov_b32 s0, -1
	s_mov_b32 s10, 0
	s_cmp_eq_u32 s2, 46
	s_cbranch_scc0 .LBB19_1908
; %bb.1907:
	s_wait_xcnt 0x0
	v_bfe_u32 v1, v10, 16, 1
	v_cmp_o_f32_e32 vcc_lo, v10, v10
	s_mov_b32 s0, 0
	s_mov_b32 s7, -1
	s_delay_alu instid0(VALU_DEP_2) | instskip(NEXT) | instid1(VALU_DEP_1)
	v_add3_u32 v1, v10, v1, 0x7fff
	v_lshrrev_b32_e32 v1, 16, v1
	s_delay_alu instid0(VALU_DEP_1)
	v_cndmask_b32_e32 v1, 0x7fc0, v1, vcc_lo
	global_store_b32 v[4:5], v1, off
.LBB19_1908:
	s_and_b32 vcc_lo, exec_lo, s10
	s_cbranch_vccz .LBB19_1913
; %bb.1909:
	s_cmp_eq_u32 s2, 44
	s_mov_b32 s0, -1
	s_cbranch_scc0 .LBB19_1913
; %bb.1910:
	s_wait_xcnt 0x0
	v_bfe_u32 v3, v10, 23, 8
	v_mov_b32_e32 v1, 0xff
	s_mov_b32 s7, exec_lo
	s_delay_alu instid0(VALU_DEP_2)
	v_cmpx_ne_u32_e32 0xff, v3
	s_cbranch_execz .LBB19_1912
; %bb.1911:
	v_and_b32_e32 v1, 0x400000, v10
	v_and_or_b32 v3, 0x3fffff, v10, v3
	s_delay_alu instid0(VALU_DEP_2) | instskip(NEXT) | instid1(VALU_DEP_2)
	v_cmp_ne_u32_e32 vcc_lo, 0, v1
	v_cmp_ne_u32_e64 s0, 0, v3
	v_lshrrev_b32_e32 v1, 23, v10
	s_and_b32 s0, vcc_lo, s0
	s_delay_alu instid0(SALU_CYCLE_1) | instskip(NEXT) | instid1(VALU_DEP_1)
	v_cndmask_b32_e64 v3, 0, 1, s0
	v_add_nc_u32_e32 v1, v1, v3
.LBB19_1912:
	s_or_b32 exec_lo, exec_lo, s7
	s_mov_b32 s0, 0
	s_mov_b32 s7, -1
	global_store_b8 v[4:5], v1, off
.LBB19_1913:
	s_mov_b32 s10, 0
.LBB19_1914:
	s_delay_alu instid0(SALU_CYCLE_1)
	s_and_b32 vcc_lo, exec_lo, s10
	s_cbranch_vccz .LBB19_1917
; %bb.1915:
	s_cmp_eq_u32 s2, 29
	s_mov_b32 s0, -1
	s_cbranch_scc0 .LBB19_1917
; %bb.1916:
	s_wait_xcnt 0x0
	v_trunc_f32_e32 v1, v10
	s_mov_b32 s0, 0
	s_mov_b32 s7, -1
	s_delay_alu instid0(VALU_DEP_1) | instskip(NEXT) | instid1(VALU_DEP_1)
	v_mul_f32_e32 v3, 0x2f800000, v1
	v_floor_f32_e32 v3, v3
	s_delay_alu instid0(VALU_DEP_1) | instskip(SKIP_1) | instid1(VALU_DEP_2)
	v_fmamk_f32 v1, v3, 0xcf800000, v1
	v_cvt_u32_f32_e32 v7, v3
	v_cvt_u32_f32_e32 v6, v1
	global_store_b64 v[4:5], v[6:7], off
.LBB19_1917:
	s_mov_b32 s10, 0
.LBB19_1918:
	s_delay_alu instid0(SALU_CYCLE_1)
	s_and_b32 vcc_lo, exec_lo, s10
	s_cbranch_vccz .LBB19_1934
; %bb.1919:
	s_cmp_lt_i32 s2, 27
	s_mov_b32 s7, -1
	s_cbranch_scc1 .LBB19_1925
; %bb.1920:
	s_cmp_gt_i32 s2, 27
	s_cbranch_scc0 .LBB19_1922
; %bb.1921:
	s_wait_xcnt 0x0
	v_cvt_u32_f32_e32 v1, v10
	s_mov_b32 s7, 0
	global_store_b32 v[4:5], v1, off
.LBB19_1922:
	s_and_not1_b32 vcc_lo, exec_lo, s7
	s_cbranch_vccnz .LBB19_1924
; %bb.1923:
	s_wait_xcnt 0x0
	v_cvt_u32_f32_e32 v1, v10
	global_store_b16 v[4:5], v1, off
.LBB19_1924:
	s_mov_b32 s7, 0
.LBB19_1925:
	s_delay_alu instid0(SALU_CYCLE_1)
	s_and_not1_b32 vcc_lo, exec_lo, s7
	s_cbranch_vccnz .LBB19_1933
; %bb.1926:
	s_wait_xcnt 0x0
	v_and_b32_e32 v1, 0x7fffffff, v10
	v_mov_b32_e32 v3, 0x80
	s_mov_b32 s7, exec_lo
	s_delay_alu instid0(VALU_DEP_2)
	v_cmpx_gt_u32_e32 0x43800000, v1
	s_cbranch_execz .LBB19_1932
; %bb.1927:
	v_cmp_lt_u32_e32 vcc_lo, 0x3bffffff, v1
	s_mov_b32 s10, 0
                                        ; implicit-def: $vgpr1
	s_and_saveexec_b32 s11, vcc_lo
	s_delay_alu instid0(SALU_CYCLE_1)
	s_xor_b32 s11, exec_lo, s11
	s_cbranch_execz .LBB19_2223
; %bb.1928:
	v_bfe_u32 v1, v10, 20, 1
	s_mov_b32 s10, exec_lo
	s_delay_alu instid0(VALU_DEP_1) | instskip(NEXT) | instid1(VALU_DEP_1)
	v_add3_u32 v1, v10, v1, 0x487ffff
	v_lshrrev_b32_e32 v1, 20, v1
	s_and_not1_saveexec_b32 s11, s11
	s_cbranch_execnz .LBB19_2224
.LBB19_1929:
	s_or_b32 exec_lo, exec_lo, s11
	v_mov_b32_e32 v3, 0
	s_and_saveexec_b32 s11, s10
.LBB19_1930:
	v_lshrrev_b32_e32 v3, 24, v10
	s_delay_alu instid0(VALU_DEP_1)
	v_and_or_b32 v3, 0x80, v3, v1
.LBB19_1931:
	s_or_b32 exec_lo, exec_lo, s11
.LBB19_1932:
	s_delay_alu instid0(SALU_CYCLE_1)
	s_or_b32 exec_lo, exec_lo, s7
	global_store_b8 v[4:5], v3, off
.LBB19_1933:
	s_mov_b32 s7, -1
.LBB19_1934:
	s_mov_b32 s10, 0
.LBB19_1935:
	s_delay_alu instid0(SALU_CYCLE_1)
	s_and_b32 vcc_lo, exec_lo, s10
	s_cbranch_vccz .LBB19_1975
; %bb.1936:
	s_cmp_gt_i32 s2, 22
	s_mov_b32 s3, -1
	s_cbranch_scc0 .LBB19_1968
; %bb.1937:
	s_cmp_lt_i32 s2, 24
	s_cbranch_scc1 .LBB19_1957
; %bb.1938:
	s_cmp_gt_i32 s2, 24
	s_cbranch_scc0 .LBB19_1946
; %bb.1939:
	s_wait_xcnt 0x0
	v_and_b32_e32 v1, 0x7fffffff, v10
	v_mov_b32_e32 v3, 0x80
	s_mov_b32 s3, exec_lo
	s_delay_alu instid0(VALU_DEP_2)
	v_cmpx_gt_u32_e32 0x47800000, v1
	s_cbranch_execz .LBB19_1945
; %bb.1940:
	v_cmp_lt_u32_e32 vcc_lo, 0x37ffffff, v1
	s_mov_b32 s7, 0
                                        ; implicit-def: $vgpr1
	s_and_saveexec_b32 s10, vcc_lo
	s_delay_alu instid0(SALU_CYCLE_1)
	s_xor_b32 s10, exec_lo, s10
	s_cbranch_execz .LBB19_2226
; %bb.1941:
	v_bfe_u32 v1, v10, 21, 1
	s_mov_b32 s7, exec_lo
	s_delay_alu instid0(VALU_DEP_1) | instskip(NEXT) | instid1(VALU_DEP_1)
	v_add3_u32 v1, v10, v1, 0x88fffff
	v_lshrrev_b32_e32 v1, 21, v1
	s_and_not1_saveexec_b32 s10, s10
	s_cbranch_execnz .LBB19_2227
.LBB19_1942:
	s_or_b32 exec_lo, exec_lo, s10
	v_mov_b32_e32 v3, 0
	s_and_saveexec_b32 s10, s7
.LBB19_1943:
	v_lshrrev_b32_e32 v3, 24, v10
	s_delay_alu instid0(VALU_DEP_1)
	v_and_or_b32 v3, 0x80, v3, v1
.LBB19_1944:
	s_or_b32 exec_lo, exec_lo, s10
.LBB19_1945:
	s_delay_alu instid0(SALU_CYCLE_1)
	s_or_b32 exec_lo, exec_lo, s3
	s_mov_b32 s3, 0
	global_store_b8 v[4:5], v3, off
.LBB19_1946:
	s_and_b32 vcc_lo, exec_lo, s3
	s_cbranch_vccz .LBB19_1956
; %bb.1947:
	s_wait_xcnt 0x0
	v_and_b32_e32 v3, 0x7fffffff, v10
	s_mov_b32 s3, exec_lo
                                        ; implicit-def: $vgpr1
	s_delay_alu instid0(VALU_DEP_1)
	v_cmpx_gt_u32_e32 0x43f00000, v3
	s_xor_b32 s3, exec_lo, s3
	s_cbranch_execz .LBB19_1953
; %bb.1948:
	s_mov_b32 s7, exec_lo
                                        ; implicit-def: $vgpr1
	v_cmpx_lt_u32_e32 0x3c7fffff, v3
	s_xor_b32 s7, exec_lo, s7
; %bb.1949:
	v_bfe_u32 v1, v10, 20, 1
	s_delay_alu instid0(VALU_DEP_1) | instskip(NEXT) | instid1(VALU_DEP_1)
	v_add3_u32 v1, v10, v1, 0x407ffff
	v_and_b32_e32 v3, 0xff00000, v1
	v_lshrrev_b32_e32 v1, 20, v1
	s_delay_alu instid0(VALU_DEP_2) | instskip(NEXT) | instid1(VALU_DEP_2)
	v_cmp_ne_u32_e32 vcc_lo, 0x7f00000, v3
	v_cndmask_b32_e32 v1, 0x7e, v1, vcc_lo
; %bb.1950:
	s_and_not1_saveexec_b32 s7, s7
; %bb.1951:
	v_add_f32_e64 v1, 0x46800000, |v10|
; %bb.1952:
	s_or_b32 exec_lo, exec_lo, s7
                                        ; implicit-def: $vgpr3
.LBB19_1953:
	s_and_not1_saveexec_b32 s3, s3
; %bb.1954:
	v_mov_b32_e32 v1, 0x7f
	v_cmp_lt_u32_e32 vcc_lo, 0x7f800000, v3
	s_delay_alu instid0(VALU_DEP_2)
	v_cndmask_b32_e32 v1, 0x7e, v1, vcc_lo
; %bb.1955:
	s_or_b32 exec_lo, exec_lo, s3
	v_lshrrev_b32_e32 v3, 24, v10
	s_delay_alu instid0(VALU_DEP_1)
	v_and_or_b32 v1, 0x80, v3, v1
	global_store_b8 v[4:5], v1, off
.LBB19_1956:
	s_mov_b32 s3, 0
.LBB19_1957:
	s_delay_alu instid0(SALU_CYCLE_1)
	s_and_not1_b32 vcc_lo, exec_lo, s3
	s_cbranch_vccnz .LBB19_1967
; %bb.1958:
	s_wait_xcnt 0x0
	v_and_b32_e32 v3, 0x7fffffff, v10
	s_mov_b32 s3, exec_lo
                                        ; implicit-def: $vgpr1
	s_delay_alu instid0(VALU_DEP_1)
	v_cmpx_gt_u32_e32 0x47800000, v3
	s_xor_b32 s3, exec_lo, s3
	s_cbranch_execz .LBB19_1964
; %bb.1959:
	s_mov_b32 s7, exec_lo
                                        ; implicit-def: $vgpr1
	v_cmpx_lt_u32_e32 0x387fffff, v3
	s_xor_b32 s7, exec_lo, s7
; %bb.1960:
	v_bfe_u32 v1, v10, 21, 1
	s_delay_alu instid0(VALU_DEP_1) | instskip(NEXT) | instid1(VALU_DEP_1)
	v_add3_u32 v1, v10, v1, 0x80fffff
	v_lshrrev_b32_e32 v1, 21, v1
; %bb.1961:
	s_and_not1_saveexec_b32 s7, s7
; %bb.1962:
	v_add_f32_e64 v1, 0x43000000, |v10|
; %bb.1963:
	s_or_b32 exec_lo, exec_lo, s7
                                        ; implicit-def: $vgpr3
.LBB19_1964:
	s_and_not1_saveexec_b32 s3, s3
; %bb.1965:
	v_mov_b32_e32 v1, 0x7f
	v_cmp_lt_u32_e32 vcc_lo, 0x7f800000, v3
	s_delay_alu instid0(VALU_DEP_2)
	v_cndmask_b32_e32 v1, 0x7c, v1, vcc_lo
; %bb.1966:
	s_or_b32 exec_lo, exec_lo, s3
	v_lshrrev_b32_e32 v3, 24, v10
	s_delay_alu instid0(VALU_DEP_1)
	v_and_or_b32 v1, 0x80, v3, v1
	global_store_b8 v[4:5], v1, off
.LBB19_1967:
	s_mov_b32 s3, 0
	s_mov_b32 s7, -1
.LBB19_1968:
	s_and_not1_b32 vcc_lo, exec_lo, s3
	s_mov_b32 s3, 0
	s_cbranch_vccnz .LBB19_1975
; %bb.1969:
	s_cmp_gt_i32 s2, 14
	s_mov_b32 s3, -1
	s_cbranch_scc0 .LBB19_1973
; %bb.1970:
	s_cmp_eq_u32 s2, 15
	s_mov_b32 s0, -1
	s_cbranch_scc0 .LBB19_1972
; %bb.1971:
	s_wait_xcnt 0x0
	v_bfe_u32 v1, v10, 16, 1
	v_cmp_o_f32_e32 vcc_lo, v10, v10
	s_mov_b32 s0, 0
	s_mov_b32 s7, -1
	s_delay_alu instid0(VALU_DEP_2) | instskip(NEXT) | instid1(VALU_DEP_1)
	v_add3_u32 v1, v10, v1, 0x7fff
	v_lshrrev_b32_e32 v1, 16, v1
	s_delay_alu instid0(VALU_DEP_1)
	v_cndmask_b32_e32 v1, 0x7fc0, v1, vcc_lo
	global_store_b16 v[4:5], v1, off
.LBB19_1972:
	s_mov_b32 s3, 0
.LBB19_1973:
	s_delay_alu instid0(SALU_CYCLE_1)
	s_and_b32 vcc_lo, exec_lo, s3
	s_mov_b32 s3, 0
	s_cbranch_vccz .LBB19_1975
; %bb.1974:
	s_cmp_lg_u32 s2, 11
	s_mov_b32 s3, -1
	s_cselect_b32 s0, -1, 0
.LBB19_1975:
	s_delay_alu instid0(SALU_CYCLE_1)
	s_and_b32 vcc_lo, exec_lo, s0
	s_cbranch_vccnz .LBB19_2225
; %bb.1976:
	s_and_not1_b32 vcc_lo, exec_lo, s3
	s_cbranch_vccnz .LBB19_1978
.LBB19_1977:
	v_cmp_neq_f32_e32 vcc_lo, 0, v10
	s_mov_b32 s7, -1
	s_wait_xcnt 0x0
	v_cndmask_b32_e64 v1, 0, 1, vcc_lo
	global_store_b8 v[4:5], v1, off
.LBB19_1978:
	s_mov_b32 s0, 0
	s_branch .LBB19_1980
.LBB19_1979:
	s_mov_b32 s0, -1
	s_mov_b32 s7, 0
.LBB19_1980:
	s_and_b32 vcc_lo, exec_lo, s0
	s_cbranch_vccz .LBB19_2019
; %bb.1981:
	s_cmp_lt_i32 s2, 5
	s_mov_b32 s0, -1
	s_cbranch_scc1 .LBB19_2002
; %bb.1982:
	s_cmp_lt_i32 s2, 8
	s_cbranch_scc1 .LBB19_1992
; %bb.1983:
	s_cmp_lt_i32 s2, 9
	s_cbranch_scc1 .LBB19_1989
; %bb.1984:
	s_cmp_gt_i32 s2, 9
	s_cbranch_scc0 .LBB19_1986
; %bb.1985:
	s_wait_xcnt 0x0
	v_cvt_f64_f32_e32 v[6:7], v10
	v_mov_b32_e32 v8, 0
	s_mov_b32 s0, 0
	s_delay_alu instid0(VALU_DEP_1)
	v_mov_b32_e32 v9, v8
	global_store_b128 v[4:5], v[6:9], off
.LBB19_1986:
	s_and_not1_b32 vcc_lo, exec_lo, s0
	s_cbranch_vccnz .LBB19_1988
; %bb.1987:
	v_mov_b32_e32 v11, 0
	global_store_b64 v[4:5], v[10:11], off
.LBB19_1988:
	s_mov_b32 s0, 0
.LBB19_1989:
	s_delay_alu instid0(SALU_CYCLE_1)
	s_and_not1_b32 vcc_lo, exec_lo, s0
	s_cbranch_vccnz .LBB19_1991
; %bb.1990:
	s_wait_xcnt 0x0
	v_cvt_f16_f32_e32 v1, v10
	s_delay_alu instid0(VALU_DEP_1)
	v_and_b32_e32 v1, 0xffff, v1
	global_store_b32 v[4:5], v1, off
.LBB19_1991:
	s_mov_b32 s0, 0
.LBB19_1992:
	s_delay_alu instid0(SALU_CYCLE_1)
	s_and_not1_b32 vcc_lo, exec_lo, s0
	s_cbranch_vccnz .LBB19_2001
; %bb.1993:
	s_cmp_lt_i32 s2, 6
	s_mov_b32 s0, -1
	s_cbranch_scc1 .LBB19_1999
; %bb.1994:
	s_cmp_gt_i32 s2, 6
	s_cbranch_scc0 .LBB19_1996
; %bb.1995:
	s_wait_xcnt 0x0
	v_cvt_f64_f32_e32 v[6:7], v10
	s_mov_b32 s0, 0
	global_store_b64 v[4:5], v[6:7], off
.LBB19_1996:
	s_and_not1_b32 vcc_lo, exec_lo, s0
	s_cbranch_vccnz .LBB19_1998
; %bb.1997:
	global_store_b32 v[4:5], v10, off
.LBB19_1998:
	s_mov_b32 s0, 0
.LBB19_1999:
	s_delay_alu instid0(SALU_CYCLE_1)
	s_and_not1_b32 vcc_lo, exec_lo, s0
	s_cbranch_vccnz .LBB19_2001
; %bb.2000:
	s_wait_xcnt 0x0
	v_cvt_f16_f32_e32 v1, v10
	global_store_b16 v[4:5], v1, off
.LBB19_2001:
	s_mov_b32 s0, 0
.LBB19_2002:
	s_delay_alu instid0(SALU_CYCLE_1)
	s_and_not1_b32 vcc_lo, exec_lo, s0
	s_cbranch_vccnz .LBB19_2018
; %bb.2003:
	s_cmp_lt_i32 s2, 2
	s_mov_b32 s0, -1
	s_cbranch_scc1 .LBB19_2013
; %bb.2004:
	s_cmp_lt_i32 s2, 3
	s_cbranch_scc1 .LBB19_2010
; %bb.2005:
	s_cmp_gt_i32 s2, 3
	s_cbranch_scc0 .LBB19_2007
; %bb.2006:
	s_wait_xcnt 0x0
	v_trunc_f32_e32 v1, v10
	s_mov_b32 s0, 0
	s_delay_alu instid0(VALU_DEP_1) | instskip(SKIP_1) | instid1(VALU_DEP_2)
	v_mul_f32_e64 v3, 0x2f800000, |v1|
	v_ashrrev_i32_e32 v6, 31, v1
	v_floor_f32_e32 v3, v3
	s_delay_alu instid0(VALU_DEP_1) | instskip(SKIP_1) | instid1(VALU_DEP_2)
	v_fma_f32 v7, 0xcf800000, v3, |v1|
	v_cvt_u32_f32_e32 v1, v3
	v_cvt_u32_f32_e32 v3, v7
	s_delay_alu instid0(VALU_DEP_2) | instskip(NEXT) | instid1(VALU_DEP_2)
	v_dual_mov_b32 v7, v6 :: v_dual_bitop2_b32 v9, v1, v6 bitop3:0x14
	v_xor_b32_e32 v8, v3, v6
	s_delay_alu instid0(VALU_DEP_1)
	v_sub_nc_u64_e32 v[6:7], v[8:9], v[6:7]
	global_store_b64 v[4:5], v[6:7], off
.LBB19_2007:
	s_and_not1_b32 vcc_lo, exec_lo, s0
	s_cbranch_vccnz .LBB19_2009
; %bb.2008:
	s_wait_xcnt 0x0
	v_cvt_i32_f32_e32 v1, v10
	global_store_b32 v[4:5], v1, off
.LBB19_2009:
	s_mov_b32 s0, 0
.LBB19_2010:
	s_delay_alu instid0(SALU_CYCLE_1)
	s_and_not1_b32 vcc_lo, exec_lo, s0
	s_cbranch_vccnz .LBB19_2012
; %bb.2011:
	s_wait_xcnt 0x0
	v_cvt_i32_f32_e32 v1, v10
	global_store_b16 v[4:5], v1, off
.LBB19_2012:
	s_mov_b32 s0, 0
.LBB19_2013:
	s_delay_alu instid0(SALU_CYCLE_1)
	s_and_not1_b32 vcc_lo, exec_lo, s0
	s_cbranch_vccnz .LBB19_2018
; %bb.2014:
	s_cmp_gt_i32 s2, 0
	s_mov_b32 s0, -1
	s_cbranch_scc0 .LBB19_2016
; %bb.2015:
	s_wait_xcnt 0x0
	v_cvt_i32_f32_e32 v1, v10
	s_mov_b32 s0, 0
	global_store_b8 v[4:5], v1, off
.LBB19_2016:
	s_and_not1_b32 vcc_lo, exec_lo, s0
	s_cbranch_vccnz .LBB19_2018
; %bb.2017:
	s_wait_xcnt 0x0
	v_trunc_f32_e32 v1, v10
	s_delay_alu instid0(VALU_DEP_1) | instskip(NEXT) | instid1(VALU_DEP_1)
	v_mul_f32_e64 v3, 0x2f800000, |v1|
	v_floor_f32_e32 v3, v3
	s_delay_alu instid0(VALU_DEP_1) | instskip(SKIP_1) | instid1(VALU_DEP_2)
	v_fma_f32 v3, 0xcf800000, v3, |v1|
	v_ashrrev_i32_e32 v1, 31, v1
	v_cvt_u32_f32_e32 v3, v3
	s_delay_alu instid0(VALU_DEP_1) | instskip(NEXT) | instid1(VALU_DEP_1)
	v_xor_b32_e32 v3, v3, v1
	v_sub_nc_u32_e32 v1, v3, v1
	global_store_b8 v[4:5], v1, off
.LBB19_2018:
	s_mov_b32 s7, -1
.LBB19_2019:
	s_delay_alu instid0(SALU_CYCLE_1)
	s_and_not1_b32 vcc_lo, exec_lo, s7
	s_cbranch_vccnz .LBB19_2215
; %bb.2020:
	s_wait_xcnt 0x0
	v_mov_b32_e32 v3, 0
	s_cmp_lt_i32 s2, 11
	s_delay_alu instid0(VALU_DEP_1)
	v_add_nc_u64_e32 v[2:3], s[4:5], v[2:3]
	s_cbranch_scc1 .LBB19_2098
; %bb.2021:
	s_mov_b32 s10, -1
	s_mov_b32 s3, 0
	s_cmp_gt_i32 s2, 25
	s_mov_b32 s7, 0
	s_mov_b32 s0, 0
	s_cbranch_scc0 .LBB19_2054
; %bb.2022:
	s_cmp_gt_i32 s2, 28
	s_cbranch_scc0 .LBB19_2037
; %bb.2023:
	s_cmp_gt_i32 s2, 43
	s_cbranch_scc0 .LBB19_2033
; %bb.2024:
	s_cmp_gt_i32 s2, 45
	s_cbranch_scc0 .LBB19_2027
; %bb.2025:
	s_mov_b32 s0, -1
	s_mov_b32 s10, 0
	s_cmp_eq_u32 s2, 46
	s_cbranch_scc0 .LBB19_2027
; %bb.2026:
	v_bfe_u32 v1, v12, 16, 1
	v_cmp_o_f32_e32 vcc_lo, v12, v12
	s_mov_b32 s0, 0
	s_mov_b32 s7, -1
	s_delay_alu instid0(VALU_DEP_2) | instskip(NEXT) | instid1(VALU_DEP_1)
	v_add3_u32 v1, v12, v1, 0x7fff
	v_lshrrev_b32_e32 v1, 16, v1
	s_delay_alu instid0(VALU_DEP_1)
	v_cndmask_b32_e32 v1, 0x7fc0, v1, vcc_lo
	global_store_b32 v[2:3], v1, off
.LBB19_2027:
	s_and_b32 vcc_lo, exec_lo, s10
	s_cbranch_vccz .LBB19_2032
; %bb.2028:
	s_cmp_eq_u32 s2, 44
	s_mov_b32 s0, -1
	s_cbranch_scc0 .LBB19_2032
; %bb.2029:
	v_bfe_u32 v4, v12, 23, 8
	s_wait_xcnt 0x0
	v_mov_b32_e32 v1, 0xff
	s_mov_b32 s7, exec_lo
	s_delay_alu instid0(VALU_DEP_2)
	v_cmpx_ne_u32_e32 0xff, v4
	s_cbranch_execz .LBB19_2031
; %bb.2030:
	v_and_b32_e32 v1, 0x400000, v12
	v_and_or_b32 v4, 0x3fffff, v12, v4
	s_delay_alu instid0(VALU_DEP_2) | instskip(NEXT) | instid1(VALU_DEP_2)
	v_cmp_ne_u32_e32 vcc_lo, 0, v1
	v_cmp_ne_u32_e64 s0, 0, v4
	v_lshrrev_b32_e32 v1, 23, v12
	s_and_b32 s0, vcc_lo, s0
	s_delay_alu instid0(SALU_CYCLE_1) | instskip(NEXT) | instid1(VALU_DEP_1)
	v_cndmask_b32_e64 v4, 0, 1, s0
	v_add_nc_u32_e32 v1, v1, v4
.LBB19_2031:
	s_or_b32 exec_lo, exec_lo, s7
	s_mov_b32 s0, 0
	s_mov_b32 s7, -1
	global_store_b8 v[2:3], v1, off
.LBB19_2032:
	s_mov_b32 s10, 0
.LBB19_2033:
	s_delay_alu instid0(SALU_CYCLE_1)
	s_and_b32 vcc_lo, exec_lo, s10
	s_cbranch_vccz .LBB19_2036
; %bb.2034:
	s_cmp_eq_u32 s2, 29
	s_mov_b32 s0, -1
	s_cbranch_scc0 .LBB19_2036
; %bb.2035:
	s_wait_xcnt 0x0
	v_trunc_f32_e32 v1, v12
	s_mov_b32 s0, 0
	s_mov_b32 s7, -1
	s_delay_alu instid0(VALU_DEP_1) | instskip(NEXT) | instid1(VALU_DEP_1)
	v_mul_f32_e32 v4, 0x2f800000, v1
	v_floor_f32_e32 v4, v4
	s_delay_alu instid0(VALU_DEP_1) | instskip(SKIP_1) | instid1(VALU_DEP_2)
	v_fmamk_f32 v1, v4, 0xcf800000, v1
	v_cvt_u32_f32_e32 v5, v4
	v_cvt_u32_f32_e32 v4, v1
	global_store_b64 v[2:3], v[4:5], off
.LBB19_2036:
	s_mov_b32 s10, 0
.LBB19_2037:
	s_delay_alu instid0(SALU_CYCLE_1)
	s_and_b32 vcc_lo, exec_lo, s10
	s_cbranch_vccz .LBB19_2053
; %bb.2038:
	s_cmp_lt_i32 s2, 27
	s_mov_b32 s7, -1
	s_cbranch_scc1 .LBB19_2044
; %bb.2039:
	s_wait_xcnt 0x0
	v_cvt_u32_f32_e32 v1, v12
	s_cmp_gt_i32 s2, 27
	s_cbranch_scc0 .LBB19_2041
; %bb.2040:
	s_mov_b32 s7, 0
	global_store_b32 v[2:3], v1, off
.LBB19_2041:
	s_and_not1_b32 vcc_lo, exec_lo, s7
	s_cbranch_vccnz .LBB19_2043
; %bb.2042:
	global_store_b16 v[2:3], v1, off
.LBB19_2043:
	s_mov_b32 s7, 0
.LBB19_2044:
	s_delay_alu instid0(SALU_CYCLE_1)
	s_and_not1_b32 vcc_lo, exec_lo, s7
	s_cbranch_vccnz .LBB19_2052
; %bb.2045:
	s_wait_xcnt 0x0
	v_and_b32_e32 v1, 0x7fffffff, v12
	v_mov_b32_e32 v4, 0x80
	s_mov_b32 s7, exec_lo
	s_delay_alu instid0(VALU_DEP_2)
	v_cmpx_gt_u32_e32 0x43800000, v1
	s_cbranch_execz .LBB19_2051
; %bb.2046:
	v_cmp_lt_u32_e32 vcc_lo, 0x3bffffff, v1
	s_mov_b32 s10, 0
                                        ; implicit-def: $vgpr1
	s_and_saveexec_b32 s11, vcc_lo
	s_delay_alu instid0(SALU_CYCLE_1)
	s_xor_b32 s11, exec_lo, s11
	s_cbranch_execz .LBB19_2228
; %bb.2047:
	v_bfe_u32 v1, v12, 20, 1
	s_mov_b32 s10, exec_lo
	s_delay_alu instid0(VALU_DEP_1) | instskip(NEXT) | instid1(VALU_DEP_1)
	v_add3_u32 v1, v12, v1, 0x487ffff
	v_lshrrev_b32_e32 v1, 20, v1
	s_and_not1_saveexec_b32 s11, s11
	s_cbranch_execnz .LBB19_2229
.LBB19_2048:
	s_or_b32 exec_lo, exec_lo, s11
	v_mov_b32_e32 v4, 0
	s_and_saveexec_b32 s11, s10
.LBB19_2049:
	v_lshrrev_b32_e32 v4, 24, v12
	s_delay_alu instid0(VALU_DEP_1)
	v_and_or_b32 v4, 0x80, v4, v1
.LBB19_2050:
	s_or_b32 exec_lo, exec_lo, s11
.LBB19_2051:
	s_delay_alu instid0(SALU_CYCLE_1)
	s_or_b32 exec_lo, exec_lo, s7
	global_store_b8 v[2:3], v4, off
.LBB19_2052:
	s_mov_b32 s7, -1
.LBB19_2053:
	s_mov_b32 s10, 0
.LBB19_2054:
	s_delay_alu instid0(SALU_CYCLE_1)
	s_and_b32 vcc_lo, exec_lo, s10
	s_cbranch_vccz .LBB19_2094
; %bb.2055:
	s_cmp_gt_i32 s2, 22
	s_mov_b32 s3, -1
	s_cbranch_scc0 .LBB19_2087
; %bb.2056:
	s_cmp_lt_i32 s2, 24
	s_cbranch_scc1 .LBB19_2076
; %bb.2057:
	s_cmp_gt_i32 s2, 24
	s_cbranch_scc0 .LBB19_2065
; %bb.2058:
	s_wait_xcnt 0x0
	v_and_b32_e32 v1, 0x7fffffff, v12
	v_mov_b32_e32 v4, 0x80
	s_mov_b32 s3, exec_lo
	s_delay_alu instid0(VALU_DEP_2)
	v_cmpx_gt_u32_e32 0x47800000, v1
	s_cbranch_execz .LBB19_2064
; %bb.2059:
	v_cmp_lt_u32_e32 vcc_lo, 0x37ffffff, v1
	s_mov_b32 s7, 0
                                        ; implicit-def: $vgpr1
	s_and_saveexec_b32 s10, vcc_lo
	s_delay_alu instid0(SALU_CYCLE_1)
	s_xor_b32 s10, exec_lo, s10
	s_cbranch_execz .LBB19_2231
; %bb.2060:
	v_bfe_u32 v1, v12, 21, 1
	s_mov_b32 s7, exec_lo
	s_delay_alu instid0(VALU_DEP_1) | instskip(NEXT) | instid1(VALU_DEP_1)
	v_add3_u32 v1, v12, v1, 0x88fffff
	v_lshrrev_b32_e32 v1, 21, v1
	s_and_not1_saveexec_b32 s10, s10
	s_cbranch_execnz .LBB19_2232
.LBB19_2061:
	s_or_b32 exec_lo, exec_lo, s10
	v_mov_b32_e32 v4, 0
	s_and_saveexec_b32 s10, s7
.LBB19_2062:
	v_lshrrev_b32_e32 v4, 24, v12
	s_delay_alu instid0(VALU_DEP_1)
	v_and_or_b32 v4, 0x80, v4, v1
.LBB19_2063:
	s_or_b32 exec_lo, exec_lo, s10
.LBB19_2064:
	s_delay_alu instid0(SALU_CYCLE_1)
	s_or_b32 exec_lo, exec_lo, s3
	s_mov_b32 s3, 0
	global_store_b8 v[2:3], v4, off
.LBB19_2065:
	s_and_b32 vcc_lo, exec_lo, s3
	s_cbranch_vccz .LBB19_2075
; %bb.2066:
	s_wait_xcnt 0x0
	v_and_b32_e32 v4, 0x7fffffff, v12
	s_mov_b32 s3, exec_lo
                                        ; implicit-def: $vgpr1
	s_delay_alu instid0(VALU_DEP_1)
	v_cmpx_gt_u32_e32 0x43f00000, v4
	s_xor_b32 s3, exec_lo, s3
	s_cbranch_execz .LBB19_2072
; %bb.2067:
	s_mov_b32 s7, exec_lo
                                        ; implicit-def: $vgpr1
	v_cmpx_lt_u32_e32 0x3c7fffff, v4
	s_xor_b32 s7, exec_lo, s7
; %bb.2068:
	v_bfe_u32 v1, v12, 20, 1
	s_delay_alu instid0(VALU_DEP_1) | instskip(NEXT) | instid1(VALU_DEP_1)
	v_add3_u32 v1, v12, v1, 0x407ffff
	v_and_b32_e32 v4, 0xff00000, v1
	v_lshrrev_b32_e32 v1, 20, v1
	s_delay_alu instid0(VALU_DEP_2) | instskip(NEXT) | instid1(VALU_DEP_2)
	v_cmp_ne_u32_e32 vcc_lo, 0x7f00000, v4
	v_cndmask_b32_e32 v1, 0x7e, v1, vcc_lo
; %bb.2069:
	s_and_not1_saveexec_b32 s7, s7
; %bb.2070:
	v_add_f32_e64 v1, 0x46800000, |v12|
; %bb.2071:
	s_or_b32 exec_lo, exec_lo, s7
                                        ; implicit-def: $vgpr4
.LBB19_2072:
	s_and_not1_saveexec_b32 s3, s3
; %bb.2073:
	v_mov_b32_e32 v1, 0x7f
	v_cmp_lt_u32_e32 vcc_lo, 0x7f800000, v4
	s_delay_alu instid0(VALU_DEP_2)
	v_cndmask_b32_e32 v1, 0x7e, v1, vcc_lo
; %bb.2074:
	s_or_b32 exec_lo, exec_lo, s3
	v_lshrrev_b32_e32 v4, 24, v12
	s_delay_alu instid0(VALU_DEP_1)
	v_and_or_b32 v1, 0x80, v4, v1
	global_store_b8 v[2:3], v1, off
.LBB19_2075:
	s_mov_b32 s3, 0
.LBB19_2076:
	s_delay_alu instid0(SALU_CYCLE_1)
	s_and_not1_b32 vcc_lo, exec_lo, s3
	s_cbranch_vccnz .LBB19_2086
; %bb.2077:
	s_wait_xcnt 0x0
	v_and_b32_e32 v4, 0x7fffffff, v12
	s_mov_b32 s3, exec_lo
                                        ; implicit-def: $vgpr1
	s_delay_alu instid0(VALU_DEP_1)
	v_cmpx_gt_u32_e32 0x47800000, v4
	s_xor_b32 s3, exec_lo, s3
	s_cbranch_execz .LBB19_2083
; %bb.2078:
	s_mov_b32 s7, exec_lo
                                        ; implicit-def: $vgpr1
	v_cmpx_lt_u32_e32 0x387fffff, v4
	s_xor_b32 s7, exec_lo, s7
; %bb.2079:
	v_bfe_u32 v1, v12, 21, 1
	s_delay_alu instid0(VALU_DEP_1) | instskip(NEXT) | instid1(VALU_DEP_1)
	v_add3_u32 v1, v12, v1, 0x80fffff
	v_lshrrev_b32_e32 v1, 21, v1
; %bb.2080:
	s_and_not1_saveexec_b32 s7, s7
; %bb.2081:
	v_add_f32_e64 v1, 0x43000000, |v12|
; %bb.2082:
	s_or_b32 exec_lo, exec_lo, s7
                                        ; implicit-def: $vgpr4
.LBB19_2083:
	s_and_not1_saveexec_b32 s3, s3
; %bb.2084:
	v_mov_b32_e32 v1, 0x7f
	v_cmp_lt_u32_e32 vcc_lo, 0x7f800000, v4
	s_delay_alu instid0(VALU_DEP_2)
	v_cndmask_b32_e32 v1, 0x7c, v1, vcc_lo
; %bb.2085:
	s_or_b32 exec_lo, exec_lo, s3
	v_lshrrev_b32_e32 v4, 24, v12
	s_delay_alu instid0(VALU_DEP_1)
	v_and_or_b32 v1, 0x80, v4, v1
	global_store_b8 v[2:3], v1, off
.LBB19_2086:
	s_mov_b32 s3, 0
	s_mov_b32 s7, -1
.LBB19_2087:
	s_and_not1_b32 vcc_lo, exec_lo, s3
	s_mov_b32 s3, 0
	s_cbranch_vccnz .LBB19_2094
; %bb.2088:
	s_cmp_gt_i32 s2, 14
	s_mov_b32 s3, -1
	s_cbranch_scc0 .LBB19_2092
; %bb.2089:
	s_cmp_eq_u32 s2, 15
	s_mov_b32 s0, -1
	s_cbranch_scc0 .LBB19_2091
; %bb.2090:
	s_wait_xcnt 0x0
	v_bfe_u32 v1, v12, 16, 1
	v_cmp_o_f32_e32 vcc_lo, v12, v12
	s_mov_b32 s0, 0
	s_mov_b32 s7, -1
	s_delay_alu instid0(VALU_DEP_2) | instskip(NEXT) | instid1(VALU_DEP_1)
	v_add3_u32 v1, v12, v1, 0x7fff
	v_lshrrev_b32_e32 v1, 16, v1
	s_delay_alu instid0(VALU_DEP_1)
	v_cndmask_b32_e32 v1, 0x7fc0, v1, vcc_lo
	global_store_b16 v[2:3], v1, off
.LBB19_2091:
	s_mov_b32 s3, 0
.LBB19_2092:
	s_delay_alu instid0(SALU_CYCLE_1)
	s_and_b32 vcc_lo, exec_lo, s3
	s_mov_b32 s3, 0
	s_cbranch_vccz .LBB19_2094
; %bb.2093:
	s_cmp_lg_u32 s2, 11
	s_mov_b32 s3, -1
	s_cselect_b32 s0, -1, 0
.LBB19_2094:
	s_delay_alu instid0(SALU_CYCLE_1)
	s_and_b32 vcc_lo, exec_lo, s0
	s_cbranch_vccnz .LBB19_2230
; %bb.2095:
	s_and_not1_b32 vcc_lo, exec_lo, s3
	s_cbranch_vccnz .LBB19_2097
.LBB19_2096:
	v_cmp_neq_f32_e32 vcc_lo, 0, v12
	s_mov_b32 s7, -1
	s_wait_xcnt 0x0
	v_cndmask_b32_e64 v1, 0, 1, vcc_lo
	global_store_b8 v[2:3], v1, off
.LBB19_2097:
	s_mov_b32 s0, 0
	s_branch .LBB19_2099
.LBB19_2098:
	s_mov_b32 s0, -1
	s_mov_b32 s7, 0
.LBB19_2099:
	s_and_b32 vcc_lo, exec_lo, s0
	s_cbranch_vccz .LBB19_2138
; %bb.2100:
	s_cmp_lt_i32 s2, 5
	s_mov_b32 s0, -1
	s_cbranch_scc1 .LBB19_2121
; %bb.2101:
	s_cmp_lt_i32 s2, 8
	s_cbranch_scc1 .LBB19_2111
; %bb.2102:
	s_cmp_lt_i32 s2, 9
	s_cbranch_scc1 .LBB19_2108
; %bb.2103:
	s_cmp_gt_i32 s2, 9
	s_cbranch_scc0 .LBB19_2105
; %bb.2104:
	s_wait_xcnt 0x0
	v_cvt_f64_f32_e32 v[4:5], v12
	v_mov_b32_e32 v6, 0
	s_mov_b32 s0, 0
	s_delay_alu instid0(VALU_DEP_1)
	v_mov_b32_e32 v7, v6
	global_store_b128 v[2:3], v[4:7], off
.LBB19_2105:
	s_and_not1_b32 vcc_lo, exec_lo, s0
	s_cbranch_vccnz .LBB19_2107
; %bb.2106:
	v_mov_b32_e32 v13, 0
	global_store_b64 v[2:3], v[12:13], off
.LBB19_2107:
	s_mov_b32 s0, 0
.LBB19_2108:
	s_delay_alu instid0(SALU_CYCLE_1)
	s_and_not1_b32 vcc_lo, exec_lo, s0
	s_cbranch_vccnz .LBB19_2110
; %bb.2109:
	s_wait_xcnt 0x0
	v_cvt_f16_f32_e32 v1, v12
	s_delay_alu instid0(VALU_DEP_1)
	v_and_b32_e32 v1, 0xffff, v1
	global_store_b32 v[2:3], v1, off
.LBB19_2110:
	s_mov_b32 s0, 0
.LBB19_2111:
	s_delay_alu instid0(SALU_CYCLE_1)
	s_and_not1_b32 vcc_lo, exec_lo, s0
	s_cbranch_vccnz .LBB19_2120
; %bb.2112:
	s_cmp_lt_i32 s2, 6
	s_mov_b32 s0, -1
	s_cbranch_scc1 .LBB19_2118
; %bb.2113:
	s_cmp_gt_i32 s2, 6
	s_cbranch_scc0 .LBB19_2115
; %bb.2114:
	s_wait_xcnt 0x0
	v_cvt_f64_f32_e32 v[4:5], v12
	s_mov_b32 s0, 0
	global_store_b64 v[2:3], v[4:5], off
.LBB19_2115:
	s_and_not1_b32 vcc_lo, exec_lo, s0
	s_cbranch_vccnz .LBB19_2117
; %bb.2116:
	global_store_b32 v[2:3], v12, off
.LBB19_2117:
	s_mov_b32 s0, 0
.LBB19_2118:
	s_delay_alu instid0(SALU_CYCLE_1)
	s_and_not1_b32 vcc_lo, exec_lo, s0
	s_cbranch_vccnz .LBB19_2120
; %bb.2119:
	s_wait_xcnt 0x0
	v_cvt_f16_f32_e32 v1, v12
	global_store_b16 v[2:3], v1, off
.LBB19_2120:
	s_mov_b32 s0, 0
.LBB19_2121:
	s_delay_alu instid0(SALU_CYCLE_1)
	s_and_not1_b32 vcc_lo, exec_lo, s0
	s_cbranch_vccnz .LBB19_2137
; %bb.2122:
	s_cmp_lt_i32 s2, 2
	s_mov_b32 s0, -1
	s_cbranch_scc1 .LBB19_2132
; %bb.2123:
	s_cmp_lt_i32 s2, 3
	s_cbranch_scc1 .LBB19_2129
; %bb.2124:
	s_cmp_gt_i32 s2, 3
	s_cbranch_scc0 .LBB19_2126
; %bb.2125:
	s_wait_xcnt 0x0
	v_trunc_f32_e32 v1, v12
	s_mov_b32 s0, 0
	s_delay_alu instid0(VALU_DEP_1) | instskip(NEXT) | instid1(VALU_DEP_1)
	v_mul_f32_e64 v4, 0x2f800000, |v1|
	v_floor_f32_e32 v5, v4
	v_ashrrev_i32_e32 v4, 31, v1
	s_delay_alu instid0(VALU_DEP_2) | instskip(SKIP_1) | instid1(VALU_DEP_3)
	v_fma_f32 v6, 0xcf800000, v5, |v1|
	v_cvt_u32_f32_e32 v1, v5
	v_mov_b32_e32 v5, v4
	s_delay_alu instid0(VALU_DEP_3) | instskip(NEXT) | instid1(VALU_DEP_3)
	v_cvt_u32_f32_e32 v6, v6
	v_xor_b32_e32 v7, v1, v4
	s_delay_alu instid0(VALU_DEP_2) | instskip(NEXT) | instid1(VALU_DEP_1)
	v_xor_b32_e32 v6, v6, v4
	v_sub_nc_u64_e32 v[4:5], v[6:7], v[4:5]
	global_store_b64 v[2:3], v[4:5], off
.LBB19_2126:
	s_and_not1_b32 vcc_lo, exec_lo, s0
	s_cbranch_vccnz .LBB19_2128
; %bb.2127:
	s_wait_xcnt 0x0
	v_cvt_i32_f32_e32 v1, v12
	global_store_b32 v[2:3], v1, off
.LBB19_2128:
	s_mov_b32 s0, 0
.LBB19_2129:
	s_delay_alu instid0(SALU_CYCLE_1)
	s_and_not1_b32 vcc_lo, exec_lo, s0
	s_cbranch_vccnz .LBB19_2131
; %bb.2130:
	s_wait_xcnt 0x0
	v_cvt_i32_f32_e32 v1, v12
	global_store_b16 v[2:3], v1, off
.LBB19_2131:
	s_mov_b32 s0, 0
.LBB19_2132:
	s_delay_alu instid0(SALU_CYCLE_1)
	s_and_not1_b32 vcc_lo, exec_lo, s0
	s_cbranch_vccnz .LBB19_2137
; %bb.2133:
	s_cmp_gt_i32 s2, 0
	s_mov_b32 s0, -1
	s_cbranch_scc0 .LBB19_2135
; %bb.2134:
	s_wait_xcnt 0x0
	v_cvt_i32_f32_e32 v1, v12
	s_mov_b32 s0, 0
	global_store_b8 v[2:3], v1, off
.LBB19_2135:
	s_and_not1_b32 vcc_lo, exec_lo, s0
	s_cbranch_vccnz .LBB19_2137
; %bb.2136:
	s_wait_xcnt 0x0
	v_trunc_f32_e32 v1, v12
	s_delay_alu instid0(VALU_DEP_1) | instskip(NEXT) | instid1(VALU_DEP_1)
	v_mul_f32_e64 v4, 0x2f800000, |v1|
	v_floor_f32_e32 v4, v4
	s_delay_alu instid0(VALU_DEP_1) | instskip(SKIP_1) | instid1(VALU_DEP_2)
	v_fma_f32 v4, 0xcf800000, v4, |v1|
	v_ashrrev_i32_e32 v1, 31, v1
	v_cvt_u32_f32_e32 v4, v4
	s_delay_alu instid0(VALU_DEP_1) | instskip(NEXT) | instid1(VALU_DEP_1)
	v_xor_b32_e32 v4, v4, v1
	v_sub_nc_u32_e32 v1, v4, v1
	global_store_b8 v[2:3], v1, off
.LBB19_2137:
	s_mov_b32 s7, -1
.LBB19_2138:
	s_delay_alu instid0(SALU_CYCLE_1)
	s_and_not1_b32 vcc_lo, exec_lo, s7
	s_cbranch_vccnz .LBB19_2215
; %bb.2139:
	s_wait_xcnt 0x0
	v_mov_b32_e32 v1, 0
	s_cmp_lt_i32 s2, 11
	s_delay_alu instid0(VALU_DEP_1)
	v_add_nc_u64_e32 v[2:3], s[4:5], v[0:1]
	s_cbranch_scc1 .LBB19_2216
; %bb.2140:
	s_mov_b32 s4, -1
	s_mov_b32 s3, 0
	s_cmp_gt_i32 s2, 25
	s_mov_b32 s0, 0
	s_cbranch_scc0 .LBB19_2173
; %bb.2141:
	s_cmp_gt_i32 s2, 28
	s_cbranch_scc0 .LBB19_2157
; %bb.2142:
	s_cmp_gt_i32 s2, 43
	;; [unrolled: 3-line block ×3, first 2 shown]
	s_cbranch_scc0 .LBB19_2147
; %bb.2144:
	s_cmp_eq_u32 s2, 46
	s_mov_b32 s0, -1
	s_cbranch_scc0 .LBB19_2146
; %bb.2145:
	v_bfe_u32 v0, v14, 16, 1
	v_cmp_o_f32_e32 vcc_lo, v14, v14
	s_mov_b32 s0, 0
	s_delay_alu instid0(VALU_DEP_2) | instskip(NEXT) | instid1(VALU_DEP_1)
	v_add3_u32 v0, v14, v0, 0x7fff
	v_lshrrev_b32_e32 v0, 16, v0
	s_delay_alu instid0(VALU_DEP_1)
	v_cndmask_b32_e32 v0, 0x7fc0, v0, vcc_lo
	global_store_b32 v[2:3], v0, off
.LBB19_2146:
	s_mov_b32 s4, 0
.LBB19_2147:
	s_delay_alu instid0(SALU_CYCLE_1)
	s_and_b32 vcc_lo, exec_lo, s4
	s_cbranch_vccz .LBB19_2152
; %bb.2148:
	s_cmp_eq_u32 s2, 44
	s_mov_b32 s0, -1
	s_cbranch_scc0 .LBB19_2152
; %bb.2149:
	v_bfe_u32 v1, v14, 23, 8
	s_wait_xcnt 0x0
	v_mov_b32_e32 v0, 0xff
	s_mov_b32 s4, exec_lo
	s_delay_alu instid0(VALU_DEP_2)
	v_cmpx_ne_u32_e32 0xff, v1
	s_cbranch_execz .LBB19_2151
; %bb.2150:
	v_and_b32_e32 v0, 0x400000, v14
	v_and_or_b32 v1, 0x3fffff, v14, v1
	s_delay_alu instid0(VALU_DEP_2) | instskip(NEXT) | instid1(VALU_DEP_2)
	v_cmp_ne_u32_e32 vcc_lo, 0, v0
	v_cmp_ne_u32_e64 s0, 0, v1
	v_lshrrev_b32_e32 v0, 23, v14
	s_and_b32 s0, vcc_lo, s0
	s_delay_alu instid0(SALU_CYCLE_1) | instskip(NEXT) | instid1(VALU_DEP_1)
	v_cndmask_b32_e64 v1, 0, 1, s0
	v_add_nc_u32_e32 v0, v0, v1
.LBB19_2151:
	s_or_b32 exec_lo, exec_lo, s4
	s_mov_b32 s0, 0
	global_store_b8 v[2:3], v0, off
.LBB19_2152:
	s_mov_b32 s4, 0
.LBB19_2153:
	s_delay_alu instid0(SALU_CYCLE_1)
	s_and_b32 vcc_lo, exec_lo, s4
	s_cbranch_vccz .LBB19_2156
; %bb.2154:
	s_cmp_eq_u32 s2, 29
	s_mov_b32 s0, -1
	s_cbranch_scc0 .LBB19_2156
; %bb.2155:
	s_wait_xcnt 0x0
	v_trunc_f32_e32 v0, v14
	s_mov_b32 s0, 0
	s_delay_alu instid0(VALU_DEP_1) | instskip(NEXT) | instid1(VALU_DEP_1)
	v_mul_f32_e32 v1, 0x2f800000, v0
	v_floor_f32_e32 v1, v1
	s_delay_alu instid0(VALU_DEP_1) | instskip(SKIP_1) | instid1(VALU_DEP_2)
	v_fmamk_f32 v0, v1, 0xcf800000, v0
	v_cvt_u32_f32_e32 v1, v1
	v_cvt_u32_f32_e32 v0, v0
	global_store_b64 v[2:3], v[0:1], off
.LBB19_2156:
	s_mov_b32 s4, 0
.LBB19_2157:
	s_delay_alu instid0(SALU_CYCLE_1)
	s_and_b32 vcc_lo, exec_lo, s4
	s_cbranch_vccz .LBB19_2172
; %bb.2158:
	s_cmp_lt_i32 s2, 27
	s_mov_b32 s4, -1
	s_cbranch_scc1 .LBB19_2164
; %bb.2159:
	s_cmp_gt_i32 s2, 27
	s_cbranch_scc0 .LBB19_2161
; %bb.2160:
	s_wait_xcnt 0x0
	v_cvt_u32_f32_e32 v0, v14
	s_mov_b32 s4, 0
	global_store_b32 v[2:3], v0, off
.LBB19_2161:
	s_and_not1_b32 vcc_lo, exec_lo, s4
	s_cbranch_vccnz .LBB19_2163
; %bb.2162:
	s_wait_xcnt 0x0
	v_cvt_u32_f32_e32 v0, v14
	global_store_b16 v[2:3], v0, off
.LBB19_2163:
	s_mov_b32 s4, 0
.LBB19_2164:
	s_delay_alu instid0(SALU_CYCLE_1)
	s_and_not1_b32 vcc_lo, exec_lo, s4
	s_cbranch_vccnz .LBB19_2172
; %bb.2165:
	s_wait_xcnt 0x0
	v_and_b32_e32 v0, 0x7fffffff, v14
	v_mov_b32_e32 v1, 0x80
	s_mov_b32 s4, exec_lo
	s_delay_alu instid0(VALU_DEP_2)
	v_cmpx_gt_u32_e32 0x43800000, v0
	s_cbranch_execz .LBB19_2171
; %bb.2166:
	v_cmp_lt_u32_e32 vcc_lo, 0x3bffffff, v0
	s_mov_b32 s5, 0
                                        ; implicit-def: $vgpr0
	s_and_saveexec_b32 s7, vcc_lo
	s_delay_alu instid0(SALU_CYCLE_1)
	s_xor_b32 s7, exec_lo, s7
	s_cbranch_execz .LBB19_2233
; %bb.2167:
	v_bfe_u32 v0, v14, 20, 1
	s_mov_b32 s5, exec_lo
	s_delay_alu instid0(VALU_DEP_1) | instskip(NEXT) | instid1(VALU_DEP_1)
	v_add3_u32 v0, v14, v0, 0x487ffff
	v_lshrrev_b32_e32 v0, 20, v0
	s_and_not1_saveexec_b32 s7, s7
	s_cbranch_execnz .LBB19_2234
.LBB19_2168:
	s_or_b32 exec_lo, exec_lo, s7
	v_mov_b32_e32 v1, 0
	s_and_saveexec_b32 s7, s5
.LBB19_2169:
	v_lshrrev_b32_e32 v1, 24, v14
	s_delay_alu instid0(VALU_DEP_1)
	v_and_or_b32 v1, 0x80, v1, v0
.LBB19_2170:
	s_or_b32 exec_lo, exec_lo, s7
.LBB19_2171:
	s_delay_alu instid0(SALU_CYCLE_1)
	s_or_b32 exec_lo, exec_lo, s4
	global_store_b8 v[2:3], v1, off
.LBB19_2172:
	s_mov_b32 s4, 0
.LBB19_2173:
	s_delay_alu instid0(SALU_CYCLE_1)
	s_and_b32 vcc_lo, exec_lo, s4
	s_cbranch_vccz .LBB19_2213
; %bb.2174:
	s_cmp_gt_i32 s2, 22
	s_mov_b32 s3, -1
	s_cbranch_scc0 .LBB19_2206
; %bb.2175:
	s_cmp_lt_i32 s2, 24
	s_cbranch_scc1 .LBB19_2195
; %bb.2176:
	s_cmp_gt_i32 s2, 24
	s_cbranch_scc0 .LBB19_2184
; %bb.2177:
	s_wait_xcnt 0x0
	v_and_b32_e32 v0, 0x7fffffff, v14
	v_mov_b32_e32 v1, 0x80
	s_mov_b32 s3, exec_lo
	s_delay_alu instid0(VALU_DEP_2)
	v_cmpx_gt_u32_e32 0x47800000, v0
	s_cbranch_execz .LBB19_2183
; %bb.2178:
	v_cmp_lt_u32_e32 vcc_lo, 0x37ffffff, v0
	s_mov_b32 s4, 0
                                        ; implicit-def: $vgpr0
	s_and_saveexec_b32 s5, vcc_lo
	s_delay_alu instid0(SALU_CYCLE_1)
	s_xor_b32 s5, exec_lo, s5
	s_cbranch_execz .LBB19_2236
; %bb.2179:
	v_bfe_u32 v0, v14, 21, 1
	s_mov_b32 s4, exec_lo
	s_delay_alu instid0(VALU_DEP_1) | instskip(NEXT) | instid1(VALU_DEP_1)
	v_add3_u32 v0, v14, v0, 0x88fffff
	v_lshrrev_b32_e32 v0, 21, v0
	s_and_not1_saveexec_b32 s5, s5
	s_cbranch_execnz .LBB19_2237
.LBB19_2180:
	s_or_b32 exec_lo, exec_lo, s5
	v_mov_b32_e32 v1, 0
	s_and_saveexec_b32 s5, s4
.LBB19_2181:
	v_lshrrev_b32_e32 v1, 24, v14
	s_delay_alu instid0(VALU_DEP_1)
	v_and_or_b32 v1, 0x80, v1, v0
.LBB19_2182:
	s_or_b32 exec_lo, exec_lo, s5
.LBB19_2183:
	s_delay_alu instid0(SALU_CYCLE_1)
	s_or_b32 exec_lo, exec_lo, s3
	s_mov_b32 s3, 0
	global_store_b8 v[2:3], v1, off
.LBB19_2184:
	s_and_b32 vcc_lo, exec_lo, s3
	s_cbranch_vccz .LBB19_2194
; %bb.2185:
	s_wait_xcnt 0x0
	v_and_b32_e32 v1, 0x7fffffff, v14
	s_mov_b32 s3, exec_lo
                                        ; implicit-def: $vgpr0
	s_delay_alu instid0(VALU_DEP_1)
	v_cmpx_gt_u32_e32 0x43f00000, v1
	s_xor_b32 s3, exec_lo, s3
	s_cbranch_execz .LBB19_2191
; %bb.2186:
	s_mov_b32 s4, exec_lo
                                        ; implicit-def: $vgpr0
	v_cmpx_lt_u32_e32 0x3c7fffff, v1
	s_xor_b32 s4, exec_lo, s4
; %bb.2187:
	v_bfe_u32 v0, v14, 20, 1
	s_delay_alu instid0(VALU_DEP_1) | instskip(NEXT) | instid1(VALU_DEP_1)
	v_add3_u32 v0, v14, v0, 0x407ffff
	v_and_b32_e32 v1, 0xff00000, v0
	v_lshrrev_b32_e32 v0, 20, v0
	s_delay_alu instid0(VALU_DEP_2) | instskip(NEXT) | instid1(VALU_DEP_2)
	v_cmp_ne_u32_e32 vcc_lo, 0x7f00000, v1
	v_cndmask_b32_e32 v0, 0x7e, v0, vcc_lo
; %bb.2188:
	s_and_not1_saveexec_b32 s4, s4
; %bb.2189:
	v_add_f32_e64 v0, 0x46800000, |v14|
; %bb.2190:
	s_or_b32 exec_lo, exec_lo, s4
                                        ; implicit-def: $vgpr1
.LBB19_2191:
	s_and_not1_saveexec_b32 s3, s3
; %bb.2192:
	v_mov_b32_e32 v0, 0x7f
	v_cmp_lt_u32_e32 vcc_lo, 0x7f800000, v1
	s_delay_alu instid0(VALU_DEP_2)
	v_cndmask_b32_e32 v0, 0x7e, v0, vcc_lo
; %bb.2193:
	s_or_b32 exec_lo, exec_lo, s3
	v_lshrrev_b32_e32 v1, 24, v14
	s_delay_alu instid0(VALU_DEP_1)
	v_and_or_b32 v0, 0x80, v1, v0
	global_store_b8 v[2:3], v0, off
.LBB19_2194:
	s_mov_b32 s3, 0
.LBB19_2195:
	s_delay_alu instid0(SALU_CYCLE_1)
	s_and_not1_b32 vcc_lo, exec_lo, s3
	s_cbranch_vccnz .LBB19_2205
; %bb.2196:
	s_wait_xcnt 0x0
	v_and_b32_e32 v1, 0x7fffffff, v14
	s_mov_b32 s3, exec_lo
                                        ; implicit-def: $vgpr0
	s_delay_alu instid0(VALU_DEP_1)
	v_cmpx_gt_u32_e32 0x47800000, v1
	s_xor_b32 s3, exec_lo, s3
	s_cbranch_execz .LBB19_2202
; %bb.2197:
	s_mov_b32 s4, exec_lo
                                        ; implicit-def: $vgpr0
	v_cmpx_lt_u32_e32 0x387fffff, v1
	s_xor_b32 s4, exec_lo, s4
; %bb.2198:
	v_bfe_u32 v0, v14, 21, 1
	s_delay_alu instid0(VALU_DEP_1) | instskip(NEXT) | instid1(VALU_DEP_1)
	v_add3_u32 v0, v14, v0, 0x80fffff
	v_lshrrev_b32_e32 v0, 21, v0
; %bb.2199:
	s_and_not1_saveexec_b32 s4, s4
; %bb.2200:
	v_add_f32_e64 v0, 0x43000000, |v14|
; %bb.2201:
	s_or_b32 exec_lo, exec_lo, s4
                                        ; implicit-def: $vgpr1
.LBB19_2202:
	s_and_not1_saveexec_b32 s3, s3
; %bb.2203:
	v_mov_b32_e32 v0, 0x7f
	v_cmp_lt_u32_e32 vcc_lo, 0x7f800000, v1
	s_delay_alu instid0(VALU_DEP_2)
	v_cndmask_b32_e32 v0, 0x7c, v0, vcc_lo
; %bb.2204:
	s_or_b32 exec_lo, exec_lo, s3
	v_lshrrev_b32_e32 v1, 24, v14
	s_delay_alu instid0(VALU_DEP_1)
	v_and_or_b32 v0, 0x80, v1, v0
	global_store_b8 v[2:3], v0, off
.LBB19_2205:
	s_mov_b32 s3, 0
.LBB19_2206:
	s_delay_alu instid0(SALU_CYCLE_1)
	s_and_not1_b32 vcc_lo, exec_lo, s3
	s_mov_b32 s3, 0
	s_cbranch_vccnz .LBB19_2213
; %bb.2207:
	s_cmp_gt_i32 s2, 14
	s_mov_b32 s3, -1
	s_cbranch_scc0 .LBB19_2211
; %bb.2208:
	s_cmp_eq_u32 s2, 15
	s_mov_b32 s0, -1
	s_cbranch_scc0 .LBB19_2210
; %bb.2209:
	s_wait_xcnt 0x0
	v_bfe_u32 v0, v14, 16, 1
	v_cmp_o_f32_e32 vcc_lo, v14, v14
	s_mov_b32 s0, 0
	s_delay_alu instid0(VALU_DEP_2) | instskip(NEXT) | instid1(VALU_DEP_1)
	v_add3_u32 v0, v14, v0, 0x7fff
	v_lshrrev_b32_e32 v0, 16, v0
	s_delay_alu instid0(VALU_DEP_1)
	v_cndmask_b32_e32 v0, 0x7fc0, v0, vcc_lo
	global_store_b16 v[2:3], v0, off
.LBB19_2210:
	s_mov_b32 s3, 0
.LBB19_2211:
	s_delay_alu instid0(SALU_CYCLE_1)
	s_and_b32 vcc_lo, exec_lo, s3
	s_mov_b32 s3, 0
	s_cbranch_vccz .LBB19_2213
; %bb.2212:
	s_cmp_lg_u32 s2, 11
	s_mov_b32 s3, -1
	s_cselect_b32 s0, -1, 0
.LBB19_2213:
	s_delay_alu instid0(SALU_CYCLE_1)
	s_and_b32 vcc_lo, exec_lo, s0
	s_cbranch_vccnz .LBB19_2235
.LBB19_2214:
	s_mov_b32 s0, 0
	s_branch .LBB19_1816
.LBB19_2215:
	s_mov_b32 s0, 0
	s_mov_b32 s3, 0
                                        ; implicit-def: $vgpr2_vgpr3
                                        ; implicit-def: $sgpr6
	s_branch .LBB19_1816
.LBB19_2216:
	s_mov_b32 s3, 0
	s_mov_b32 s0, -1
	s_branch .LBB19_1816
.LBB19_2217:
	s_or_b32 s1, s1, exec_lo
	s_trap 2
	s_cbranch_execz .LBB19_1677
	s_branch .LBB19_1678
.LBB19_2218:
	s_and_not1_saveexec_b32 s11, s11
	s_cbranch_execz .LBB19_1765
.LBB19_2219:
	v_add_f32_e64 v1, 0x46000000, |v8|
	s_and_not1_b32 s10, s10, exec_lo
	s_delay_alu instid0(VALU_DEP_1) | instskip(NEXT) | instid1(VALU_DEP_1)
	v_and_b32_e32 v1, 0xff, v1
	v_cmp_ne_u32_e32 vcc_lo, 0, v1
	s_and_b32 s12, vcc_lo, exec_lo
	s_delay_alu instid0(SALU_CYCLE_1)
	s_or_b32 s10, s10, s12
	s_or_b32 exec_lo, exec_lo, s11
	v_mov_b32_e32 v3, 0
	s_and_saveexec_b32 s11, s10
	s_cbranch_execnz .LBB19_1766
	s_branch .LBB19_1767
.LBB19_2220:
	s_or_b32 s1, s1, exec_lo
	s_trap 2
	s_cbranch_execz .LBB19_1813
	s_branch .LBB19_1814
.LBB19_2221:
	s_and_not1_saveexec_b32 s10, s10
	s_cbranch_execz .LBB19_1778
.LBB19_2222:
	v_add_f32_e64 v1, 0x42800000, |v8|
	s_and_not1_b32 s7, s7, exec_lo
	s_delay_alu instid0(VALU_DEP_1) | instskip(NEXT) | instid1(VALU_DEP_1)
	v_and_b32_e32 v1, 0xff, v1
	v_cmp_ne_u32_e32 vcc_lo, 0, v1
	s_and_b32 s11, vcc_lo, exec_lo
	s_delay_alu instid0(SALU_CYCLE_1)
	s_or_b32 s7, s7, s11
	s_or_b32 exec_lo, exec_lo, s10
	v_mov_b32_e32 v3, 0
	s_and_saveexec_b32 s10, s7
	s_cbranch_execnz .LBB19_1779
	s_branch .LBB19_1780
.LBB19_2223:
	s_and_not1_saveexec_b32 s11, s11
	s_cbranch_execz .LBB19_1929
.LBB19_2224:
	v_add_f32_e64 v1, 0x46000000, |v10|
	s_and_not1_b32 s10, s10, exec_lo
	s_delay_alu instid0(VALU_DEP_1) | instskip(NEXT) | instid1(VALU_DEP_1)
	v_and_b32_e32 v1, 0xff, v1
	v_cmp_ne_u32_e32 vcc_lo, 0, v1
	s_and_b32 s12, vcc_lo, exec_lo
	s_delay_alu instid0(SALU_CYCLE_1)
	s_or_b32 s10, s10, s12
	s_or_b32 exec_lo, exec_lo, s11
	v_mov_b32_e32 v3, 0
	s_and_saveexec_b32 s11, s10
	s_cbranch_execnz .LBB19_1930
	s_branch .LBB19_1931
.LBB19_2225:
	s_or_b32 s1, s1, exec_lo
	s_trap 2
	s_cbranch_execz .LBB19_1977
	s_branch .LBB19_1978
.LBB19_2226:
	s_and_not1_saveexec_b32 s10, s10
	s_cbranch_execz .LBB19_1942
.LBB19_2227:
	v_add_f32_e64 v1, 0x42800000, |v10|
	s_and_not1_b32 s7, s7, exec_lo
	s_delay_alu instid0(VALU_DEP_1) | instskip(NEXT) | instid1(VALU_DEP_1)
	v_and_b32_e32 v1, 0xff, v1
	v_cmp_ne_u32_e32 vcc_lo, 0, v1
	s_and_b32 s11, vcc_lo, exec_lo
	s_delay_alu instid0(SALU_CYCLE_1)
	s_or_b32 s7, s7, s11
	s_or_b32 exec_lo, exec_lo, s10
	v_mov_b32_e32 v3, 0
	s_and_saveexec_b32 s10, s7
	s_cbranch_execnz .LBB19_1943
	s_branch .LBB19_1944
.LBB19_2228:
	s_and_not1_saveexec_b32 s11, s11
	s_cbranch_execz .LBB19_2048
.LBB19_2229:
	v_add_f32_e64 v1, 0x46000000, |v12|
	s_and_not1_b32 s10, s10, exec_lo
	s_delay_alu instid0(VALU_DEP_1) | instskip(NEXT) | instid1(VALU_DEP_1)
	v_and_b32_e32 v1, 0xff, v1
	v_cmp_ne_u32_e32 vcc_lo, 0, v1
	s_and_b32 s12, vcc_lo, exec_lo
	s_delay_alu instid0(SALU_CYCLE_1)
	s_or_b32 s10, s10, s12
	s_or_b32 exec_lo, exec_lo, s11
	v_mov_b32_e32 v4, 0
	s_and_saveexec_b32 s11, s10
	s_cbranch_execnz .LBB19_2049
	s_branch .LBB19_2050
.LBB19_2230:
	s_or_b32 s1, s1, exec_lo
	s_trap 2
	s_cbranch_execz .LBB19_2096
	s_branch .LBB19_2097
.LBB19_2231:
	s_and_not1_saveexec_b32 s10, s10
	s_cbranch_execz .LBB19_2061
.LBB19_2232:
	v_add_f32_e64 v1, 0x42800000, |v12|
	s_and_not1_b32 s7, s7, exec_lo
	s_delay_alu instid0(VALU_DEP_1) | instskip(NEXT) | instid1(VALU_DEP_1)
	v_and_b32_e32 v1, 0xff, v1
	v_cmp_ne_u32_e32 vcc_lo, 0, v1
	s_and_b32 s11, vcc_lo, exec_lo
	s_delay_alu instid0(SALU_CYCLE_1)
	s_or_b32 s7, s7, s11
	s_or_b32 exec_lo, exec_lo, s10
	v_mov_b32_e32 v4, 0
	s_and_saveexec_b32 s10, s7
	s_cbranch_execnz .LBB19_2062
	s_branch .LBB19_2063
.LBB19_2233:
	s_and_not1_saveexec_b32 s7, s7
	s_cbranch_execz .LBB19_2168
.LBB19_2234:
	v_add_f32_e64 v0, 0x46000000, |v14|
	s_and_not1_b32 s5, s5, exec_lo
	s_delay_alu instid0(VALU_DEP_1) | instskip(NEXT) | instid1(VALU_DEP_1)
	v_and_b32_e32 v0, 0xff, v0
	v_cmp_ne_u32_e32 vcc_lo, 0, v0
	s_and_b32 s10, vcc_lo, exec_lo
	s_delay_alu instid0(SALU_CYCLE_1)
	s_or_b32 s5, s5, s10
	s_or_b32 exec_lo, exec_lo, s7
	v_mov_b32_e32 v1, 0
	s_and_saveexec_b32 s7, s5
	s_cbranch_execnz .LBB19_2169
	s_branch .LBB19_2170
.LBB19_2235:
	s_mov_b32 s3, 0
	s_or_b32 s1, s1, exec_lo
	s_trap 2
	s_branch .LBB19_2214
.LBB19_2236:
	s_and_not1_saveexec_b32 s5, s5
	s_cbranch_execz .LBB19_2180
.LBB19_2237:
	v_add_f32_e64 v0, 0x42800000, |v14|
	s_and_not1_b32 s4, s4, exec_lo
	s_delay_alu instid0(VALU_DEP_1) | instskip(NEXT) | instid1(VALU_DEP_1)
	v_and_b32_e32 v0, 0xff, v0
	v_cmp_ne_u32_e32 vcc_lo, 0, v0
	s_and_b32 s7, vcc_lo, exec_lo
	s_delay_alu instid0(SALU_CYCLE_1)
	s_or_b32 s4, s4, s7
	s_or_b32 exec_lo, exec_lo, s5
	v_mov_b32_e32 v1, 0
	s_and_saveexec_b32 s5, s4
	s_cbranch_execnz .LBB19_2181
	s_branch .LBB19_2182
	.section	.rodata,"a",@progbits
	.p2align	6, 0x0
	.amdhsa_kernel _ZN2at6native32elementwise_kernel_manual_unrollILi128ELi4EZNS0_15gpu_kernel_implIZZZNS0_12_GLOBAL__N_137scaled_modified_bessel_k0_kernel_cudaERNS_18TensorIteratorBaseEENKUlvE_clEvENKUlvE0_clEvEUlfE_EEvS5_RKT_EUlibE0_EEviT1_
		.amdhsa_group_segment_fixed_size 0
		.amdhsa_private_segment_fixed_size 0
		.amdhsa_kernarg_size 360
		.amdhsa_user_sgpr_count 2
		.amdhsa_user_sgpr_dispatch_ptr 0
		.amdhsa_user_sgpr_queue_ptr 0
		.amdhsa_user_sgpr_kernarg_segment_ptr 1
		.amdhsa_user_sgpr_dispatch_id 0
		.amdhsa_user_sgpr_kernarg_preload_length 0
		.amdhsa_user_sgpr_kernarg_preload_offset 0
		.amdhsa_user_sgpr_private_segment_size 0
		.amdhsa_wavefront_size32 1
		.amdhsa_uses_dynamic_stack 0
		.amdhsa_enable_private_segment 0
		.amdhsa_system_sgpr_workgroup_id_x 1
		.amdhsa_system_sgpr_workgroup_id_y 0
		.amdhsa_system_sgpr_workgroup_id_z 0
		.amdhsa_system_sgpr_workgroup_info 0
		.amdhsa_system_vgpr_workitem_id 0
		.amdhsa_next_free_vgpr 30
		.amdhsa_next_free_sgpr 68
		.amdhsa_named_barrier_count 0
		.amdhsa_reserve_vcc 1
		.amdhsa_float_round_mode_32 0
		.amdhsa_float_round_mode_16_64 0
		.amdhsa_float_denorm_mode_32 3
		.amdhsa_float_denorm_mode_16_64 3
		.amdhsa_fp16_overflow 0
		.amdhsa_memory_ordered 1
		.amdhsa_forward_progress 1
		.amdhsa_inst_pref_size 255
		.amdhsa_round_robin_scheduling 0
		.amdhsa_exception_fp_ieee_invalid_op 0
		.amdhsa_exception_fp_denorm_src 0
		.amdhsa_exception_fp_ieee_div_zero 0
		.amdhsa_exception_fp_ieee_overflow 0
		.amdhsa_exception_fp_ieee_underflow 0
		.amdhsa_exception_fp_ieee_inexact 0
		.amdhsa_exception_int_div_zero 0
	.end_amdhsa_kernel
	.section	.text._ZN2at6native32elementwise_kernel_manual_unrollILi128ELi4EZNS0_15gpu_kernel_implIZZZNS0_12_GLOBAL__N_137scaled_modified_bessel_k0_kernel_cudaERNS_18TensorIteratorBaseEENKUlvE_clEvENKUlvE0_clEvEUlfE_EEvS5_RKT_EUlibE0_EEviT1_,"axG",@progbits,_ZN2at6native32elementwise_kernel_manual_unrollILi128ELi4EZNS0_15gpu_kernel_implIZZZNS0_12_GLOBAL__N_137scaled_modified_bessel_k0_kernel_cudaERNS_18TensorIteratorBaseEENKUlvE_clEvENKUlvE0_clEvEUlfE_EEvS5_RKT_EUlibE0_EEviT1_,comdat
.Lfunc_end19:
	.size	_ZN2at6native32elementwise_kernel_manual_unrollILi128ELi4EZNS0_15gpu_kernel_implIZZZNS0_12_GLOBAL__N_137scaled_modified_bessel_k0_kernel_cudaERNS_18TensorIteratorBaseEENKUlvE_clEvENKUlvE0_clEvEUlfE_EEvS5_RKT_EUlibE0_EEviT1_, .Lfunc_end19-_ZN2at6native32elementwise_kernel_manual_unrollILi128ELi4EZNS0_15gpu_kernel_implIZZZNS0_12_GLOBAL__N_137scaled_modified_bessel_k0_kernel_cudaERNS_18TensorIteratorBaseEENKUlvE_clEvENKUlvE0_clEvEUlfE_EEvS5_RKT_EUlibE0_EEviT1_
                                        ; -- End function
	.set _ZN2at6native32elementwise_kernel_manual_unrollILi128ELi4EZNS0_15gpu_kernel_implIZZZNS0_12_GLOBAL__N_137scaled_modified_bessel_k0_kernel_cudaERNS_18TensorIteratorBaseEENKUlvE_clEvENKUlvE0_clEvEUlfE_EEvS5_RKT_EUlibE0_EEviT1_.num_vgpr, 30
	.set _ZN2at6native32elementwise_kernel_manual_unrollILi128ELi4EZNS0_15gpu_kernel_implIZZZNS0_12_GLOBAL__N_137scaled_modified_bessel_k0_kernel_cudaERNS_18TensorIteratorBaseEENKUlvE_clEvENKUlvE0_clEvEUlfE_EEvS5_RKT_EUlibE0_EEviT1_.num_agpr, 0
	.set _ZN2at6native32elementwise_kernel_manual_unrollILi128ELi4EZNS0_15gpu_kernel_implIZZZNS0_12_GLOBAL__N_137scaled_modified_bessel_k0_kernel_cudaERNS_18TensorIteratorBaseEENKUlvE_clEvENKUlvE0_clEvEUlfE_EEvS5_RKT_EUlibE0_EEviT1_.numbered_sgpr, 68
	.set _ZN2at6native32elementwise_kernel_manual_unrollILi128ELi4EZNS0_15gpu_kernel_implIZZZNS0_12_GLOBAL__N_137scaled_modified_bessel_k0_kernel_cudaERNS_18TensorIteratorBaseEENKUlvE_clEvENKUlvE0_clEvEUlfE_EEvS5_RKT_EUlibE0_EEviT1_.num_named_barrier, 0
	.set _ZN2at6native32elementwise_kernel_manual_unrollILi128ELi4EZNS0_15gpu_kernel_implIZZZNS0_12_GLOBAL__N_137scaled_modified_bessel_k0_kernel_cudaERNS_18TensorIteratorBaseEENKUlvE_clEvENKUlvE0_clEvEUlfE_EEvS5_RKT_EUlibE0_EEviT1_.private_seg_size, 0
	.set _ZN2at6native32elementwise_kernel_manual_unrollILi128ELi4EZNS0_15gpu_kernel_implIZZZNS0_12_GLOBAL__N_137scaled_modified_bessel_k0_kernel_cudaERNS_18TensorIteratorBaseEENKUlvE_clEvENKUlvE0_clEvEUlfE_EEvS5_RKT_EUlibE0_EEviT1_.uses_vcc, 1
	.set _ZN2at6native32elementwise_kernel_manual_unrollILi128ELi4EZNS0_15gpu_kernel_implIZZZNS0_12_GLOBAL__N_137scaled_modified_bessel_k0_kernel_cudaERNS_18TensorIteratorBaseEENKUlvE_clEvENKUlvE0_clEvEUlfE_EEvS5_RKT_EUlibE0_EEviT1_.uses_flat_scratch, 0
	.set _ZN2at6native32elementwise_kernel_manual_unrollILi128ELi4EZNS0_15gpu_kernel_implIZZZNS0_12_GLOBAL__N_137scaled_modified_bessel_k0_kernel_cudaERNS_18TensorIteratorBaseEENKUlvE_clEvENKUlvE0_clEvEUlfE_EEvS5_RKT_EUlibE0_EEviT1_.has_dyn_sized_stack, 0
	.set _ZN2at6native32elementwise_kernel_manual_unrollILi128ELi4EZNS0_15gpu_kernel_implIZZZNS0_12_GLOBAL__N_137scaled_modified_bessel_k0_kernel_cudaERNS_18TensorIteratorBaseEENKUlvE_clEvENKUlvE0_clEvEUlfE_EEvS5_RKT_EUlibE0_EEviT1_.has_recursion, 0
	.set _ZN2at6native32elementwise_kernel_manual_unrollILi128ELi4EZNS0_15gpu_kernel_implIZZZNS0_12_GLOBAL__N_137scaled_modified_bessel_k0_kernel_cudaERNS_18TensorIteratorBaseEENKUlvE_clEvENKUlvE0_clEvEUlfE_EEvS5_RKT_EUlibE0_EEviT1_.has_indirect_call, 0
	.section	.AMDGPU.csdata,"",@progbits
; Kernel info:
; codeLenInByte = 58896
; TotalNumSgprs: 70
; NumVgprs: 30
; ScratchSize: 0
; MemoryBound: 1
; FloatMode: 240
; IeeeMode: 1
; LDSByteSize: 0 bytes/workgroup (compile time only)
; SGPRBlocks: 0
; VGPRBlocks: 1
; NumSGPRsForWavesPerEU: 70
; NumVGPRsForWavesPerEU: 30
; NamedBarCnt: 0
; Occupancy: 16
; WaveLimiterHint : 1
; COMPUTE_PGM_RSRC2:SCRATCH_EN: 0
; COMPUTE_PGM_RSRC2:USER_SGPR: 2
; COMPUTE_PGM_RSRC2:TRAP_HANDLER: 0
; COMPUTE_PGM_RSRC2:TGID_X_EN: 1
; COMPUTE_PGM_RSRC2:TGID_Y_EN: 0
; COMPUTE_PGM_RSRC2:TGID_Z_EN: 0
; COMPUTE_PGM_RSRC2:TIDIG_COMP_CNT: 0
	.text
	.p2alignl 7, 3214868480
	.fill 96, 4, 3214868480
	.section	.AMDGPU.gpr_maximums,"",@progbits
	.set amdgpu.max_num_vgpr, 68
	.set amdgpu.max_num_agpr, 0
	.set amdgpu.max_num_sgpr, 32
	.text
	.type	__hip_cuid_549db7cc9411ac1f,@object ; @__hip_cuid_549db7cc9411ac1f
	.section	.bss,"aw",@nobits
	.globl	__hip_cuid_549db7cc9411ac1f
__hip_cuid_549db7cc9411ac1f:
	.byte	0                               ; 0x0
	.size	__hip_cuid_549db7cc9411ac1f, 1

	.ident	"AMD clang version 22.0.0git (https://github.com/RadeonOpenCompute/llvm-project roc-7.2.4 26084 f58b06dce1f9c15707c5f808fd002e18c2accf7e)"
	.section	".note.GNU-stack","",@progbits
	.addrsig
	.addrsig_sym __hip_cuid_549db7cc9411ac1f
	.amdgpu_metadata
---
amdhsa.kernels:
  - .args:
      - .offset:         0
        .size:           4
        .value_kind:     by_value
      - .offset:         4
        .size:           1
        .value_kind:     by_value
      - .offset:         8
        .size:           16
        .value_kind:     by_value
    .group_segment_fixed_size: 0
    .kernarg_segment_align: 8
    .kernarg_segment_size: 24
    .language:       OpenCL C
    .language_version:
      - 2
      - 0
    .max_flat_workgroup_size: 256
    .name:           _ZN2at6native29vectorized_elementwise_kernelILi16EZZZNS0_12_GLOBAL__N_137scaled_modified_bessel_k0_kernel_cudaERNS_18TensorIteratorBaseEENKUlvE_clEvENKUlvE_clEvEUldE_St5arrayIPcLm2EEEEviT0_T1_
    .private_segment_fixed_size: 0
    .sgpr_count:     35
    .sgpr_spill_count: 0
    .symbol:         _ZN2at6native29vectorized_elementwise_kernelILi16EZZZNS0_12_GLOBAL__N_137scaled_modified_bessel_k0_kernel_cudaERNS_18TensorIteratorBaseEENKUlvE_clEvENKUlvE_clEvEUldE_St5arrayIPcLm2EEEEviT0_T1_.kd
    .uniform_work_group_size: 1
    .uses_dynamic_stack: false
    .vgpr_count:     68
    .vgpr_spill_count: 0
    .wavefront_size: 32
  - .args:
      - .offset:         0
        .size:           4
        .value_kind:     by_value
      - .offset:         4
        .size:           1
        .value_kind:     by_value
      - .offset:         8
        .size:           16
        .value_kind:     by_value
    .group_segment_fixed_size: 0
    .kernarg_segment_align: 8
    .kernarg_segment_size: 24
    .language:       OpenCL C
    .language_version:
      - 2
      - 0
    .max_flat_workgroup_size: 256
    .name:           _ZN2at6native29vectorized_elementwise_kernelILi8EZZZNS0_12_GLOBAL__N_137scaled_modified_bessel_k0_kernel_cudaERNS_18TensorIteratorBaseEENKUlvE_clEvENKUlvE_clEvEUldE_St5arrayIPcLm2EEEEviT0_T1_
    .private_segment_fixed_size: 0
    .sgpr_count:     35
    .sgpr_spill_count: 0
    .symbol:         _ZN2at6native29vectorized_elementwise_kernelILi8EZZZNS0_12_GLOBAL__N_137scaled_modified_bessel_k0_kernel_cudaERNS_18TensorIteratorBaseEENKUlvE_clEvENKUlvE_clEvEUldE_St5arrayIPcLm2EEEEviT0_T1_.kd
    .uniform_work_group_size: 1
    .uses_dynamic_stack: false
    .vgpr_count:     68
    .vgpr_spill_count: 0
    .wavefront_size: 32
  - .args:
      - .offset:         0
        .size:           4
        .value_kind:     by_value
      - .offset:         4
        .size:           1
        .value_kind:     by_value
      - .offset:         8
        .size:           16
        .value_kind:     by_value
    .group_segment_fixed_size: 0
    .kernarg_segment_align: 8
    .kernarg_segment_size: 24
    .language:       OpenCL C
    .language_version:
      - 2
      - 0
    .max_flat_workgroup_size: 256
    .name:           _ZN2at6native29vectorized_elementwise_kernelILi4EZZZNS0_12_GLOBAL__N_137scaled_modified_bessel_k0_kernel_cudaERNS_18TensorIteratorBaseEENKUlvE_clEvENKUlvE_clEvEUldE_St5arrayIPcLm2EEEEviT0_T1_
    .private_segment_fixed_size: 0
    .sgpr_count:     35
    .sgpr_spill_count: 0
    .symbol:         _ZN2at6native29vectorized_elementwise_kernelILi4EZZZNS0_12_GLOBAL__N_137scaled_modified_bessel_k0_kernel_cudaERNS_18TensorIteratorBaseEENKUlvE_clEvENKUlvE_clEvEUldE_St5arrayIPcLm2EEEEviT0_T1_.kd
    .uniform_work_group_size: 1
    .uses_dynamic_stack: false
    .vgpr_count:     68
    .vgpr_spill_count: 0
    .wavefront_size: 32
  - .args:
      - .offset:         0
        .size:           4
        .value_kind:     by_value
      - .offset:         4
        .size:           1
        .value_kind:     by_value
      - .offset:         8
        .size:           16
        .value_kind:     by_value
    .group_segment_fixed_size: 0
    .kernarg_segment_align: 8
    .kernarg_segment_size: 24
    .language:       OpenCL C
    .language_version:
      - 2
      - 0
    .max_flat_workgroup_size: 256
    .name:           _ZN2at6native29vectorized_elementwise_kernelILi2EZZZNS0_12_GLOBAL__N_137scaled_modified_bessel_k0_kernel_cudaERNS_18TensorIteratorBaseEENKUlvE_clEvENKUlvE_clEvEUldE_St5arrayIPcLm2EEEEviT0_T1_
    .private_segment_fixed_size: 0
    .sgpr_count:     35
    .sgpr_spill_count: 0
    .symbol:         _ZN2at6native29vectorized_elementwise_kernelILi2EZZZNS0_12_GLOBAL__N_137scaled_modified_bessel_k0_kernel_cudaERNS_18TensorIteratorBaseEENKUlvE_clEvENKUlvE_clEvEUldE_St5arrayIPcLm2EEEEviT0_T1_.kd
    .uniform_work_group_size: 1
    .uses_dynamic_stack: false
    .vgpr_count:     68
    .vgpr_spill_count: 0
    .wavefront_size: 32
  - .args:
      - .offset:         0
        .size:           4
        .value_kind:     by_value
      - .offset:         4
        .size:           1
        .value_kind:     by_value
      - .offset:         8
        .size:           16
        .value_kind:     by_value
      - .offset:         24
        .size:           1
        .value_kind:     by_value
      - .offset:         25
        .size:           1
        .value_kind:     by_value
      - .offset:         26
        .size:           1
        .value_kind:     by_value
      - .offset:         27
        .size:           1
        .value_kind:     by_value
    .group_segment_fixed_size: 0
    .kernarg_segment_align: 8
    .kernarg_segment_size: 28
    .language:       OpenCL C
    .language_version:
      - 2
      - 0
    .max_flat_workgroup_size: 256
    .name:           _ZN2at6native27unrolled_elementwise_kernelIZZZNS0_12_GLOBAL__N_137scaled_modified_bessel_k0_kernel_cudaERNS_18TensorIteratorBaseEENKUlvE_clEvENKUlvE_clEvEUldE_St5arrayIPcLm2EELi4E23TrivialOffsetCalculatorILi1EjESC_NS0_6memory15LoadWithoutCastENSD_16StoreWithoutCastEEEviT_T0_T2_T3_T4_T5_
    .private_segment_fixed_size: 0
    .sgpr_count:     35
    .sgpr_spill_count: 0
    .symbol:         _ZN2at6native27unrolled_elementwise_kernelIZZZNS0_12_GLOBAL__N_137scaled_modified_bessel_k0_kernel_cudaERNS_18TensorIteratorBaseEENKUlvE_clEvENKUlvE_clEvEUldE_St5arrayIPcLm2EELi4E23TrivialOffsetCalculatorILi1EjESC_NS0_6memory15LoadWithoutCastENSD_16StoreWithoutCastEEEviT_T0_T2_T3_T4_T5_.kd
    .uniform_work_group_size: 1
    .uses_dynamic_stack: false
    .vgpr_count:     68
    .vgpr_spill_count: 0
    .wavefront_size: 32
  - .args:
      - .offset:         0
        .size:           4
        .value_kind:     by_value
      - .offset:         8
        .size:           352
        .value_kind:     by_value
    .group_segment_fixed_size: 0
    .kernarg_segment_align: 8
    .kernarg_segment_size: 360
    .language:       OpenCL C
    .language_version:
      - 2
      - 0
    .max_flat_workgroup_size: 128
    .name:           _ZN2at6native32elementwise_kernel_manual_unrollILi128ELi4EZNS0_22gpu_kernel_impl_nocastIZZZNS0_12_GLOBAL__N_137scaled_modified_bessel_k0_kernel_cudaERNS_18TensorIteratorBaseEENKUlvE_clEvENKUlvE_clEvEUldE_EEvS5_RKT_EUlibE_EEviT1_
    .private_segment_fixed_size: 0
    .sgpr_count:     62
    .sgpr_spill_count: 0
    .symbol:         _ZN2at6native32elementwise_kernel_manual_unrollILi128ELi4EZNS0_22gpu_kernel_impl_nocastIZZZNS0_12_GLOBAL__N_137scaled_modified_bessel_k0_kernel_cudaERNS_18TensorIteratorBaseEENKUlvE_clEvENKUlvE_clEvEUldE_EEvS5_RKT_EUlibE_EEviT1_.kd
    .uniform_work_group_size: 1
    .uses_dynamic_stack: false
    .vgpr_count:     48
    .vgpr_spill_count: 0
    .wavefront_size: 32
  - .args:
      - .offset:         0
        .size:           4
        .value_kind:     by_value
      - .offset:         8
        .size:           32
        .value_kind:     by_value
    .group_segment_fixed_size: 0
    .kernarg_segment_align: 8
    .kernarg_segment_size: 40
    .language:       OpenCL C
    .language_version:
      - 2
      - 0
    .max_flat_workgroup_size: 128
    .name:           _ZN2at6native32elementwise_kernel_manual_unrollILi128ELi4EZNS0_15gpu_kernel_implIZZZNS0_12_GLOBAL__N_137scaled_modified_bessel_k0_kernel_cudaERNS_18TensorIteratorBaseEENKUlvE_clEvENKUlvE_clEvEUldE_EEvS5_RKT_EUlibE_EEviT1_
    .private_segment_fixed_size: 0
    .sgpr_count:     28
    .sgpr_spill_count: 0
    .symbol:         _ZN2at6native32elementwise_kernel_manual_unrollILi128ELi4EZNS0_15gpu_kernel_implIZZZNS0_12_GLOBAL__N_137scaled_modified_bessel_k0_kernel_cudaERNS_18TensorIteratorBaseEENKUlvE_clEvENKUlvE_clEvEUldE_EEvS5_RKT_EUlibE_EEviT1_.kd
    .uniform_work_group_size: 1
    .uses_dynamic_stack: false
    .vgpr_count:     42
    .vgpr_spill_count: 0
    .wavefront_size: 32
  - .args:
      - .offset:         0
        .size:           4
        .value_kind:     by_value
      - .offset:         8
        .size:           352
        .value_kind:     by_value
    .group_segment_fixed_size: 0
    .kernarg_segment_align: 8
    .kernarg_segment_size: 360
    .language:       OpenCL C
    .language_version:
      - 2
      - 0
    .max_flat_workgroup_size: 128
    .name:           _ZN2at6native32elementwise_kernel_manual_unrollILi128ELi4EZNS0_15gpu_kernel_implIZZZNS0_12_GLOBAL__N_137scaled_modified_bessel_k0_kernel_cudaERNS_18TensorIteratorBaseEENKUlvE_clEvENKUlvE_clEvEUldE_EEvS5_RKT_EUlibE0_EEviT1_
    .private_segment_fixed_size: 0
    .sgpr_count:     70
    .sgpr_spill_count: 0
    .symbol:         _ZN2at6native32elementwise_kernel_manual_unrollILi128ELi4EZNS0_15gpu_kernel_implIZZZNS0_12_GLOBAL__N_137scaled_modified_bessel_k0_kernel_cudaERNS_18TensorIteratorBaseEENKUlvE_clEvENKUlvE_clEvEUldE_EEvS5_RKT_EUlibE0_EEviT1_.kd
    .uniform_work_group_size: 1
    .uses_dynamic_stack: false
    .vgpr_count:     48
    .vgpr_spill_count: 0
    .wavefront_size: 32
  - .args:
      - .offset:         0
        .size:           4
        .value_kind:     by_value
      - .offset:         4
        .size:           1
        .value_kind:     by_value
      - .offset:         8
        .size:           16
        .value_kind:     by_value
    .group_segment_fixed_size: 0
    .kernarg_segment_align: 8
    .kernarg_segment_size: 24
    .language:       OpenCL C
    .language_version:
      - 2
      - 0
    .max_flat_workgroup_size: 256
    .name:           _ZN2at6native29vectorized_elementwise_kernelILi16EZZZNS0_12_GLOBAL__N_137scaled_modified_bessel_k0_kernel_cudaERNS_18TensorIteratorBaseEENKUlvE_clEvENKUlvE0_clEvEUlfE_St5arrayIPcLm2EEEEviT0_T1_
    .private_segment_fixed_size: 0
    .sgpr_count:     35
    .sgpr_spill_count: 0
    .symbol:         _ZN2at6native29vectorized_elementwise_kernelILi16EZZZNS0_12_GLOBAL__N_137scaled_modified_bessel_k0_kernel_cudaERNS_18TensorIteratorBaseEENKUlvE_clEvENKUlvE0_clEvEUlfE_St5arrayIPcLm2EEEEviT0_T1_.kd
    .uniform_work_group_size: 1
    .uses_dynamic_stack: false
    .vgpr_count:     32
    .vgpr_spill_count: 0
    .wavefront_size: 32
  - .args:
      - .offset:         0
        .size:           4
        .value_kind:     by_value
      - .offset:         4
        .size:           1
        .value_kind:     by_value
      - .offset:         8
        .size:           16
        .value_kind:     by_value
    .group_segment_fixed_size: 0
    .kernarg_segment_align: 8
    .kernarg_segment_size: 24
    .language:       OpenCL C
    .language_version:
      - 2
      - 0
    .max_flat_workgroup_size: 256
    .name:           _ZN2at6native29vectorized_elementwise_kernelILi8EZZZNS0_12_GLOBAL__N_137scaled_modified_bessel_k0_kernel_cudaERNS_18TensorIteratorBaseEENKUlvE_clEvENKUlvE0_clEvEUlfE_St5arrayIPcLm2EEEEviT0_T1_
    .private_segment_fixed_size: 0
    .sgpr_count:     35
    .sgpr_spill_count: 0
    .symbol:         _ZN2at6native29vectorized_elementwise_kernelILi8EZZZNS0_12_GLOBAL__N_137scaled_modified_bessel_k0_kernel_cudaERNS_18TensorIteratorBaseEENKUlvE_clEvENKUlvE0_clEvEUlfE_St5arrayIPcLm2EEEEviT0_T1_.kd
    .uniform_work_group_size: 1
    .uses_dynamic_stack: false
    .vgpr_count:     32
    .vgpr_spill_count: 0
    .wavefront_size: 32
  - .args:
      - .offset:         0
        .size:           4
        .value_kind:     by_value
      - .offset:         4
        .size:           1
        .value_kind:     by_value
      - .offset:         8
        .size:           16
        .value_kind:     by_value
    .group_segment_fixed_size: 0
    .kernarg_segment_align: 8
    .kernarg_segment_size: 24
    .language:       OpenCL C
    .language_version:
      - 2
      - 0
    .max_flat_workgroup_size: 256
    .name:           _ZN2at6native29vectorized_elementwise_kernelILi4EZZZNS0_12_GLOBAL__N_137scaled_modified_bessel_k0_kernel_cudaERNS_18TensorIteratorBaseEENKUlvE_clEvENKUlvE0_clEvEUlfE_St5arrayIPcLm2EEEEviT0_T1_
    .private_segment_fixed_size: 0
    .sgpr_count:     35
    .sgpr_spill_count: 0
    .symbol:         _ZN2at6native29vectorized_elementwise_kernelILi4EZZZNS0_12_GLOBAL__N_137scaled_modified_bessel_k0_kernel_cudaERNS_18TensorIteratorBaseEENKUlvE_clEvENKUlvE0_clEvEUlfE_St5arrayIPcLm2EEEEviT0_T1_.kd
    .uniform_work_group_size: 1
    .uses_dynamic_stack: false
    .vgpr_count:     32
    .vgpr_spill_count: 0
    .wavefront_size: 32
  - .args:
      - .offset:         0
        .size:           4
        .value_kind:     by_value
      - .offset:         4
        .size:           1
        .value_kind:     by_value
      - .offset:         8
        .size:           16
        .value_kind:     by_value
    .group_segment_fixed_size: 0
    .kernarg_segment_align: 8
    .kernarg_segment_size: 24
    .language:       OpenCL C
    .language_version:
      - 2
      - 0
    .max_flat_workgroup_size: 256
    .name:           _ZN2at6native29vectorized_elementwise_kernelILi2EZZZNS0_12_GLOBAL__N_137scaled_modified_bessel_k0_kernel_cudaERNS_18TensorIteratorBaseEENKUlvE_clEvENKUlvE0_clEvEUlfE_St5arrayIPcLm2EEEEviT0_T1_
    .private_segment_fixed_size: 0
    .sgpr_count:     35
    .sgpr_spill_count: 0
    .symbol:         _ZN2at6native29vectorized_elementwise_kernelILi2EZZZNS0_12_GLOBAL__N_137scaled_modified_bessel_k0_kernel_cudaERNS_18TensorIteratorBaseEENKUlvE_clEvENKUlvE0_clEvEUlfE_St5arrayIPcLm2EEEEviT0_T1_.kd
    .uniform_work_group_size: 1
    .uses_dynamic_stack: false
    .vgpr_count:     32
    .vgpr_spill_count: 0
    .wavefront_size: 32
  - .args:
      - .offset:         0
        .size:           4
        .value_kind:     by_value
      - .offset:         4
        .size:           1
        .value_kind:     by_value
      - .offset:         8
        .size:           16
        .value_kind:     by_value
      - .offset:         24
        .size:           1
        .value_kind:     by_value
      - .offset:         25
        .size:           1
        .value_kind:     by_value
      - .offset:         26
        .size:           1
        .value_kind:     by_value
      - .offset:         27
        .size:           1
        .value_kind:     by_value
    .group_segment_fixed_size: 0
    .kernarg_segment_align: 8
    .kernarg_segment_size: 28
    .language:       OpenCL C
    .language_version:
      - 2
      - 0
    .max_flat_workgroup_size: 256
    .name:           _ZN2at6native27unrolled_elementwise_kernelIZZZNS0_12_GLOBAL__N_137scaled_modified_bessel_k0_kernel_cudaERNS_18TensorIteratorBaseEENKUlvE_clEvENKUlvE0_clEvEUlfE_St5arrayIPcLm2EELi4E23TrivialOffsetCalculatorILi1EjESC_NS0_6memory15LoadWithoutCastENSD_16StoreWithoutCastEEEviT_T0_T2_T3_T4_T5_
    .private_segment_fixed_size: 0
    .sgpr_count:     35
    .sgpr_spill_count: 0
    .symbol:         _ZN2at6native27unrolled_elementwise_kernelIZZZNS0_12_GLOBAL__N_137scaled_modified_bessel_k0_kernel_cudaERNS_18TensorIteratorBaseEENKUlvE_clEvENKUlvE0_clEvEUlfE_St5arrayIPcLm2EELi4E23TrivialOffsetCalculatorILi1EjESC_NS0_6memory15LoadWithoutCastENSD_16StoreWithoutCastEEEviT_T0_T2_T3_T4_T5_.kd
    .uniform_work_group_size: 1
    .uses_dynamic_stack: false
    .vgpr_count:     32
    .vgpr_spill_count: 0
    .wavefront_size: 32
  - .args:
      - .offset:         0
        .size:           4
        .value_kind:     by_value
      - .offset:         8
        .size:           352
        .value_kind:     by_value
    .group_segment_fixed_size: 0
    .kernarg_segment_align: 8
    .kernarg_segment_size: 360
    .language:       OpenCL C
    .language_version:
      - 2
      - 0
    .max_flat_workgroup_size: 128
    .name:           _ZN2at6native32elementwise_kernel_manual_unrollILi128ELi4EZNS0_22gpu_kernel_impl_nocastIZZZNS0_12_GLOBAL__N_137scaled_modified_bessel_k0_kernel_cudaERNS_18TensorIteratorBaseEENKUlvE_clEvENKUlvE0_clEvEUlfE_EEvS5_RKT_EUlibE_EEviT1_
    .private_segment_fixed_size: 0
    .sgpr_count:     62
    .sgpr_spill_count: 0
    .symbol:         _ZN2at6native32elementwise_kernel_manual_unrollILi128ELi4EZNS0_22gpu_kernel_impl_nocastIZZZNS0_12_GLOBAL__N_137scaled_modified_bessel_k0_kernel_cudaERNS_18TensorIteratorBaseEENKUlvE_clEvENKUlvE0_clEvEUlfE_EEvS5_RKT_EUlibE_EEviT1_.kd
    .uniform_work_group_size: 1
    .uses_dynamic_stack: false
    .vgpr_count:     26
    .vgpr_spill_count: 0
    .wavefront_size: 32
  - .args:
      - .offset:         0
        .size:           4
        .value_kind:     by_value
      - .offset:         8
        .size:           32
        .value_kind:     by_value
    .group_segment_fixed_size: 0
    .kernarg_segment_align: 8
    .kernarg_segment_size: 40
    .language:       OpenCL C
    .language_version:
      - 2
      - 0
    .max_flat_workgroup_size: 128
    .name:           _ZN2at6native32elementwise_kernel_manual_unrollILi128ELi4EZNS0_15gpu_kernel_implIZZZNS0_12_GLOBAL__N_137scaled_modified_bessel_k0_kernel_cudaERNS_18TensorIteratorBaseEENKUlvE_clEvENKUlvE0_clEvEUlfE_EEvS5_RKT_EUlibE_EEviT1_
    .private_segment_fixed_size: 0
    .sgpr_count:     28
    .sgpr_spill_count: 0
    .symbol:         _ZN2at6native32elementwise_kernel_manual_unrollILi128ELi4EZNS0_15gpu_kernel_implIZZZNS0_12_GLOBAL__N_137scaled_modified_bessel_k0_kernel_cudaERNS_18TensorIteratorBaseEENKUlvE_clEvENKUlvE0_clEvEUlfE_EEvS5_RKT_EUlibE_EEviT1_.kd
    .uniform_work_group_size: 1
    .uses_dynamic_stack: false
    .vgpr_count:     24
    .vgpr_spill_count: 0
    .wavefront_size: 32
  - .args:
      - .offset:         0
        .size:           4
        .value_kind:     by_value
      - .offset:         8
        .size:           352
        .value_kind:     by_value
    .group_segment_fixed_size: 0
    .kernarg_segment_align: 8
    .kernarg_segment_size: 360
    .language:       OpenCL C
    .language_version:
      - 2
      - 0
    .max_flat_workgroup_size: 128
    .name:           _ZN2at6native32elementwise_kernel_manual_unrollILi128ELi4EZNS0_15gpu_kernel_implIZZZNS0_12_GLOBAL__N_137scaled_modified_bessel_k0_kernel_cudaERNS_18TensorIteratorBaseEENKUlvE_clEvENKUlvE0_clEvEUlfE_EEvS5_RKT_EUlibE0_EEviT1_
    .private_segment_fixed_size: 0
    .sgpr_count:     70
    .sgpr_spill_count: 0
    .symbol:         _ZN2at6native32elementwise_kernel_manual_unrollILi128ELi4EZNS0_15gpu_kernel_implIZZZNS0_12_GLOBAL__N_137scaled_modified_bessel_k0_kernel_cudaERNS_18TensorIteratorBaseEENKUlvE_clEvENKUlvE0_clEvEUlfE_EEvS5_RKT_EUlibE0_EEviT1_.kd
    .uniform_work_group_size: 1
    .uses_dynamic_stack: false
    .vgpr_count:     30
    .vgpr_spill_count: 0
    .wavefront_size: 32
amdhsa.target:   amdgcn-amd-amdhsa--gfx1250
amdhsa.version:
  - 1
  - 2
...

	.end_amdgpu_metadata
